;; amdgpu-corpus repo=pytorch/pytorch kind=compiled arch=gfx1100 opt=O3
	.text
	.amdgcn_target "amdgcn-amd-amdhsa--gfx1100"
	.amdhsa_code_object_version 6
	.section	.text._ZN2at6native12_GLOBAL__N_128vectorized_layer_norm_kernelIddLb0EEEviT0_PKT_S6_S6_PS3_S7_PS4_,"axG",@progbits,_ZN2at6native12_GLOBAL__N_128vectorized_layer_norm_kernelIddLb0EEEviT0_PKT_S6_S6_PS3_S7_PS4_,comdat
	.globl	_ZN2at6native12_GLOBAL__N_128vectorized_layer_norm_kernelIddLb0EEEviT0_PKT_S6_S6_PS3_S7_PS4_ ; -- Begin function _ZN2at6native12_GLOBAL__N_128vectorized_layer_norm_kernelIddLb0EEEviT0_PKT_S6_S6_PS3_S7_PS4_
	.p2align	8
	.type	_ZN2at6native12_GLOBAL__N_128vectorized_layer_norm_kernelIddLb0EEEviT0_PKT_S6_S6_PS3_S7_PS4_,@function
_ZN2at6native12_GLOBAL__N_128vectorized_layer_norm_kernelIddLb0EEEviT0_PKT_S6_S6_PS3_S7_PS4_: ; @_ZN2at6native12_GLOBAL__N_128vectorized_layer_norm_kernelIddLb0EEEviT0_PKT_S6_S6_PS3_S7_PS4_
; %bb.0:
	s_trap 2
	s_sendmsg_rtn_b32 s0, sendmsg(MSG_RTN_GET_DOORBELL)
	s_mov_b32 ttmp2, m0
	s_waitcnt lgkmcnt(0)
	s_and_b32 s0, s0, 0x3ff
	s_delay_alu instid0(SALU_CYCLE_1) | instskip(NEXT) | instid1(SALU_CYCLE_1)
	s_bitset1_b32 s0, 10
	s_mov_b32 m0, s0
	s_sendmsg sendmsg(MSG_INTERRUPT)
	s_mov_b32 m0, ttmp2
.LBB0_1:                                ; =>This Inner Loop Header: Depth=1
	s_sethalt 5
	s_branch .LBB0_1
	.section	.rodata,"a",@progbits
	.p2align	6, 0x0
	.amdhsa_kernel _ZN2at6native12_GLOBAL__N_128vectorized_layer_norm_kernelIddLb0EEEviT0_PKT_S6_S6_PS3_S7_PS4_
		.amdhsa_group_segment_fixed_size 0
		.amdhsa_private_segment_fixed_size 0
		.amdhsa_kernarg_size 64
		.amdhsa_user_sgpr_count 15
		.amdhsa_user_sgpr_dispatch_ptr 0
		.amdhsa_user_sgpr_queue_ptr 0
		.amdhsa_user_sgpr_kernarg_segment_ptr 1
		.amdhsa_user_sgpr_dispatch_id 0
		.amdhsa_user_sgpr_private_segment_size 0
		.amdhsa_wavefront_size32 1
		.amdhsa_uses_dynamic_stack 0
		.amdhsa_enable_private_segment 0
		.amdhsa_system_sgpr_workgroup_id_x 1
		.amdhsa_system_sgpr_workgroup_id_y 0
		.amdhsa_system_sgpr_workgroup_id_z 0
		.amdhsa_system_sgpr_workgroup_info 0
		.amdhsa_system_vgpr_workitem_id 0
		.amdhsa_next_free_vgpr 1
		.amdhsa_next_free_sgpr 1
		.amdhsa_reserve_vcc 0
		.amdhsa_float_round_mode_32 0
		.amdhsa_float_round_mode_16_64 0
		.amdhsa_float_denorm_mode_32 3
		.amdhsa_float_denorm_mode_16_64 3
		.amdhsa_dx10_clamp 1
		.amdhsa_ieee_mode 1
		.amdhsa_fp16_overflow 0
		.amdhsa_workgroup_processor_mode 1
		.amdhsa_memory_ordered 1
		.amdhsa_forward_progress 0
		.amdhsa_shared_vgpr_count 0
		.amdhsa_exception_fp_ieee_invalid_op 0
		.amdhsa_exception_fp_denorm_src 0
		.amdhsa_exception_fp_ieee_div_zero 0
		.amdhsa_exception_fp_ieee_overflow 0
		.amdhsa_exception_fp_ieee_underflow 0
		.amdhsa_exception_fp_ieee_inexact 0
		.amdhsa_exception_int_div_zero 0
	.end_amdhsa_kernel
	.section	.text._ZN2at6native12_GLOBAL__N_128vectorized_layer_norm_kernelIddLb0EEEviT0_PKT_S6_S6_PS3_S7_PS4_,"axG",@progbits,_ZN2at6native12_GLOBAL__N_128vectorized_layer_norm_kernelIddLb0EEEviT0_PKT_S6_S6_PS3_S7_PS4_,comdat
.Lfunc_end0:
	.size	_ZN2at6native12_GLOBAL__N_128vectorized_layer_norm_kernelIddLb0EEEviT0_PKT_S6_S6_PS3_S7_PS4_, .Lfunc_end0-_ZN2at6native12_GLOBAL__N_128vectorized_layer_norm_kernelIddLb0EEEviT0_PKT_S6_S6_PS3_S7_PS4_
                                        ; -- End function
	.section	.AMDGPU.csdata,"",@progbits
; Kernel info:
; codeLenInByte = 52
; NumSgprs: 1
; NumVgprs: 0
; ScratchSize: 0
; MemoryBound: 0
; FloatMode: 240
; IeeeMode: 1
; LDSByteSize: 0 bytes/workgroup (compile time only)
; SGPRBlocks: 0
; VGPRBlocks: 0
; NumSGPRsForWavesPerEU: 1
; NumVGPRsForWavesPerEU: 1
; Occupancy: 16
; WaveLimiterHint : 0
; COMPUTE_PGM_RSRC2:SCRATCH_EN: 0
; COMPUTE_PGM_RSRC2:USER_SGPR: 15
; COMPUTE_PGM_RSRC2:TRAP_HANDLER: 0
; COMPUTE_PGM_RSRC2:TGID_X_EN: 1
; COMPUTE_PGM_RSRC2:TGID_Y_EN: 0
; COMPUTE_PGM_RSRC2:TGID_Z_EN: 0
; COMPUTE_PGM_RSRC2:TIDIG_COMP_CNT: 0
	.section	.text._ZN2at6native12_GLOBAL__N_124RowwiseMomentsCUDAKernelIddLb0EEEvlT0_PKT_PS3_S7_,"axG",@progbits,_ZN2at6native12_GLOBAL__N_124RowwiseMomentsCUDAKernelIddLb0EEEvlT0_PKT_PS3_S7_,comdat
	.globl	_ZN2at6native12_GLOBAL__N_124RowwiseMomentsCUDAKernelIddLb0EEEvlT0_PKT_PS3_S7_ ; -- Begin function _ZN2at6native12_GLOBAL__N_124RowwiseMomentsCUDAKernelIddLb0EEEvlT0_PKT_PS3_S7_
	.p2align	8
	.type	_ZN2at6native12_GLOBAL__N_124RowwiseMomentsCUDAKernelIddLb0EEEvlT0_PKT_PS3_S7_,@function
_ZN2at6native12_GLOBAL__N_124RowwiseMomentsCUDAKernelIddLb0EEEvlT0_PKT_PS3_S7_: ; @_ZN2at6native12_GLOBAL__N_124RowwiseMomentsCUDAKernelIddLb0EEEvlT0_PKT_PS3_S7_
; %bb.0:
	s_clause 0x1
	s_load_b256 s[4:11], s[0:1], 0x0
	s_load_b64 s[12:13], s[0:1], 0x20
	v_dual_mov_b32 v1, 0 :: v_dual_mov_b32 v6, 0
	v_dual_mov_b32 v7, 0 :: v_dual_mov_b32 v14, 0
	s_delay_alu instid0(VALU_DEP_2) | instskip(NEXT) | instid1(VALU_DEP_2)
	v_dual_mov_b32 v15, 0 :: v_dual_mov_b32 v2, v6
	v_dual_mov_b32 v4, v6 :: v_dual_mov_b32 v3, v7
	v_mov_b32_e32 v5, v7
	s_mov_b32 s14, s15
	s_mov_b32 s15, 0
	s_mov_b32 s3, exec_lo
	s_waitcnt lgkmcnt(0)
	v_cmpx_gt_i64_e64 s[4:5], v[0:1]
	s_cbranch_execz .LBB1_4
; %bb.1:
	s_load_b32 s2, s[0:1], 0x34
	s_mul_i32 s17, s5, s14
	s_mul_hi_u32 s18, s4, s14
	s_mul_i32 s16, s4, s14
	s_add_i32 s17, s18, s17
	v_lshlrev_b32_e32 v4, 3, v0
	v_dual_mov_b32 v2, 0 :: v_dual_mov_b32 v9, v1
	v_mov_b32_e32 v3, 0
	s_lshl_b64 s[18:19], s[16:17], 3
	v_mov_b32_e32 v8, v0
	s_waitcnt lgkmcnt(0)
	s_and_b32 s16, s2, 0xffff
	s_add_u32 s2, s8, s18
	s_addc_u32 s8, s9, s19
	v_add_co_u32 v10, s2, s2, v4
	v_mov_b32_e32 v5, v3
	v_add_co_ci_u32_e64 v11, null, s8, 0, s2
	v_mov_b32_e32 v4, v2
	s_lshl_b32 s17, s16, 3
	s_mov_b64 s[8:9], 0
	s_mov_b32 s18, s15
.LBB1_2:                                ; =>This Inner Loop Header: Depth=1
	global_load_b64 v[12:13], v[10:11], off
	s_add_u32 s8, s8, 1
	s_addc_u32 s9, s9, 0
	v_cvt_f64_u32_e32 v[14:15], s8
	v_cvt_f64_u32_e32 v[6:7], s9
	v_add_co_u32 v10, s2, v10, s17
	s_delay_alu instid0(VALU_DEP_1) | instskip(NEXT) | instid1(VALU_DEP_3)
	v_add_co_ci_u32_e64 v11, s2, 0, v11, s2
	v_ldexp_f64 v[6:7], v[6:7], 32
	s_delay_alu instid0(VALU_DEP_1) | instskip(SKIP_2) | instid1(VALU_DEP_1)
	v_add_f64 v[6:7], v[6:7], v[14:15]
	s_waitcnt vmcnt(0)
	v_add_f64 v[14:15], v[12:13], -v[4:5]
	v_div_scale_f64 v[16:17], null, v[6:7], v[6:7], v[14:15]
	v_div_scale_f64 v[22:23], vcc_lo, v[14:15], v[6:7], v[14:15]
	s_delay_alu instid0(VALU_DEP_2) | instskip(SKIP_2) | instid1(VALU_DEP_1)
	v_rcp_f64_e32 v[18:19], v[16:17]
	s_waitcnt_depctr 0xfff
	v_fma_f64 v[20:21], -v[16:17], v[18:19], 1.0
	v_fma_f64 v[18:19], v[18:19], v[20:21], v[18:19]
	s_delay_alu instid0(VALU_DEP_1) | instskip(NEXT) | instid1(VALU_DEP_1)
	v_fma_f64 v[20:21], -v[16:17], v[18:19], 1.0
	v_fma_f64 v[18:19], v[18:19], v[20:21], v[18:19]
	s_delay_alu instid0(VALU_DEP_1) | instskip(NEXT) | instid1(VALU_DEP_1)
	v_mul_f64 v[20:21], v[22:23], v[18:19]
	v_fma_f64 v[16:17], -v[16:17], v[20:21], v[22:23]
	s_delay_alu instid0(VALU_DEP_1) | instskip(SKIP_2) | instid1(VALU_DEP_1)
	v_div_fmas_f64 v[16:17], v[16:17], v[18:19], v[20:21]
	v_add_co_u32 v8, vcc_lo, v8, s16
	v_add_co_ci_u32_e32 v9, vcc_lo, 0, v9, vcc_lo
	v_cmp_le_i64_e32 vcc_lo, s[4:5], v[8:9]
	s_or_b32 s18, vcc_lo, s18
	s_delay_alu instid0(VALU_DEP_4) | instskip(NEXT) | instid1(VALU_DEP_1)
	v_div_fixup_f64 v[16:17], v[16:17], v[6:7], v[14:15]
	v_add_f64 v[4:5], v[4:5], v[16:17]
	s_delay_alu instid0(VALU_DEP_1) | instskip(NEXT) | instid1(VALU_DEP_1)
	v_add_f64 v[12:13], v[12:13], -v[4:5]
	v_fma_f64 v[2:3], v[14:15], v[12:13], v[2:3]
	v_dual_mov_b32 v15, s9 :: v_dual_mov_b32 v14, s8
	s_and_not1_b32 exec_lo, exec_lo, s18
	s_cbranch_execnz .LBB1_2
; %bb.3:
	s_or_b32 exec_lo, exec_lo, s18
.LBB1_4:
	s_delay_alu instid0(SALU_CYCLE_1) | instskip(SKIP_2) | instid1(VALU_DEP_1)
	s_or_b32 exec_lo, exec_lo, s3
	v_mbcnt_lo_u32_b32 v23, -1, 0
	s_mov_b32 s2, exec_lo
	v_cmp_gt_u32_e32 vcc_lo, 16, v23
	v_cndmask_b32_e64 v1, 0, 1, vcc_lo
	s_delay_alu instid0(VALU_DEP_1) | instskip(NEXT) | instid1(VALU_DEP_1)
	v_lshlrev_b32_e32 v1, 4, v1
	v_add_lshl_u32 v20, v1, v23, 2
	ds_bpermute_b32 v10, v20, v4
	ds_bpermute_b32 v11, v20, v5
	;; [unrolled: 1-line block ×8, first 2 shown]
	v_cmpx_neq_f64_e32 0, v[6:7]
	s_cbranch_execz .LBB1_8
; %bb.5:
	s_mov_b32 s3, exec_lo
	s_waitcnt lgkmcnt(0)
	v_cmpx_neq_f64_e32 0, v[12:13]
	s_cbranch_execz .LBB1_7
; %bb.6:
	v_add_f64 v[16:17], v[6:7], v[12:13]
	v_add_f64 v[10:11], v[10:11], -v[4:5]
	v_add_f64 v[1:2], v[2:3], v[8:9]
	s_delay_alu instid0(VALU_DEP_3) | instskip(SKIP_1) | instid1(VALU_DEP_2)
	v_div_scale_f64 v[14:15], null, v[16:17], v[16:17], v[12:13]
	v_div_scale_f64 v[24:25], vcc_lo, v[12:13], v[16:17], v[12:13]
	v_rcp_f64_e32 v[18:19], v[14:15]
	s_waitcnt_depctr 0xfff
	v_fma_f64 v[21:22], -v[14:15], v[18:19], 1.0
	s_delay_alu instid0(VALU_DEP_1) | instskip(NEXT) | instid1(VALU_DEP_1)
	v_fma_f64 v[18:19], v[18:19], v[21:22], v[18:19]
	v_fma_f64 v[21:22], -v[14:15], v[18:19], 1.0
	s_delay_alu instid0(VALU_DEP_1) | instskip(NEXT) | instid1(VALU_DEP_1)
	v_fma_f64 v[18:19], v[18:19], v[21:22], v[18:19]
	v_mul_f64 v[21:22], v[24:25], v[18:19]
	s_delay_alu instid0(VALU_DEP_1) | instskip(NEXT) | instid1(VALU_DEP_1)
	v_fma_f64 v[14:15], -v[14:15], v[21:22], v[24:25]
	v_div_fmas_f64 v[14:15], v[14:15], v[18:19], v[21:22]
	v_mul_f64 v[18:19], v[10:11], v[10:11]
	s_delay_alu instid0(VALU_DEP_2) | instskip(NEXT) | instid1(VALU_DEP_2)
	v_div_fixup_f64 v[8:9], v[14:15], v[16:17], v[12:13]
	v_mul_f64 v[6:7], v[6:7], v[18:19]
	v_mov_b32_e32 v14, -1
	v_mov_b32_e32 v15, -1
	s_delay_alu instid0(VALU_DEP_4) | instskip(NEXT) | instid1(VALU_DEP_4)
	v_fma_f64 v[4:5], v[10:11], v[8:9], v[4:5]
	v_fma_f64 v[2:3], v[6:7], v[8:9], v[1:2]
	v_dual_mov_b32 v6, v16 :: v_dual_mov_b32 v7, v17
.LBB1_7:
	s_or_b32 exec_lo, exec_lo, s3
	s_delay_alu instid0(VALU_DEP_1) | instskip(SKIP_1) | instid1(VALU_DEP_4)
	v_dual_mov_b32 v13, v7 :: v_dual_mov_b32 v12, v6
	v_dual_mov_b32 v17, v15 :: v_dual_mov_b32 v16, v14
	v_dual_mov_b32 v9, v3 :: v_dual_mov_b32 v8, v2
	v_dual_mov_b32 v11, v5 :: v_dual_mov_b32 v10, v4
.LBB1_8:
	s_or_b32 exec_lo, exec_lo, s2
	v_cmp_gt_u32_e32 vcc_lo, 24, v23
	s_mov_b32 s2, exec_lo
	v_cndmask_b32_e64 v1, 0, 1, vcc_lo
	s_delay_alu instid0(VALU_DEP_1) | instskip(NEXT) | instid1(VALU_DEP_1)
	v_lshlrev_b32_e32 v1, 3, v1
	v_add_lshl_u32 v21, v1, v23, 2
	s_waitcnt lgkmcnt(7)
	ds_bpermute_b32 v5, v21, v10
	s_waitcnt lgkmcnt(7)
	ds_bpermute_b32 v6, v21, v11
	;; [unrolled: 2-line block ×8, first 2 shown]
	v_cmpx_neq_f64_e32 0, v[12:13]
	s_cbranch_execz .LBB1_12
; %bb.9:
	s_mov_b32 s3, exec_lo
	s_waitcnt lgkmcnt(0)
	v_cmpx_neq_f64_e32 0, v[14:15]
	s_cbranch_execz .LBB1_11
; %bb.10:
	v_add_f64 v[3:4], v[12:13], v[14:15]
	v_add_f64 v[5:6], v[5:6], -v[10:11]
	v_add_f64 v[1:2], v[8:9], v[1:2]
	s_delay_alu instid0(VALU_DEP_3) | instskip(SKIP_1) | instid1(VALU_DEP_2)
	v_div_scale_f64 v[16:17], null, v[3:4], v[3:4], v[14:15]
	v_div_scale_f64 v[26:27], vcc_lo, v[14:15], v[3:4], v[14:15]
	v_rcp_f64_e32 v[18:19], v[16:17]
	s_waitcnt_depctr 0xfff
	v_fma_f64 v[24:25], -v[16:17], v[18:19], 1.0
	s_delay_alu instid0(VALU_DEP_1) | instskip(NEXT) | instid1(VALU_DEP_1)
	v_fma_f64 v[18:19], v[18:19], v[24:25], v[18:19]
	v_fma_f64 v[24:25], -v[16:17], v[18:19], 1.0
	s_delay_alu instid0(VALU_DEP_1) | instskip(NEXT) | instid1(VALU_DEP_1)
	v_fma_f64 v[18:19], v[18:19], v[24:25], v[18:19]
	v_mul_f64 v[24:25], v[26:27], v[18:19]
	s_delay_alu instid0(VALU_DEP_1) | instskip(NEXT) | instid1(VALU_DEP_1)
	v_fma_f64 v[16:17], -v[16:17], v[24:25], v[26:27]
	v_div_fmas_f64 v[16:17], v[16:17], v[18:19], v[24:25]
	v_mul_f64 v[18:19], v[5:6], v[5:6]
	s_delay_alu instid0(VALU_DEP_2) | instskip(NEXT) | instid1(VALU_DEP_2)
	v_div_fixup_f64 v[7:8], v[16:17], v[3:4], v[14:15]
	v_mul_f64 v[12:13], v[12:13], v[18:19]
	v_mov_b32_e32 v16, -1
	v_mov_b32_e32 v17, -1
	s_delay_alu instid0(VALU_DEP_4) | instskip(NEXT) | instid1(VALU_DEP_4)
	v_fma_f64 v[10:11], v[5:6], v[7:8], v[10:11]
	v_fma_f64 v[8:9], v[12:13], v[7:8], v[1:2]
	v_dual_mov_b32 v13, v4 :: v_dual_mov_b32 v12, v3
.LBB1_11:
	s_or_b32 exec_lo, exec_lo, s3
	s_delay_alu instid0(VALU_DEP_1) | instskip(SKIP_1) | instid1(VALU_DEP_4)
	v_dual_mov_b32 v15, v13 :: v_dual_mov_b32 v14, v12
	v_dual_mov_b32 v19, v17 :: v_dual_mov_b32 v18, v16
	v_dual_mov_b32 v1, v8 :: v_dual_mov_b32 v2, v9
	v_dual_mov_b32 v5, v10 :: v_dual_mov_b32 v6, v11
.LBB1_12:
	s_or_b32 exec_lo, exec_lo, s2
	v_cmp_gt_u32_e32 vcc_lo, 28, v23
	s_mov_b32 s2, exec_lo
	v_cndmask_b32_e64 v3, 0, 1, vcc_lo
	s_delay_alu instid0(VALU_DEP_1) | instskip(NEXT) | instid1(VALU_DEP_1)
	v_lshlrev_b32_e32 v3, 2, v3
	v_add_lshl_u32 v22, v3, v23, 2
	s_waitcnt lgkmcnt(7)
	ds_bpermute_b32 v7, v22, v5
	s_waitcnt lgkmcnt(7)
	ds_bpermute_b32 v8, v22, v6
	;; [unrolled: 2-line block ×8, first 2 shown]
	v_cmpx_neq_f64_e32 0, v[14:15]
	s_cbranch_execz .LBB1_16
; %bb.13:
	s_mov_b32 s3, exec_lo
	s_waitcnt lgkmcnt(0)
	v_cmpx_neq_f64_e32 0, v[9:10]
	s_cbranch_execz .LBB1_15
; %bb.14:
	v_add_f64 v[11:12], v[14:15], v[9:10]
	v_add_f64 v[7:8], v[7:8], -v[5:6]
	v_add_f64 v[1:2], v[1:2], v[3:4]
	s_delay_alu instid0(VALU_DEP_3) | instskip(SKIP_1) | instid1(VALU_DEP_2)
	v_div_scale_f64 v[16:17], null, v[11:12], v[11:12], v[9:10]
	v_div_scale_f64 v[26:27], vcc_lo, v[9:10], v[11:12], v[9:10]
	v_rcp_f64_e32 v[18:19], v[16:17]
	s_waitcnt_depctr 0xfff
	v_fma_f64 v[24:25], -v[16:17], v[18:19], 1.0
	s_delay_alu instid0(VALU_DEP_1) | instskip(NEXT) | instid1(VALU_DEP_1)
	v_fma_f64 v[18:19], v[18:19], v[24:25], v[18:19]
	v_fma_f64 v[24:25], -v[16:17], v[18:19], 1.0
	s_delay_alu instid0(VALU_DEP_1) | instskip(NEXT) | instid1(VALU_DEP_1)
	v_fma_f64 v[18:19], v[18:19], v[24:25], v[18:19]
	v_mul_f64 v[24:25], v[26:27], v[18:19]
	s_delay_alu instid0(VALU_DEP_1) | instskip(NEXT) | instid1(VALU_DEP_1)
	v_fma_f64 v[16:17], -v[16:17], v[24:25], v[26:27]
	v_div_fmas_f64 v[16:17], v[16:17], v[18:19], v[24:25]
	v_mul_f64 v[18:19], v[7:8], v[7:8]
	s_delay_alu instid0(VALU_DEP_2) | instskip(NEXT) | instid1(VALU_DEP_2)
	v_div_fixup_f64 v[3:4], v[16:17], v[11:12], v[9:10]
	v_mul_f64 v[9:10], v[14:15], v[18:19]
	v_dual_mov_b32 v18, -1 :: v_dual_mov_b32 v15, v12
	v_dual_mov_b32 v19, -1 :: v_dual_mov_b32 v14, v11
	s_delay_alu instid0(VALU_DEP_4) | instskip(NEXT) | instid1(VALU_DEP_4)
	v_fma_f64 v[5:6], v[7:8], v[3:4], v[5:6]
	v_fma_f64 v[1:2], v[9:10], v[3:4], v[1:2]
.LBB1_15:
	s_or_b32 exec_lo, exec_lo, s3
	s_delay_alu instid0(VALU_DEP_3) | instskip(SKIP_1) | instid1(VALU_DEP_3)
	v_dual_mov_b32 v9, v14 :: v_dual_mov_b32 v10, v15
	v_dual_mov_b32 v16, v18 :: v_dual_mov_b32 v17, v19
	;; [unrolled: 1-line block ×4, first 2 shown]
.LBB1_16:
	s_or_b32 exec_lo, exec_lo, s2
	v_cmp_gt_u32_e32 vcc_lo, 30, v23
	s_mov_b32 s2, exec_lo
	v_cndmask_b32_e64 v1, 0, 1, vcc_lo
	s_delay_alu instid0(VALU_DEP_1) | instskip(NEXT) | instid1(VALU_DEP_1)
	v_lshlrev_b32_e32 v1, 1, v1
	v_add_lshl_u32 v18, v1, v23, 2
	s_waitcnt lgkmcnt(7)
	ds_bpermute_b32 v5, v18, v7
	s_waitcnt lgkmcnt(7)
	ds_bpermute_b32 v6, v18, v8
	;; [unrolled: 2-line block ×8, first 2 shown]
	v_cmpx_neq_f64_e32 0, v[9:10]
	s_cbranch_execz .LBB1_20
; %bb.17:
	s_mov_b32 s3, exec_lo
	s_waitcnt lgkmcnt(0)
	v_cmpx_neq_f64_e32 0, v[11:12]
	s_cbranch_execz .LBB1_19
; %bb.18:
	v_add_f64 v[13:14], v[9:10], v[11:12]
	v_add_f64 v[5:6], v[5:6], -v[7:8]
	v_add_f64 v[1:2], v[3:4], v[1:2]
	s_delay_alu instid0(VALU_DEP_3) | instskip(SKIP_1) | instid1(VALU_DEP_2)
	v_div_scale_f64 v[15:16], null, v[13:14], v[13:14], v[11:12]
	v_div_scale_f64 v[28:29], vcc_lo, v[11:12], v[13:14], v[11:12]
	v_rcp_f64_e32 v[24:25], v[15:16]
	s_waitcnt_depctr 0xfff
	v_fma_f64 v[26:27], -v[15:16], v[24:25], 1.0
	s_delay_alu instid0(VALU_DEP_1) | instskip(NEXT) | instid1(VALU_DEP_1)
	v_fma_f64 v[24:25], v[24:25], v[26:27], v[24:25]
	v_fma_f64 v[26:27], -v[15:16], v[24:25], 1.0
	s_delay_alu instid0(VALU_DEP_1) | instskip(NEXT) | instid1(VALU_DEP_1)
	v_fma_f64 v[24:25], v[24:25], v[26:27], v[24:25]
	v_mul_f64 v[26:27], v[28:29], v[24:25]
	s_delay_alu instid0(VALU_DEP_1) | instskip(NEXT) | instid1(VALU_DEP_1)
	v_fma_f64 v[15:16], -v[15:16], v[26:27], v[28:29]
	v_div_fmas_f64 v[15:16], v[15:16], v[24:25], v[26:27]
	v_mul_f64 v[24:25], v[5:6], v[5:6]
	s_delay_alu instid0(VALU_DEP_2) | instskip(NEXT) | instid1(VALU_DEP_2)
	v_div_fixup_f64 v[3:4], v[15:16], v[13:14], v[11:12]
	v_mul_f64 v[9:10], v[9:10], v[24:25]
	v_mov_b32_e32 v16, -1
	v_mov_b32_e32 v17, -1
	s_delay_alu instid0(VALU_DEP_4) | instskip(NEXT) | instid1(VALU_DEP_4)
	v_fma_f64 v[7:8], v[5:6], v[3:4], v[7:8]
	v_fma_f64 v[3:4], v[9:10], v[3:4], v[1:2]
	v_dual_mov_b32 v9, v13 :: v_dual_mov_b32 v10, v14
.LBB1_19:
	s_or_b32 exec_lo, exec_lo, s3
	s_delay_alu instid0(VALU_DEP_1) | instskip(SKIP_1) | instid1(VALU_DEP_4)
	v_dual_mov_b32 v12, v10 :: v_dual_mov_b32 v11, v9
	v_dual_mov_b32 v13, v16 :: v_dual_mov_b32 v14, v17
	;; [unrolled: 1-line block ×4, first 2 shown]
.LBB1_20:
	s_or_b32 exec_lo, exec_lo, s2
	v_cmp_ne_u32_e64 s2, 31, v23
	s_delay_alu instid0(VALU_DEP_1) | instskip(SKIP_1) | instid1(VALU_DEP_1)
	v_add_co_ci_u32_e64 v3, s2, 0, v23, s2
	s_mov_b32 s2, exec_lo
	v_lshlrev_b32_e32 v17, 2, v3
	s_waitcnt lgkmcnt(7)
	ds_bpermute_b32 v9, v17, v5
	s_waitcnt lgkmcnt(7)
	ds_bpermute_b32 v10, v17, v6
	;; [unrolled: 2-line block ×8, first 2 shown]
	v_cmpx_neq_f64_e32 0, v[11:12]
	s_cbranch_execz .LBB1_24
; %bb.21:
	s_mov_b32 s3, exec_lo
	s_waitcnt lgkmcnt(0)
	v_cmpx_neq_f64_e32 0, v[3:4]
	s_cbranch_execz .LBB1_23
; %bb.22:
	v_add_f64 v[15:16], v[11:12], v[3:4]
	v_add_f64 v[9:10], v[9:10], -v[5:6]
	v_add_f64 v[1:2], v[1:2], v[7:8]
	s_delay_alu instid0(VALU_DEP_3) | instskip(SKIP_1) | instid1(VALU_DEP_2)
	v_div_scale_f64 v[13:14], null, v[15:16], v[15:16], v[3:4]
	v_div_scale_f64 v[27:28], vcc_lo, v[3:4], v[15:16], v[3:4]
	v_rcp_f64_e32 v[23:24], v[13:14]
	s_waitcnt_depctr 0xfff
	v_fma_f64 v[25:26], -v[13:14], v[23:24], 1.0
	s_delay_alu instid0(VALU_DEP_1) | instskip(NEXT) | instid1(VALU_DEP_1)
	v_fma_f64 v[23:24], v[23:24], v[25:26], v[23:24]
	v_fma_f64 v[25:26], -v[13:14], v[23:24], 1.0
	s_delay_alu instid0(VALU_DEP_1) | instskip(NEXT) | instid1(VALU_DEP_1)
	v_fma_f64 v[23:24], v[23:24], v[25:26], v[23:24]
	v_mul_f64 v[25:26], v[27:28], v[23:24]
	s_delay_alu instid0(VALU_DEP_1) | instskip(NEXT) | instid1(VALU_DEP_1)
	v_fma_f64 v[13:14], -v[13:14], v[25:26], v[27:28]
	v_div_fmas_f64 v[13:14], v[13:14], v[23:24], v[25:26]
	v_mul_f64 v[23:24], v[9:10], v[9:10]
	s_delay_alu instid0(VALU_DEP_2) | instskip(NEXT) | instid1(VALU_DEP_2)
	v_div_fixup_f64 v[3:4], v[13:14], v[15:16], v[3:4]
	v_mul_f64 v[7:8], v[11:12], v[23:24]
	v_mov_b32_e32 v13, -1
	v_dual_mov_b32 v14, -1 :: v_dual_mov_b32 v11, v15
	v_mov_b32_e32 v12, v16
	v_fma_f64 v[5:6], v[9:10], v[3:4], v[5:6]
	v_fma_f64 v[1:2], v[7:8], v[3:4], v[1:2]
.LBB1_23:
	s_or_b32 exec_lo, exec_lo, s3
	s_delay_alu instid0(VALU_DEP_3) | instskip(SKIP_1) | instid1(VALU_DEP_3)
	v_dual_mov_b32 v3, v11 :: v_dual_mov_b32 v4, v12
	v_dual_mov_b32 v16, v14 :: v_dual_mov_b32 v15, v13
	;; [unrolled: 1-line block ×4, first 2 shown]
.LBB1_24:
	s_or_b32 exec_lo, exec_lo, s2
	v_and_b32_e32 v1, 31, v0
	s_mov_b32 s2, exec_lo
	s_waitcnt lgkmcnt(0)
	s_barrier
	buffer_gl0_inv
	v_cmpx_eq_u32_e32 0, v1
	s_cbranch_execz .LBB1_26
; %bb.25:
	ds_store_2addr_b64 v0, v[9:10], v[7:8] offset1:1
	ds_store_2addr_b64 v0, v[15:16], v[3:4] offset0:2 offset1:3
.LBB1_26:
	s_or_b32 exec_lo, exec_lo, s2
	s_waitcnt lgkmcnt(0)
	s_barrier
	buffer_gl0_inv
	s_load_b32 s0, s[0:1], 0x34
	v_mov_b32_e32 v3, 0
	v_dual_mov_b32 v4, 0 :: v_dual_lshlrev_b32 v7, 5, v1
	s_delay_alu instid0(VALU_DEP_1) | instskip(SKIP_2) | instid1(SALU_CYCLE_1)
	v_dual_mov_b32 v1, v3 :: v_dual_mov_b32 v2, v4
	s_waitcnt lgkmcnt(0)
	s_bfe_u32 s0, s0, 0xb0005
	v_cmp_gt_u32_e32 vcc_lo, s0, v0
	s_and_saveexec_b32 s0, vcc_lo
	s_cbranch_execz .LBB1_28
; %bb.27:
	ds_load_b64 v[1:2], v7
.LBB1_28:
	s_or_b32 exec_lo, exec_lo, s0
	s_and_saveexec_b32 s0, vcc_lo
	s_cbranch_execz .LBB1_30
; %bb.29:
	ds_load_b64 v[3:4], v7 offset:8
.LBB1_30:
	s_or_b32 exec_lo, exec_lo, s0
	v_mov_b32_e32 v5, 0
	v_mov_b32_e32 v6, 0
	s_and_saveexec_b32 s0, vcc_lo
	s_cbranch_execz .LBB1_32
; %bb.31:
	ds_load_b64 v[5:6], v7 offset:24
.LBB1_32:
	s_or_b32 exec_lo, exec_lo, s0
	s_delay_alu instid0(SALU_CYCLE_1)
	s_mov_b32 s0, exec_lo
	v_cmpx_gt_u32_e32 32, v0
	s_cbranch_execz .LBB1_54
; %bb.33:
	s_waitcnt lgkmcnt(0)
	ds_bpermute_b32 v9, v20, v1
	ds_bpermute_b32 v10, v20, v2
	;; [unrolled: 1-line block ×6, first 2 shown]
	s_mov_b32 s1, exec_lo
	v_cmpx_neq_f64_e32 0, v[5:6]
	s_cbranch_execz .LBB1_37
; %bb.34:
	s_mov_b32 s2, exec_lo
	s_waitcnt lgkmcnt(0)
	v_cmpx_neq_f64_e32 0, v[11:12]
	s_cbranch_execz .LBB1_36
; %bb.35:
	v_add_f64 v[13:14], v[5:6], v[11:12]
	v_add_f64 v[9:10], v[9:10], -v[1:2]
	v_add_f64 v[3:4], v[3:4], v[7:8]
	s_delay_alu instid0(VALU_DEP_3) | instskip(SKIP_1) | instid1(VALU_DEP_2)
	v_div_scale_f64 v[15:16], null, v[13:14], v[13:14], v[11:12]
	v_div_scale_f64 v[25:26], vcc_lo, v[11:12], v[13:14], v[11:12]
	v_rcp_f64_e32 v[19:20], v[15:16]
	s_waitcnt_depctr 0xfff
	v_fma_f64 v[23:24], -v[15:16], v[19:20], 1.0
	s_delay_alu instid0(VALU_DEP_1) | instskip(NEXT) | instid1(VALU_DEP_1)
	v_fma_f64 v[19:20], v[19:20], v[23:24], v[19:20]
	v_fma_f64 v[23:24], -v[15:16], v[19:20], 1.0
	s_delay_alu instid0(VALU_DEP_1) | instskip(NEXT) | instid1(VALU_DEP_1)
	v_fma_f64 v[19:20], v[19:20], v[23:24], v[19:20]
	v_mul_f64 v[23:24], v[25:26], v[19:20]
	s_delay_alu instid0(VALU_DEP_1) | instskip(NEXT) | instid1(VALU_DEP_1)
	v_fma_f64 v[15:16], -v[15:16], v[23:24], v[25:26]
	v_div_fmas_f64 v[15:16], v[15:16], v[19:20], v[23:24]
	v_mul_f64 v[19:20], v[9:10], v[9:10]
	s_delay_alu instid0(VALU_DEP_2) | instskip(NEXT) | instid1(VALU_DEP_2)
	v_div_fixup_f64 v[7:8], v[15:16], v[13:14], v[11:12]
	v_mul_f64 v[5:6], v[5:6], v[19:20]
	s_delay_alu instid0(VALU_DEP_2) | instskip(NEXT) | instid1(VALU_DEP_2)
	v_fma_f64 v[1:2], v[9:10], v[7:8], v[1:2]
	v_fma_f64 v[3:4], v[5:6], v[7:8], v[3:4]
	v_dual_mov_b32 v5, v13 :: v_dual_mov_b32 v6, v14
.LBB1_36:
	s_or_b32 exec_lo, exec_lo, s2
	s_delay_alu instid0(VALU_DEP_1) | instskip(NEXT) | instid1(VALU_DEP_3)
	v_dual_mov_b32 v12, v6 :: v_dual_mov_b32 v11, v5
	v_dual_mov_b32 v8, v4 :: v_dual_mov_b32 v7, v3
	v_dual_mov_b32 v10, v2 :: v_dual_mov_b32 v9, v1
.LBB1_37:
	s_or_b32 exec_lo, exec_lo, s1
	s_waitcnt lgkmcnt(5)
	ds_bpermute_b32 v5, v21, v9
	s_waitcnt lgkmcnt(5)
	ds_bpermute_b32 v6, v21, v10
	;; [unrolled: 2-line block ×6, first 2 shown]
	s_mov_b32 s1, exec_lo
	v_cmpx_neq_f64_e32 0, v[11:12]
	s_cbranch_execz .LBB1_41
; %bb.38:
	s_mov_b32 s2, exec_lo
	s_waitcnt lgkmcnt(0)
	v_cmpx_neq_f64_e32 0, v[13:14]
	s_cbranch_execz .LBB1_40
; %bb.39:
	v_add_f64 v[3:4], v[11:12], v[13:14]
	v_add_f64 v[5:6], v[5:6], -v[9:10]
	v_add_f64 v[1:2], v[7:8], v[1:2]
	s_delay_alu instid0(VALU_DEP_3) | instskip(SKIP_1) | instid1(VALU_DEP_2)
	v_div_scale_f64 v[15:16], null, v[3:4], v[3:4], v[13:14]
	v_div_scale_f64 v[25:26], vcc_lo, v[13:14], v[3:4], v[13:14]
	v_rcp_f64_e32 v[19:20], v[15:16]
	s_waitcnt_depctr 0xfff
	v_fma_f64 v[23:24], -v[15:16], v[19:20], 1.0
	s_delay_alu instid0(VALU_DEP_1) | instskip(NEXT) | instid1(VALU_DEP_1)
	v_fma_f64 v[19:20], v[19:20], v[23:24], v[19:20]
	v_fma_f64 v[23:24], -v[15:16], v[19:20], 1.0
	s_delay_alu instid0(VALU_DEP_1) | instskip(NEXT) | instid1(VALU_DEP_1)
	v_fma_f64 v[19:20], v[19:20], v[23:24], v[19:20]
	v_mul_f64 v[23:24], v[25:26], v[19:20]
	s_delay_alu instid0(VALU_DEP_1) | instskip(NEXT) | instid1(VALU_DEP_1)
	v_fma_f64 v[15:16], -v[15:16], v[23:24], v[25:26]
	v_div_fmas_f64 v[15:16], v[15:16], v[19:20], v[23:24]
	v_mul_f64 v[19:20], v[5:6], v[5:6]
	s_delay_alu instid0(VALU_DEP_2) | instskip(NEXT) | instid1(VALU_DEP_2)
	v_div_fixup_f64 v[7:8], v[15:16], v[3:4], v[13:14]
	v_mul_f64 v[11:12], v[11:12], v[19:20]
	s_delay_alu instid0(VALU_DEP_2) | instskip(NEXT) | instid1(VALU_DEP_2)
	v_fma_f64 v[9:10], v[5:6], v[7:8], v[9:10]
	v_fma_f64 v[7:8], v[11:12], v[7:8], v[1:2]
	v_dual_mov_b32 v12, v4 :: v_dual_mov_b32 v11, v3
.LBB1_40:
	s_or_b32 exec_lo, exec_lo, s2
	s_delay_alu instid0(VALU_DEP_1) | instskip(NEXT) | instid1(VALU_DEP_3)
	v_dual_mov_b32 v14, v12 :: v_dual_mov_b32 v13, v11
	v_dual_mov_b32 v1, v7 :: v_dual_mov_b32 v2, v8
	;; [unrolled: 1-line block ×3, first 2 shown]
.LBB1_41:
	s_or_b32 exec_lo, exec_lo, s1
	s_waitcnt lgkmcnt(5)
	ds_bpermute_b32 v11, v22, v5
	s_waitcnt lgkmcnt(5)
	ds_bpermute_b32 v12, v22, v6
	;; [unrolled: 2-line block ×6, first 2 shown]
	s_mov_b32 s1, exec_lo
	v_cmpx_neq_f64_e32 0, v[13:14]
	s_cbranch_execz .LBB1_45
; %bb.42:
	s_mov_b32 s2, exec_lo
	s_waitcnt lgkmcnt(0)
	v_cmpx_neq_f64_e32 0, v[15:16]
	s_cbranch_execz .LBB1_44
; %bb.43:
	v_add_f64 v[7:8], v[13:14], v[15:16]
	v_add_f64 v[11:12], v[11:12], -v[5:6]
	v_add_f64 v[1:2], v[1:2], v[3:4]
	s_delay_alu instid0(VALU_DEP_3) | instskip(SKIP_1) | instid1(VALU_DEP_2)
	v_div_scale_f64 v[9:10], null, v[7:8], v[7:8], v[15:16]
	v_div_scale_f64 v[23:24], vcc_lo, v[15:16], v[7:8], v[15:16]
	v_rcp_f64_e32 v[19:20], v[9:10]
	s_waitcnt_depctr 0xfff
	v_fma_f64 v[21:22], -v[9:10], v[19:20], 1.0
	s_delay_alu instid0(VALU_DEP_1) | instskip(NEXT) | instid1(VALU_DEP_1)
	v_fma_f64 v[19:20], v[19:20], v[21:22], v[19:20]
	v_fma_f64 v[21:22], -v[9:10], v[19:20], 1.0
	s_delay_alu instid0(VALU_DEP_1) | instskip(NEXT) | instid1(VALU_DEP_1)
	v_fma_f64 v[19:20], v[19:20], v[21:22], v[19:20]
	v_mul_f64 v[21:22], v[23:24], v[19:20]
	s_delay_alu instid0(VALU_DEP_1) | instskip(NEXT) | instid1(VALU_DEP_1)
	v_fma_f64 v[9:10], -v[9:10], v[21:22], v[23:24]
	v_div_fmas_f64 v[9:10], v[9:10], v[19:20], v[21:22]
	v_mul_f64 v[19:20], v[11:12], v[11:12]
	s_delay_alu instid0(VALU_DEP_2) | instskip(NEXT) | instid1(VALU_DEP_2)
	v_div_fixup_f64 v[3:4], v[9:10], v[7:8], v[15:16]
	v_mul_f64 v[9:10], v[13:14], v[19:20]
	v_dual_mov_b32 v14, v8 :: v_dual_mov_b32 v13, v7
	s_delay_alu instid0(VALU_DEP_3) | instskip(NEXT) | instid1(VALU_DEP_3)
	v_fma_f64 v[5:6], v[11:12], v[3:4], v[5:6]
	v_fma_f64 v[1:2], v[9:10], v[3:4], v[1:2]
.LBB1_44:
	s_or_b32 exec_lo, exec_lo, s2
	s_delay_alu instid0(VALU_DEP_3) | instskip(NEXT) | instid1(VALU_DEP_2)
	v_dual_mov_b32 v16, v14 :: v_dual_mov_b32 v15, v13
	v_dual_mov_b32 v4, v2 :: v_dual_mov_b32 v3, v1
	s_delay_alu instid0(VALU_DEP_4)
	v_dual_mov_b32 v12, v6 :: v_dual_mov_b32 v11, v5
.LBB1_45:
	s_or_b32 exec_lo, exec_lo, s1
	s_waitcnt lgkmcnt(5)
	ds_bpermute_b32 v13, v18, v11
	s_waitcnt lgkmcnt(5)
	ds_bpermute_b32 v14, v18, v12
	;; [unrolled: 2-line block ×6, first 2 shown]
	s_mov_b32 s1, exec_lo
	v_cmpx_neq_f64_e32 0, v[15:16]
	s_cbranch_execz .LBB1_49
; %bb.46:
	s_mov_b32 s2, exec_lo
	s_waitcnt lgkmcnt(0)
	v_cmpx_neq_f64_e32 0, v[7:8]
	s_cbranch_execz .LBB1_48
; %bb.47:
	v_add_f64 v[1:2], v[15:16], v[7:8]
	v_add_f64 v[13:14], v[13:14], -v[11:12]
	v_add_f64 v[3:4], v[3:4], v[9:10]
	s_delay_alu instid0(VALU_DEP_3) | instskip(SKIP_1) | instid1(VALU_DEP_2)
	v_div_scale_f64 v[5:6], null, v[1:2], v[1:2], v[7:8]
	v_div_scale_f64 v[22:23], vcc_lo, v[7:8], v[1:2], v[7:8]
	v_rcp_f64_e32 v[18:19], v[5:6]
	s_waitcnt_depctr 0xfff
	v_fma_f64 v[20:21], -v[5:6], v[18:19], 1.0
	s_delay_alu instid0(VALU_DEP_1) | instskip(NEXT) | instid1(VALU_DEP_1)
	v_fma_f64 v[18:19], v[18:19], v[20:21], v[18:19]
	v_fma_f64 v[20:21], -v[5:6], v[18:19], 1.0
	s_delay_alu instid0(VALU_DEP_1) | instskip(NEXT) | instid1(VALU_DEP_1)
	v_fma_f64 v[18:19], v[18:19], v[20:21], v[18:19]
	v_mul_f64 v[20:21], v[22:23], v[18:19]
	s_delay_alu instid0(VALU_DEP_1) | instskip(NEXT) | instid1(VALU_DEP_1)
	v_fma_f64 v[5:6], -v[5:6], v[20:21], v[22:23]
	v_div_fmas_f64 v[5:6], v[5:6], v[18:19], v[20:21]
	v_mul_f64 v[18:19], v[13:14], v[13:14]
	s_delay_alu instid0(VALU_DEP_2) | instskip(NEXT) | instid1(VALU_DEP_2)
	v_div_fixup_f64 v[5:6], v[5:6], v[1:2], v[7:8]
	v_mul_f64 v[7:8], v[15:16], v[18:19]
	v_dual_mov_b32 v16, v2 :: v_dual_mov_b32 v15, v1
	s_delay_alu instid0(VALU_DEP_3) | instskip(NEXT) | instid1(VALU_DEP_3)
	v_fma_f64 v[11:12], v[13:14], v[5:6], v[11:12]
	v_fma_f64 v[3:4], v[7:8], v[5:6], v[3:4]
.LBB1_48:
	s_or_b32 exec_lo, exec_lo, s2
	s_delay_alu instid0(VALU_DEP_3) | instskip(NEXT) | instid1(VALU_DEP_2)
	v_dual_mov_b32 v7, v15 :: v_dual_mov_b32 v8, v16
	v_dual_mov_b32 v10, v4 :: v_dual_mov_b32 v9, v3
	s_delay_alu instid0(VALU_DEP_4)
	v_dual_mov_b32 v14, v12 :: v_dual_mov_b32 v13, v11
.LBB1_49:
	s_or_b32 exec_lo, exec_lo, s1
	s_waitcnt lgkmcnt(5)
	ds_bpermute_b32 v1, v17, v13
	s_waitcnt lgkmcnt(5)
	ds_bpermute_b32 v2, v17, v14
	;; [unrolled: 2-line block ×6, first 2 shown]
	s_mov_b32 s1, exec_lo
	v_cmpx_neq_f64_e32 0, v[7:8]
	s_cbranch_execz .LBB1_53
; %bb.50:
	s_mov_b32 s2, exec_lo
	s_waitcnt lgkmcnt(0)
	v_cmpx_neq_f64_e32 0, v[5:6]
	s_cbranch_execz .LBB1_52
; %bb.51:
	v_add_f64 v[11:12], v[7:8], v[5:6]
	v_add_f64 v[1:2], v[1:2], -v[13:14]
	v_add_f64 v[3:4], v[9:10], v[3:4]
	s_delay_alu instid0(VALU_DEP_3) | instskip(SKIP_1) | instid1(VALU_DEP_2)
	v_div_scale_f64 v[15:16], null, v[11:12], v[11:12], v[5:6]
	v_div_scale_f64 v[21:22], vcc_lo, v[5:6], v[11:12], v[5:6]
	v_rcp_f64_e32 v[17:18], v[15:16]
	s_waitcnt_depctr 0xfff
	v_fma_f64 v[19:20], -v[15:16], v[17:18], 1.0
	s_delay_alu instid0(VALU_DEP_1) | instskip(NEXT) | instid1(VALU_DEP_1)
	v_fma_f64 v[17:18], v[17:18], v[19:20], v[17:18]
	v_fma_f64 v[19:20], -v[15:16], v[17:18], 1.0
	s_delay_alu instid0(VALU_DEP_1) | instskip(NEXT) | instid1(VALU_DEP_1)
	v_fma_f64 v[17:18], v[17:18], v[19:20], v[17:18]
	v_mul_f64 v[19:20], v[21:22], v[17:18]
	s_delay_alu instid0(VALU_DEP_1) | instskip(NEXT) | instid1(VALU_DEP_1)
	v_fma_f64 v[15:16], -v[15:16], v[19:20], v[21:22]
	v_div_fmas_f64 v[15:16], v[15:16], v[17:18], v[19:20]
	v_mul_f64 v[17:18], v[1:2], v[1:2]
	s_delay_alu instid0(VALU_DEP_2) | instskip(NEXT) | instid1(VALU_DEP_2)
	v_div_fixup_f64 v[5:6], v[15:16], v[11:12], v[5:6]
	v_mul_f64 v[7:8], v[7:8], v[17:18]
	s_delay_alu instid0(VALU_DEP_2) | instskip(NEXT) | instid1(VALU_DEP_2)
	v_fma_f64 v[13:14], v[1:2], v[5:6], v[13:14]
	v_fma_f64 v[9:10], v[7:8], v[5:6], v[3:4]
	v_dual_mov_b32 v7, v11 :: v_dual_mov_b32 v8, v12
.LBB1_52:
	s_or_b32 exec_lo, exec_lo, s2
	s_delay_alu instid0(VALU_DEP_1) | instskip(NEXT) | instid1(VALU_DEP_3)
	v_dual_mov_b32 v5, v7 :: v_dual_mov_b32 v6, v8
	v_dual_mov_b32 v3, v9 :: v_dual_mov_b32 v4, v10
	;; [unrolled: 1-line block ×3, first 2 shown]
.LBB1_53:
	s_or_b32 exec_lo, exec_lo, s1
.LBB1_54:
	s_delay_alu instid0(SALU_CYCLE_1) | instskip(NEXT) | instid1(SALU_CYCLE_1)
	s_or_b32 exec_lo, exec_lo, s0
	s_mov_b32 s0, exec_lo
	v_cmpx_eq_u32_e32 0, v0
	s_cbranch_execz .LBB1_56
; %bb.55:
	s_waitcnt lgkmcnt(0)
	v_max_f64 v[5:6], v[5:6], v[5:6]
	s_lshl_b64 s[0:1], s[14:15], 3
	s_delay_alu instid0(SALU_CYCLE_1) | instskip(SKIP_3) | instid1(VALU_DEP_1)
	s_add_u32 s2, s10, s0
	s_addc_u32 s3, s11, s1
	s_add_u32 s0, s12, s0
	s_addc_u32 s1, s13, s1
	v_max_f64 v[5:6], v[5:6], 0
	s_delay_alu instid0(VALU_DEP_1) | instskip(SKIP_1) | instid1(VALU_DEP_2)
	v_div_scale_f64 v[7:8], null, v[5:6], v[5:6], v[3:4]
	v_div_scale_f64 v[13:14], vcc_lo, v[3:4], v[5:6], v[3:4]
	v_rcp_f64_e32 v[9:10], v[7:8]
	s_waitcnt_depctr 0xfff
	v_fma_f64 v[11:12], -v[7:8], v[9:10], 1.0
	s_delay_alu instid0(VALU_DEP_1) | instskip(NEXT) | instid1(VALU_DEP_1)
	v_fma_f64 v[9:10], v[9:10], v[11:12], v[9:10]
	v_fma_f64 v[11:12], -v[7:8], v[9:10], 1.0
	s_delay_alu instid0(VALU_DEP_1) | instskip(NEXT) | instid1(VALU_DEP_1)
	v_fma_f64 v[9:10], v[9:10], v[11:12], v[9:10]
	v_mul_f64 v[11:12], v[13:14], v[9:10]
	s_delay_alu instid0(VALU_DEP_1) | instskip(NEXT) | instid1(VALU_DEP_1)
	v_fma_f64 v[7:8], -v[7:8], v[11:12], v[13:14]
	v_div_fmas_f64 v[7:8], v[7:8], v[9:10], v[11:12]
	s_delay_alu instid0(VALU_DEP_1) | instskip(NEXT) | instid1(VALU_DEP_1)
	v_div_fixup_f64 v[3:4], v[7:8], v[5:6], v[3:4]
	v_add_f64 v[3:4], v[3:4], s[6:7]
	s_delay_alu instid0(VALU_DEP_1) | instskip(SKIP_3) | instid1(VALU_DEP_2)
	v_rsq_f64_e32 v[5:6], v[3:4]
	s_waitcnt_depctr 0xfff
	v_mul_f64 v[3:4], v[5:6], -v[3:4]
	v_cmp_class_f64_e64 vcc_lo, v[5:6], 0x180
	v_fma_f64 v[3:4], v[3:4], v[5:6], 1.0
	s_delay_alu instid0(VALU_DEP_1) | instskip(SKIP_1) | instid1(VALU_DEP_1)
	v_mul_f64 v[7:8], v[5:6], v[3:4]
	v_fma_f64 v[3:4], 0x3fd80000, v[3:4], 0.5
	v_fma_f64 v[3:4], v[7:8], v[3:4], v[5:6]
	s_delay_alu instid0(VALU_DEP_1) | instskip(NEXT) | instid1(VALU_DEP_2)
	v_dual_mov_b32 v0, 0 :: v_dual_cndmask_b32 v3, v5, v3
	v_cndmask_b32_e32 v4, v6, v4, vcc_lo
	s_clause 0x1
	global_store_b64 v0, v[1:2], s[2:3]
	global_store_b64 v0, v[3:4], s[0:1]
.LBB1_56:
	s_nop 0
	s_sendmsg sendmsg(MSG_DEALLOC_VGPRS)
	s_endpgm
	.section	.rodata,"a",@progbits
	.p2align	6, 0x0
	.amdhsa_kernel _ZN2at6native12_GLOBAL__N_124RowwiseMomentsCUDAKernelIddLb0EEEvlT0_PKT_PS3_S7_
		.amdhsa_group_segment_fixed_size 1024
		.amdhsa_private_segment_fixed_size 0
		.amdhsa_kernarg_size 296
		.amdhsa_user_sgpr_count 15
		.amdhsa_user_sgpr_dispatch_ptr 0
		.amdhsa_user_sgpr_queue_ptr 0
		.amdhsa_user_sgpr_kernarg_segment_ptr 1
		.amdhsa_user_sgpr_dispatch_id 0
		.amdhsa_user_sgpr_private_segment_size 0
		.amdhsa_wavefront_size32 1
		.amdhsa_uses_dynamic_stack 0
		.amdhsa_enable_private_segment 0
		.amdhsa_system_sgpr_workgroup_id_x 1
		.amdhsa_system_sgpr_workgroup_id_y 0
		.amdhsa_system_sgpr_workgroup_id_z 0
		.amdhsa_system_sgpr_workgroup_info 0
		.amdhsa_system_vgpr_workitem_id 0
		.amdhsa_next_free_vgpr 30
		.amdhsa_next_free_sgpr 20
		.amdhsa_reserve_vcc 1
		.amdhsa_float_round_mode_32 0
		.amdhsa_float_round_mode_16_64 0
		.amdhsa_float_denorm_mode_32 3
		.amdhsa_float_denorm_mode_16_64 3
		.amdhsa_dx10_clamp 1
		.amdhsa_ieee_mode 1
		.amdhsa_fp16_overflow 0
		.amdhsa_workgroup_processor_mode 1
		.amdhsa_memory_ordered 1
		.amdhsa_forward_progress 0
		.amdhsa_shared_vgpr_count 0
		.amdhsa_exception_fp_ieee_invalid_op 0
		.amdhsa_exception_fp_denorm_src 0
		.amdhsa_exception_fp_ieee_div_zero 0
		.amdhsa_exception_fp_ieee_overflow 0
		.amdhsa_exception_fp_ieee_underflow 0
		.amdhsa_exception_fp_ieee_inexact 0
		.amdhsa_exception_int_div_zero 0
	.end_amdhsa_kernel
	.section	.text._ZN2at6native12_GLOBAL__N_124RowwiseMomentsCUDAKernelIddLb0EEEvlT0_PKT_PS3_S7_,"axG",@progbits,_ZN2at6native12_GLOBAL__N_124RowwiseMomentsCUDAKernelIddLb0EEEvlT0_PKT_PS3_S7_,comdat
.Lfunc_end1:
	.size	_ZN2at6native12_GLOBAL__N_124RowwiseMomentsCUDAKernelIddLb0EEEvlT0_PKT_PS3_S7_, .Lfunc_end1-_ZN2at6native12_GLOBAL__N_124RowwiseMomentsCUDAKernelIddLb0EEEvlT0_PKT_PS3_S7_
                                        ; -- End function
	.section	.AMDGPU.csdata,"",@progbits
; Kernel info:
; codeLenInByte = 4368
; NumSgprs: 22
; NumVgprs: 30
; ScratchSize: 0
; MemoryBound: 0
; FloatMode: 240
; IeeeMode: 1
; LDSByteSize: 1024 bytes/workgroup (compile time only)
; SGPRBlocks: 2
; VGPRBlocks: 3
; NumSGPRsForWavesPerEU: 22
; NumVGPRsForWavesPerEU: 30
; Occupancy: 16
; WaveLimiterHint : 0
; COMPUTE_PGM_RSRC2:SCRATCH_EN: 0
; COMPUTE_PGM_RSRC2:USER_SGPR: 15
; COMPUTE_PGM_RSRC2:TRAP_HANDLER: 0
; COMPUTE_PGM_RSRC2:TGID_X_EN: 1
; COMPUTE_PGM_RSRC2:TGID_Y_EN: 0
; COMPUTE_PGM_RSRC2:TGID_Z_EN: 0
; COMPUTE_PGM_RSRC2:TIDIG_COMP_CNT: 0
	.section	.text._ZN2at6native12_GLOBAL__N_126LayerNormForwardCUDAKernelIddLb0EEEvlPKT_PKT0_S8_S5_S5_PS3_,"axG",@progbits,_ZN2at6native12_GLOBAL__N_126LayerNormForwardCUDAKernelIddLb0EEEvlPKT_PKT0_S8_S5_S5_PS3_,comdat
	.globl	_ZN2at6native12_GLOBAL__N_126LayerNormForwardCUDAKernelIddLb0EEEvlPKT_PKT0_S8_S5_S5_PS3_ ; -- Begin function _ZN2at6native12_GLOBAL__N_126LayerNormForwardCUDAKernelIddLb0EEEvlPKT_PKT0_S8_S5_S5_PS3_
	.p2align	8
	.type	_ZN2at6native12_GLOBAL__N_126LayerNormForwardCUDAKernelIddLb0EEEvlPKT_PKT0_S8_S5_S5_PS3_,@function
_ZN2at6native12_GLOBAL__N_126LayerNormForwardCUDAKernelIddLb0EEEvlPKT_PKT0_S8_S5_S5_PS3_: ; @_ZN2at6native12_GLOBAL__N_126LayerNormForwardCUDAKernelIddLb0EEEvlPKT_PKT0_S8_S5_S5_PS3_
; %bb.0:
	s_load_b256 s[4:11], s[0:1], 0x0
	v_mov_b32_e32 v1, 0
	s_mov_b32 s3, exec_lo
	s_waitcnt lgkmcnt(0)
	s_delay_alu instid0(VALU_DEP_1)
	v_cmpx_gt_i64_e64 s[4:5], v[0:1]
	s_cbranch_execz .LBB2_8
; %bb.1:
	s_mov_b32 s2, s15
	s_clause 0x1
	s_load_b256 s[12:19], s[0:1], 0x20
	s_load_b32 s0, s[0:1], 0x44
	s_mov_b32 s3, 0
	s_waitcnt lgkmcnt(0)
	s_mul_i32 s19, s5, s2
	s_mul_hi_u32 s21, s4, s2
	s_mul_i32 s20, s4, s2
	v_dual_mov_b32 v9, v1 :: v_dual_lshlrev_b32 v8, 3, v0
	v_dual_mov_b32 v3, v1 :: v_dual_mov_b32 v2, v0
	s_cmp_lg_u64 s[12:13], 0
	s_cselect_b32 s1, -1, 0
	s_cmp_lg_u64 s[14:15], 0
	s_cselect_b32 s18, -1, 0
	s_lshl_b64 s[22:23], s[2:3], 3
	s_delay_alu instid0(SALU_CYCLE_1)
	s_add_u32 s8, s8, s22
	s_addc_u32 s9, s9, s23
	s_add_u32 s10, s10, s22
	s_addc_u32 s11, s11, s23
	s_add_i32 s21, s21, s19
	s_and_b32 s2, s0, 0xffff
	s_lshl_b64 s[20:21], s[20:21], 3
	s_delay_alu instid0(SALU_CYCLE_1)
	s_add_u32 s6, s6, s20
	s_addc_u32 s7, s7, s21
	s_lshl_b32 s19, s2, 3
	s_add_u32 s16, s16, s20
	s_addc_u32 s17, s17, s21
	s_branch .LBB2_4
.LBB2_2:                                ;   in Loop: Header=BB2_4 Depth=1
	v_add_co_u32 v6, vcc_lo, s14, v8
	v_add_co_ci_u32_e32 v7, vcc_lo, s15, v9, vcc_lo
	global_load_b64 v[6:7], v[6:7], off
.LBB2_3:                                ;   in Loop: Header=BB2_4 Depth=1
	v_add_co_u32 v10, vcc_lo, s6, v8
	v_add_co_ci_u32_e32 v11, vcc_lo, s7, v9, vcc_lo
	v_add_co_u32 v2, vcc_lo, v2, s2
	v_add_co_ci_u32_e32 v3, vcc_lo, 0, v3, vcc_lo
	global_load_b64 v[10:11], v[10:11], off
	s_clause 0x1
	global_load_b64 v[12:13], v1, s[8:9]
	global_load_b64 v[14:15], v1, s[10:11]
	s_waitcnt vmcnt(1)
	v_add_f64 v[10:11], v[10:11], -v[12:13]
	s_waitcnt vmcnt(0)
	s_delay_alu instid0(VALU_DEP_1) | instskip(NEXT) | instid1(VALU_DEP_1)
	v_mul_f64 v[10:11], v[10:11], v[14:15]
	v_fma_f64 v[4:5], v[4:5], v[10:11], v[6:7]
	v_add_co_u32 v6, vcc_lo, s16, v8
	v_add_co_ci_u32_e32 v7, vcc_lo, s17, v9, vcc_lo
	v_cmp_le_i64_e32 vcc_lo, s[4:5], v[2:3]
	v_add_co_u32 v8, s0, v8, s19
	s_delay_alu instid0(VALU_DEP_1)
	v_add_co_ci_u32_e64 v9, s0, 0, v9, s0
	s_or_b32 s3, vcc_lo, s3
	global_store_b64 v[6:7], v[4:5], off
	s_and_not1_b32 exec_lo, exec_lo, s3
	s_cbranch_execz .LBB2_8
.LBB2_4:                                ; =>This Inner Loop Header: Depth=1
	s_and_not1_b32 vcc_lo, exec_lo, s1
	s_cbranch_vccnz .LBB2_6
; %bb.5:                                ;   in Loop: Header=BB2_4 Depth=1
	v_add_co_u32 v4, vcc_lo, s12, v8
	v_add_co_ci_u32_e32 v5, vcc_lo, s13, v9, vcc_lo
	global_load_b64 v[4:5], v[4:5], off
	s_and_not1_b32 vcc_lo, exec_lo, s18
	s_cbranch_vccz .LBB2_2
	s_branch .LBB2_7
.LBB2_6:                                ;   in Loop: Header=BB2_4 Depth=1
	v_mov_b32_e32 v4, 0
	v_mov_b32_e32 v5, 0x3ff00000
	s_and_not1_b32 vcc_lo, exec_lo, s18
	s_cbranch_vccz .LBB2_2
.LBB2_7:                                ;   in Loop: Header=BB2_4 Depth=1
	v_mov_b32_e32 v6, 0
	v_mov_b32_e32 v7, 0
	s_branch .LBB2_3
.LBB2_8:
	s_nop 0
	s_sendmsg sendmsg(MSG_DEALLOC_VGPRS)
	s_endpgm
	.section	.rodata,"a",@progbits
	.p2align	6, 0x0
	.amdhsa_kernel _ZN2at6native12_GLOBAL__N_126LayerNormForwardCUDAKernelIddLb0EEEvlPKT_PKT0_S8_S5_S5_PS3_
		.amdhsa_group_segment_fixed_size 0
		.amdhsa_private_segment_fixed_size 0
		.amdhsa_kernarg_size 312
		.amdhsa_user_sgpr_count 15
		.amdhsa_user_sgpr_dispatch_ptr 0
		.amdhsa_user_sgpr_queue_ptr 0
		.amdhsa_user_sgpr_kernarg_segment_ptr 1
		.amdhsa_user_sgpr_dispatch_id 0
		.amdhsa_user_sgpr_private_segment_size 0
		.amdhsa_wavefront_size32 1
		.amdhsa_uses_dynamic_stack 0
		.amdhsa_enable_private_segment 0
		.amdhsa_system_sgpr_workgroup_id_x 1
		.amdhsa_system_sgpr_workgroup_id_y 0
		.amdhsa_system_sgpr_workgroup_id_z 0
		.amdhsa_system_sgpr_workgroup_info 0
		.amdhsa_system_vgpr_workitem_id 0
		.amdhsa_next_free_vgpr 16
		.amdhsa_next_free_sgpr 24
		.amdhsa_reserve_vcc 1
		.amdhsa_float_round_mode_32 0
		.amdhsa_float_round_mode_16_64 0
		.amdhsa_float_denorm_mode_32 3
		.amdhsa_float_denorm_mode_16_64 3
		.amdhsa_dx10_clamp 1
		.amdhsa_ieee_mode 1
		.amdhsa_fp16_overflow 0
		.amdhsa_workgroup_processor_mode 1
		.amdhsa_memory_ordered 1
		.amdhsa_forward_progress 0
		.amdhsa_shared_vgpr_count 0
		.amdhsa_exception_fp_ieee_invalid_op 0
		.amdhsa_exception_fp_denorm_src 0
		.amdhsa_exception_fp_ieee_div_zero 0
		.amdhsa_exception_fp_ieee_overflow 0
		.amdhsa_exception_fp_ieee_underflow 0
		.amdhsa_exception_fp_ieee_inexact 0
		.amdhsa_exception_int_div_zero 0
	.end_amdhsa_kernel
	.section	.text._ZN2at6native12_GLOBAL__N_126LayerNormForwardCUDAKernelIddLb0EEEvlPKT_PKT0_S8_S5_S5_PS3_,"axG",@progbits,_ZN2at6native12_GLOBAL__N_126LayerNormForwardCUDAKernelIddLb0EEEvlPKT_PKT0_S8_S5_S5_PS3_,comdat
.Lfunc_end2:
	.size	_ZN2at6native12_GLOBAL__N_126LayerNormForwardCUDAKernelIddLb0EEEvlPKT_PKT0_S8_S5_S5_PS3_, .Lfunc_end2-_ZN2at6native12_GLOBAL__N_126LayerNormForwardCUDAKernelIddLb0EEEvlPKT_PKT0_S8_S5_S5_PS3_
                                        ; -- End function
	.section	.AMDGPU.csdata,"",@progbits
; Kernel info:
; codeLenInByte = 428
; NumSgprs: 26
; NumVgprs: 16
; ScratchSize: 0
; MemoryBound: 0
; FloatMode: 240
; IeeeMode: 1
; LDSByteSize: 0 bytes/workgroup (compile time only)
; SGPRBlocks: 3
; VGPRBlocks: 1
; NumSGPRsForWavesPerEU: 26
; NumVGPRsForWavesPerEU: 16
; Occupancy: 16
; WaveLimiterHint : 0
; COMPUTE_PGM_RSRC2:SCRATCH_EN: 0
; COMPUTE_PGM_RSRC2:USER_SGPR: 15
; COMPUTE_PGM_RSRC2:TRAP_HANDLER: 0
; COMPUTE_PGM_RSRC2:TGID_X_EN: 1
; COMPUTE_PGM_RSRC2:TGID_Y_EN: 0
; COMPUTE_PGM_RSRC2:TGID_Z_EN: 0
; COMPUTE_PGM_RSRC2:TIDIG_COMP_CNT: 0
	.section	.text._ZN2at6native12_GLOBAL__N_128vectorized_layer_norm_kernelIffLb0EEEviT0_PKT_S6_S6_PS3_S7_PS4_,"axG",@progbits,_ZN2at6native12_GLOBAL__N_128vectorized_layer_norm_kernelIffLb0EEEviT0_PKT_S6_S6_PS3_S7_PS4_,comdat
	.globl	_ZN2at6native12_GLOBAL__N_128vectorized_layer_norm_kernelIffLb0EEEviT0_PKT_S6_S6_PS3_S7_PS4_ ; -- Begin function _ZN2at6native12_GLOBAL__N_128vectorized_layer_norm_kernelIffLb0EEEviT0_PKT_S6_S6_PS3_S7_PS4_
	.p2align	8
	.type	_ZN2at6native12_GLOBAL__N_128vectorized_layer_norm_kernelIffLb0EEEviT0_PKT_S6_S6_PS3_S7_PS4_,@function
_ZN2at6native12_GLOBAL__N_128vectorized_layer_norm_kernelIffLb0EEEviT0_PKT_S6_S6_PS3_S7_PS4_: ; @_ZN2at6native12_GLOBAL__N_128vectorized_layer_norm_kernelIffLb0EEEviT0_PKT_S6_S6_PS3_S7_PS4_
; %bb.0:
	s_mov_b32 s16, s15
	s_clause 0x1
	s_load_b128 s[12:15], s[0:1], 0x0
	s_load_b32 s3, s[0:1], 0x44
	v_and_b32_e32 v2, 0x3ff, v0
	v_bfe_u32 v3, v0, 10, 10
	v_dual_mov_b32 v6, 0 :: v_dual_mov_b32 v5, 0
	v_mov_b32_e32 v4, 0
	s_mov_b32 s17, 0
	s_waitcnt lgkmcnt(0)
	s_ashr_i32 s2, s12, 31
	s_and_b32 s5, s3, 0xffff
	s_mul_i32 s6, s2, s16
	s_lshr_b32 s2, s2, 30
	v_mul_u32_u24_e32 v0, s5, v3
	v_mad_u32_u24 v10, v3, s5, v2
	s_add_i32 s2, s12, s2
	s_mul_hi_u32 s4, s12, s16
	s_ashr_i32 s22, s2, 2
	v_add_lshl_u32 v11, v0, v2, 4
	v_cmp_gt_i32_e64 s2, s22, v10
	s_lshr_b32 s8, s3, 16
	s_add_i32 s21, s4, s6
	s_mul_i32 s20, s12, s16
	s_mul_i32 s18, s8, s5
	s_and_saveexec_b32 s9, s2
	s_cbranch_execz .LBB3_4
; %bb.1:
	s_lshl_b64 s[4:5], s[20:21], 2
	v_dual_mov_b32 v6, 0 :: v_dual_mov_b32 v7, v10
	s_add_u32 s3, s14, s4
	s_addc_u32 s4, s15, s5
	v_add_co_u32 v0, s3, s3, v11
	s_delay_alu instid0(VALU_DEP_1) | instskip(SKIP_1) | instid1(VALU_DEP_3)
	v_add_co_ci_u32_e64 v1, null, s4, 0, s3
	v_dual_mov_b32 v4, 0 :: v_dual_mov_b32 v5, 0
	v_add_co_u32 v0, vcc_lo, v0, 8
	s_delay_alu instid0(VALU_DEP_3)
	v_add_co_ci_u32_e32 v1, vcc_lo, 0, v1, vcc_lo
	s_ashr_i32 s19, s18, 31
	s_mov_b32 s10, s17
	s_lshl_b64 s[6:7], s[18:19], 4
.LBB3_2:                                ; =>This Inner Loop Header: Depth=1
	global_load_b128 v[12:15], v[0:1], off offset:-8
	v_dual_add_f32 v8, 1.0, v6 :: v_dual_add_nc_u32 v7, s18, v7
	s_delay_alu instid0(VALU_DEP_1) | instskip(NEXT) | instid1(VALU_DEP_1)
	v_div_scale_f32 v16, null, v8, v8, 1.0
	v_rcp_f32_e32 v19, v16
	s_waitcnt_depctr 0xfff
	v_fma_f32 v25, -v16, v19, 1.0
	s_delay_alu instid0(VALU_DEP_1) | instskip(SKIP_1) | instid1(VALU_DEP_1)
	v_fmac_f32_e32 v19, v25, v19
	v_div_scale_f32 v17, vcc_lo, 1.0, v8, 1.0
	v_dual_add_f32 v9, 1.0, v8 :: v_dual_mul_f32 v30, v17, v19
	s_delay_alu instid0(VALU_DEP_1) | instskip(SKIP_1) | instid1(VALU_DEP_3)
	v_div_scale_f32 v18, null, v9, v9, 1.0
	v_add_f32_e32 v20, 1.0, v9
	v_fma_f32 v31, -v16, v30, v17
	v_div_scale_f32 v21, s3, 1.0, v9, 1.0
	s_delay_alu instid0(VALU_DEP_4) | instskip(NEXT) | instid1(VALU_DEP_3)
	v_rcp_f32_e32 v22, v18
	v_div_scale_f32 v23, null, v20, v20, 1.0
	v_div_scale_f32 v24, s4, 1.0, v20, 1.0
	s_delay_alu instid0(VALU_DEP_2) | instskip(SKIP_2) | instid1(VALU_DEP_1)
	v_rcp_f32_e32 v26, v23
	s_waitcnt_depctr 0xfff
	v_fma_f32 v25, -v18, v22, 1.0
	v_fmac_f32_e32 v22, v25, v22
	v_fma_f32 v25, -v23, v26, 1.0
	s_delay_alu instid0(VALU_DEP_1) | instskip(NEXT) | instid1(VALU_DEP_1)
	v_fmac_f32_e32 v26, v25, v26
	v_dual_mul_f32 v33, v24, v26 :: v_dual_add_f32 v6, 1.0, v20
	v_fmac_f32_e32 v30, v31, v19
	s_delay_alu instid0(VALU_DEP_2) | instskip(NEXT) | instid1(VALU_DEP_2)
	v_div_scale_f32 v27, null, v6, v6, 1.0
	v_fma_f32 v16, -v16, v30, v17
	s_delay_alu instid0(VALU_DEP_4) | instskip(NEXT) | instid1(VALU_DEP_3)
	v_fma_f32 v17, -v23, v33, v24
	v_rcp_f32_e32 v29, v27
	s_delay_alu instid0(VALU_DEP_2) | instskip(SKIP_2) | instid1(VALU_DEP_2)
	v_div_fmas_f32 v16, v16, v19, v30
	s_mov_b32 vcc_lo, s3
	v_cmp_le_i32_e64 s3, s22, v7
	v_div_fixup_f32 v8, v16, v8, 1.0
	s_delay_alu instid0(VALU_DEP_2) | instskip(SKIP_2) | instid1(VALU_DEP_1)
	s_or_b32 s10, s3, s10
	s_waitcnt_depctr 0xfff
	v_fma_f32 v25, -v27, v29, 1.0
	v_fmac_f32_e32 v29, v25, v29
	v_div_scale_f32 v28, s5, 1.0, v6, 1.0
	s_delay_alu instid0(VALU_DEP_1) | instskip(SKIP_2) | instid1(VALU_DEP_1)
	v_mul_f32_e32 v25, v28, v29
	s_waitcnt vmcnt(0)
	v_sub_f32_e32 v16, v12, v5
	v_dual_mul_f32 v32, v21, v22 :: v_dual_fmac_f32 v5, v8, v16
	s_delay_alu instid0(VALU_DEP_1) | instskip(NEXT) | instid1(VALU_DEP_2)
	v_fma_f32 v31, -v18, v32, v21
	v_sub_f32_e32 v12, v12, v5
	s_delay_alu instid0(VALU_DEP_2) | instskip(NEXT) | instid1(VALU_DEP_1)
	v_fmac_f32_e32 v32, v31, v22
	v_fma_f32 v18, -v18, v32, v21
	s_delay_alu instid0(VALU_DEP_1) | instskip(SKIP_1) | instid1(VALU_DEP_1)
	v_div_fmas_f32 v18, v18, v22, v32
	s_mov_b32 vcc_lo, s4
	v_div_fixup_f32 v8, v18, v9, 1.0
	v_sub_f32_e32 v9, v13, v5
	s_delay_alu instid0(VALU_DEP_1) | instskip(SKIP_2) | instid1(VALU_DEP_3)
	v_fmac_f32_e32 v5, v8, v9
	v_fmac_f32_e32 v33, v17, v26
	v_fma_f32 v17, -v27, v25, v28
	v_sub_f32_e32 v13, v13, v5
	s_delay_alu instid0(VALU_DEP_3) | instskip(NEXT) | instid1(VALU_DEP_3)
	v_fma_f32 v19, -v23, v33, v24
	v_fmac_f32_e32 v25, v17, v29
	s_delay_alu instid0(VALU_DEP_2) | instskip(NEXT) | instid1(VALU_DEP_2)
	v_div_fmas_f32 v17, v19, v26, v33
	v_fma_f32 v8, -v27, v25, v28
	s_mov_b32 vcc_lo, s5
	s_delay_alu instid0(VALU_DEP_2) | instskip(NEXT) | instid1(VALU_DEP_2)
	v_div_fixup_f32 v17, v17, v20, 1.0
	v_div_fmas_f32 v8, v8, v29, v25
	v_add_co_u32 v0, vcc_lo, v0, s6
	v_add_co_ci_u32_e32 v1, vcc_lo, s7, v1, vcc_lo
	s_delay_alu instid0(VALU_DEP_3) | instskip(SKIP_1) | instid1(VALU_DEP_1)
	v_div_fixup_f32 v8, v8, v6, 1.0
	v_sub_f32_e32 v18, v14, v5
	v_dual_fmac_f32 v5, v17, v18 :: v_dual_fmac_f32 v4, v16, v12
	s_delay_alu instid0(VALU_DEP_1) | instskip(NEXT) | instid1(VALU_DEP_2)
	v_sub_f32_e32 v12, v15, v5
	v_fmac_f32_e32 v4, v9, v13
	v_sub_f32_e32 v9, v14, v5
	s_delay_alu instid0(VALU_DEP_1) | instskip(NEXT) | instid1(VALU_DEP_1)
	v_dual_fmac_f32 v5, v8, v12 :: v_dual_fmac_f32 v4, v18, v9
	v_sub_f32_e32 v8, v15, v5
	s_delay_alu instid0(VALU_DEP_1)
	v_fmac_f32_e32 v4, v12, v8
	s_and_not1_b32 exec_lo, exec_lo, s10
	s_cbranch_execnz .LBB3_2
; %bb.3:
	s_or_b32 exec_lo, exec_lo, s10
.LBB3_4:
	s_delay_alu instid0(SALU_CYCLE_1) | instskip(SKIP_4) | instid1(VALU_DEP_3)
	s_or_b32 exec_lo, exec_lo, s9
	v_mbcnt_lo_u32_b32 v0, -1, 0
	s_mov_b32 s3, exec_lo
	v_mov_b32_e32 v8, 0
	v_mov_b32_e32 v12, 0
	v_cmp_gt_u32_e32 vcc_lo, 16, v0
	v_cndmask_b32_e64 v1, 0, 1, vcc_lo
	s_delay_alu instid0(VALU_DEP_1) | instskip(NEXT) | instid1(VALU_DEP_1)
	v_lshlrev_b32_e32 v1, 4, v1
	v_add_lshl_u32 v1, v1, v0, 2
	ds_bpermute_b32 v13, v1, v6
	ds_bpermute_b32 v9, v1, v5
	;; [unrolled: 1-line block ×3, first 2 shown]
	v_mov_b32_e32 v1, 0
	s_waitcnt lgkmcnt(2)
	v_add_f32_e32 v7, v6, v13
	s_delay_alu instid0(VALU_DEP_1)
	v_cmpx_lt_f32_e32 0, v7
	s_cbranch_execz .LBB3_6
; %bb.5:
	v_div_scale_f32 v8, null, v7, v7, 1.0
	v_div_scale_f32 v16, vcc_lo, 1.0, v7, 1.0
	s_delay_alu instid0(VALU_DEP_2) | instskip(SKIP_2) | instid1(VALU_DEP_1)
	v_rcp_f32_e32 v12, v8
	s_waitcnt_depctr 0xfff
	v_fma_f32 v15, -v8, v12, 1.0
	v_fmac_f32_e32 v12, v15, v12
	s_delay_alu instid0(VALU_DEP_1) | instskip(NEXT) | instid1(VALU_DEP_1)
	v_mul_f32_e32 v15, v16, v12
	v_fma_f32 v17, -v8, v15, v16
	s_delay_alu instid0(VALU_DEP_1) | instskip(NEXT) | instid1(VALU_DEP_1)
	v_fmac_f32_e32 v15, v17, v12
	v_fma_f32 v8, -v8, v15, v16
	s_delay_alu instid0(VALU_DEP_1) | instskip(NEXT) | instid1(VALU_DEP_1)
	v_div_fmas_f32 v8, v8, v12, v15
	v_div_fixup_f32 v12, v8, v7, 1.0
	s_waitcnt lgkmcnt(1)
	v_sub_f32_e32 v8, v5, v9
	s_delay_alu instid0(VALU_DEP_1) | instskip(NEXT) | instid1(VALU_DEP_3)
	v_mul_f32_e32 v15, v8, v8
	v_mul_f32_e32 v6, v6, v12
	s_waitcnt lgkmcnt(0)
	v_add_f32_e32 v8, v4, v14
	v_mul_f32_e32 v4, v12, v13
	s_delay_alu instid0(VALU_DEP_3) | instskip(NEXT) | instid1(VALU_DEP_1)
	v_dual_mul_f32 v12, v5, v6 :: v_dual_mul_f32 v5, v15, v13
	v_fmac_f32_e32 v12, v4, v9
	s_delay_alu instid0(VALU_DEP_2)
	v_fmac_f32_e32 v8, v5, v6
.LBB3_6:
	s_or_b32 exec_lo, exec_lo, s3
	v_cmp_gt_u32_e32 vcc_lo, 24, v0
	s_mov_b32 s3, exec_lo
	s_waitcnt lgkmcnt(1)
	v_mov_b32_e32 v9, 0
	v_cndmask_b32_e64 v4, 0, 1, vcc_lo
	s_delay_alu instid0(VALU_DEP_1) | instskip(NEXT) | instid1(VALU_DEP_1)
	v_lshlrev_b32_e32 v4, 3, v4
	v_add_lshl_u32 v4, v4, v0, 2
	ds_bpermute_b32 v6, v4, v7
	ds_bpermute_b32 v5, v4, v12
	ds_bpermute_b32 v13, v4, v8
	s_waitcnt lgkmcnt(2)
	v_add_f32_e32 v4, v7, v6
	s_delay_alu instid0(VALU_DEP_1)
	v_cmpx_lt_f32_e32 0, v4
	s_cbranch_execz .LBB3_8
; %bb.7:
	v_div_scale_f32 v1, null, v4, v4, 1.0
	v_div_scale_f32 v15, vcc_lo, 1.0, v4, 1.0
	s_delay_alu instid0(VALU_DEP_2) | instskip(SKIP_2) | instid1(VALU_DEP_1)
	v_rcp_f32_e32 v9, v1
	s_waitcnt_depctr 0xfff
	v_fma_f32 v14, -v1, v9, 1.0
	v_fmac_f32_e32 v9, v14, v9
	s_delay_alu instid0(VALU_DEP_1) | instskip(NEXT) | instid1(VALU_DEP_1)
	v_mul_f32_e32 v14, v15, v9
	v_fma_f32 v16, -v1, v14, v15
	s_delay_alu instid0(VALU_DEP_1) | instskip(NEXT) | instid1(VALU_DEP_1)
	v_fmac_f32_e32 v14, v16, v9
	v_fma_f32 v1, -v1, v14, v15
	s_delay_alu instid0(VALU_DEP_1) | instskip(NEXT) | instid1(VALU_DEP_1)
	v_div_fmas_f32 v1, v1, v9, v14
	v_div_fixup_f32 v9, v1, v4, 1.0
	s_waitcnt lgkmcnt(1)
	v_sub_f32_e32 v1, v12, v5
	s_delay_alu instid0(VALU_DEP_1) | instskip(NEXT) | instid1(VALU_DEP_3)
	v_mul_f32_e32 v14, v1, v1
	v_mul_f32_e32 v7, v7, v9
	s_waitcnt lgkmcnt(0)
	v_dual_add_f32 v1, v8, v13 :: v_dual_mul_f32 v8, v9, v6
	s_delay_alu instid0(VALU_DEP_2) | instskip(NEXT) | instid1(VALU_DEP_1)
	v_dual_mul_f32 v6, v14, v6 :: v_dual_mul_f32 v9, v12, v7
	v_fmac_f32_e32 v1, v6, v7
	s_delay_alu instid0(VALU_DEP_2)
	v_fmac_f32_e32 v9, v8, v5
.LBB3_8:
	s_or_b32 exec_lo, exec_lo, s3
	v_cmp_gt_u32_e32 vcc_lo, 28, v0
	v_mov_b32_e32 v12, 0
	s_mov_b32 s3, exec_lo
	v_mov_b32_e32 v8, 0
	s_waitcnt lgkmcnt(1)
	v_cndmask_b32_e64 v5, 0, 1, vcc_lo
	s_delay_alu instid0(VALU_DEP_1) | instskip(NEXT) | instid1(VALU_DEP_1)
	v_lshlrev_b32_e32 v5, 2, v5
	v_add_lshl_u32 v5, v5, v0, 2
	s_waitcnt lgkmcnt(0)
	ds_bpermute_b32 v13, v5, v4
	ds_bpermute_b32 v7, v5, v9
	;; [unrolled: 1-line block ×3, first 2 shown]
	s_waitcnt lgkmcnt(2)
	v_dual_mov_b32 v5, 0 :: v_dual_add_f32 v6, v4, v13
	s_delay_alu instid0(VALU_DEP_1)
	v_cmpx_lt_f32_e32 0, v6
	s_cbranch_execz .LBB3_10
; %bb.9:
	v_div_scale_f32 v8, null, v6, v6, 1.0
	v_div_scale_f32 v16, vcc_lo, 1.0, v6, 1.0
	s_delay_alu instid0(VALU_DEP_2) | instskip(SKIP_2) | instid1(VALU_DEP_1)
	v_rcp_f32_e32 v12, v8
	s_waitcnt_depctr 0xfff
	v_fma_f32 v15, -v8, v12, 1.0
	v_fmac_f32_e32 v12, v15, v12
	s_delay_alu instid0(VALU_DEP_1) | instskip(NEXT) | instid1(VALU_DEP_1)
	v_mul_f32_e32 v15, v16, v12
	v_fma_f32 v17, -v8, v15, v16
	s_delay_alu instid0(VALU_DEP_1) | instskip(NEXT) | instid1(VALU_DEP_1)
	v_fmac_f32_e32 v15, v17, v12
	v_fma_f32 v8, -v8, v15, v16
	s_delay_alu instid0(VALU_DEP_1) | instskip(NEXT) | instid1(VALU_DEP_1)
	v_div_fmas_f32 v8, v8, v12, v15
	v_div_fixup_f32 v12, v8, v6, 1.0
	s_waitcnt lgkmcnt(1)
	v_sub_f32_e32 v8, v9, v7
	s_waitcnt lgkmcnt(0)
	s_delay_alu instid0(VALU_DEP_1) | instskip(SKIP_1) | instid1(VALU_DEP_1)
	v_dual_mul_f32 v15, v8, v8 :: v_dual_add_f32 v8, v1, v14
	v_mul_f32_e32 v4, v4, v12
	v_dual_mul_f32 v1, v12, v13 :: v_dual_mul_f32 v12, v9, v4
	s_delay_alu instid0(VALU_DEP_1) | instskip(NEXT) | instid1(VALU_DEP_1)
	v_dual_mul_f32 v9, v15, v13 :: v_dual_fmac_f32 v12, v1, v7
	v_fmac_f32_e32 v8, v9, v4
.LBB3_10:
	s_or_b32 exec_lo, exec_lo, s3
	v_cmp_gt_u32_e32 vcc_lo, 30, v0
	v_mov_b32_e32 v9, 0
	s_mov_b32 s3, exec_lo
	v_cndmask_b32_e64 v1, 0, 1, vcc_lo
	s_delay_alu instid0(VALU_DEP_1) | instskip(SKIP_1) | instid1(VALU_DEP_1)
	v_lshlrev_b32_e32 v1, 1, v1
	s_waitcnt lgkmcnt(1)
	v_add_lshl_u32 v7, v1, v0, 2
	ds_bpermute_b32 v4, v7, v6
	ds_bpermute_b32 v1, v7, v12
	;; [unrolled: 1-line block ×3, first 2 shown]
	s_waitcnt lgkmcnt(2)
	v_add_f32_e32 v7, v6, v4
	s_delay_alu instid0(VALU_DEP_1)
	v_cmpx_lt_f32_e32 0, v7
	s_cbranch_execz .LBB3_12
; %bb.11:
	v_div_scale_f32 v5, null, v7, v7, 1.0
	v_div_scale_f32 v15, vcc_lo, 1.0, v7, 1.0
	s_delay_alu instid0(VALU_DEP_2) | instskip(SKIP_2) | instid1(VALU_DEP_1)
	v_rcp_f32_e32 v9, v5
	s_waitcnt_depctr 0xfff
	v_fma_f32 v14, -v5, v9, 1.0
	v_fmac_f32_e32 v9, v14, v9
	s_delay_alu instid0(VALU_DEP_1) | instskip(NEXT) | instid1(VALU_DEP_1)
	v_mul_f32_e32 v14, v15, v9
	v_fma_f32 v16, -v5, v14, v15
	s_delay_alu instid0(VALU_DEP_1) | instskip(NEXT) | instid1(VALU_DEP_1)
	v_fmac_f32_e32 v14, v16, v9
	v_fma_f32 v5, -v5, v14, v15
	s_delay_alu instid0(VALU_DEP_1) | instskip(NEXT) | instid1(VALU_DEP_1)
	v_div_fmas_f32 v5, v5, v9, v14
	v_div_fixup_f32 v9, v5, v7, 1.0
	s_waitcnt lgkmcnt(1)
	v_sub_f32_e32 v5, v12, v1
	s_delay_alu instid0(VALU_DEP_2) | instskip(NEXT) | instid1(VALU_DEP_2)
	v_mul_f32_e32 v6, v6, v9
	v_mul_f32_e32 v14, v5, v5
	s_waitcnt lgkmcnt(0)
	v_dual_add_f32 v5, v8, v13 :: v_dual_mul_f32 v8, v9, v4
	s_delay_alu instid0(VALU_DEP_2) | instskip(NEXT) | instid1(VALU_DEP_1)
	v_dual_mul_f32 v9, v12, v6 :: v_dual_mul_f32 v4, v14, v4
	v_fmac_f32_e32 v9, v8, v1
	s_delay_alu instid0(VALU_DEP_2)
	v_fmac_f32_e32 v5, v4, v6
.LBB3_12:
	s_or_b32 exec_lo, exec_lo, s3
	v_cmp_ne_u32_e32 vcc_lo, 31, v0
	v_mov_b32_e32 v4, 0
	s_mov_b32 s3, exec_lo
	s_waitcnt lgkmcnt(1)
	v_mov_b32_e32 v1, 0
	v_add_co_ci_u32_e32 v0, vcc_lo, 0, v0, vcc_lo
	s_delay_alu instid0(VALU_DEP_1)
	v_lshlrev_b32_e32 v0, 2, v0
	ds_bpermute_b32 v8, v0, v7
	ds_bpermute_b32 v6, v0, v9
	ds_bpermute_b32 v12, v0, v5
	s_waitcnt lgkmcnt(2)
	v_add_f32_e32 v0, v7, v8
	s_delay_alu instid0(VALU_DEP_1)
	v_cmpx_lt_f32_e32 0, v0
	s_cbranch_execz .LBB3_14
; %bb.13:
	v_div_scale_f32 v1, null, v0, v0, 1.0
	v_div_scale_f32 v14, vcc_lo, 1.0, v0, 1.0
	s_delay_alu instid0(VALU_DEP_2) | instskip(SKIP_2) | instid1(VALU_DEP_1)
	v_rcp_f32_e32 v4, v1
	s_waitcnt_depctr 0xfff
	v_fma_f32 v13, -v1, v4, 1.0
	v_fmac_f32_e32 v4, v13, v4
	s_delay_alu instid0(VALU_DEP_1) | instskip(NEXT) | instid1(VALU_DEP_1)
	v_mul_f32_e32 v13, v14, v4
	v_fma_f32 v15, -v1, v13, v14
	s_delay_alu instid0(VALU_DEP_1) | instskip(NEXT) | instid1(VALU_DEP_1)
	v_fmac_f32_e32 v13, v15, v4
	v_fma_f32 v1, -v1, v13, v14
	s_delay_alu instid0(VALU_DEP_1) | instskip(SKIP_2) | instid1(VALU_DEP_2)
	v_div_fmas_f32 v1, v1, v4, v13
	s_waitcnt lgkmcnt(1)
	v_sub_f32_e32 v4, v9, v6
	v_div_fixup_f32 v1, v1, v0, 1.0
	s_delay_alu instid0(VALU_DEP_2) | instskip(SKIP_1) | instid1(VALU_DEP_2)
	v_mul_f32_e32 v13, v4, v4
	s_waitcnt lgkmcnt(0)
	v_dual_add_f32 v4, v5, v12 :: v_dual_mul_f32 v7, v7, v1
	v_mul_f32_e32 v5, v1, v8
	s_delay_alu instid0(VALU_DEP_3) | instskip(NEXT) | instid1(VALU_DEP_3)
	v_mul_f32_e32 v8, v13, v8
	v_mul_f32_e32 v1, v9, v7
	s_delay_alu instid0(VALU_DEP_1)
	v_dual_fmac_f32 v4, v8, v7 :: v_dual_fmac_f32 v1, v5, v6
.LBB3_14:
	s_or_b32 exec_lo, exec_lo, s3
	s_cmp_lt_u32 s8, 2
	s_cbranch_scc0 .LBB3_16
; %bb.15:
	v_mov_b32_e32 v5, 0
	v_cvt_f32_i32_e32 v7, s12
	s_waitcnt lgkmcnt(1)
	ds_bpermute_b32 v6, v5, v4
	s_waitcnt lgkmcnt(0)
	v_div_scale_f32 v9, null, v7, v7, v6
	v_div_scale_f32 v13, vcc_lo, v6, v7, v6
	s_delay_alu instid0(VALU_DEP_2) | instskip(SKIP_2) | instid1(VALU_DEP_1)
	v_rcp_f32_e32 v12, v9
	s_waitcnt_depctr 0xfff
	v_fma_f32 v8, -v9, v12, 1.0
	v_fmac_f32_e32 v12, v8, v12
	ds_bpermute_b32 v8, v5, v1
	v_mul_f32_e32 v14, v13, v12
	s_delay_alu instid0(VALU_DEP_1) | instskip(NEXT) | instid1(VALU_DEP_1)
	v_fma_f32 v15, -v9, v14, v13
	v_fmac_f32_e32 v14, v15, v12
	s_delay_alu instid0(VALU_DEP_1) | instskip(NEXT) | instid1(VALU_DEP_1)
	v_fma_f32 v5, -v9, v14, v13
	v_div_fmas_f32 v5, v5, v12, v14
	s_delay_alu instid0(VALU_DEP_1)
	v_div_fixup_f32 v9, v5, v7, v6
	s_cbranch_execz .LBB3_17
	s_branch .LBB3_29
.LBB3_16:
                                        ; implicit-def: $vgpr9
.LBB3_17:
	s_lshl_b32 s3, s8, 2
	s_waitcnt lgkmcnt(1)
	v_lshl_add_u32 v6, v3, 3, 0
	s_add_i32 s5, s3, 0
	v_cmp_eq_u32_e64 s3, 0, v2
	v_lshl_add_u32 v5, v3, 2, s5
.LBB3_18:                               ; =>This Inner Loop Header: Depth=1
	s_lshr_b32 s6, s8, 1
	s_and_b32 s4, s8, 0xfffe
	v_cmp_le_u32_e32 vcc_lo, s6, v3
	v_cmp_gt_u32_e64 s4, s4, v3
	s_delay_alu instid0(VALU_DEP_1) | instskip(NEXT) | instid1(SALU_CYCLE_1)
	s_and_b32 s4, vcc_lo, s4
	s_and_b32 s7, s3, s4
	s_delay_alu instid0(SALU_CYCLE_1)
	s_and_saveexec_b32 s4, s7
	s_cbranch_execz .LBB3_20
; %bb.19:                               ;   in Loop: Header=BB3_18 Depth=1
	v_subrev_nc_u32_e32 v7, s6, v3
	s_waitcnt lgkmcnt(0)
	s_delay_alu instid0(VALU_DEP_1)
	v_lshl_add_u32 v8, v7, 3, 0
	v_lshl_add_u32 v7, v7, 2, s5
	ds_store_2addr_b32 v8, v1, v4 offset1:1
	ds_store_b32 v7, v0
.LBB3_20:                               ;   in Loop: Header=BB3_18 Depth=1
	s_or_b32 exec_lo, exec_lo, s4
	v_cmp_gt_u32_e32 vcc_lo, s6, v3
	s_waitcnt lgkmcnt(0)
	s_barrier
	buffer_gl0_inv
	s_and_b32 s7, s3, vcc_lo
	s_delay_alu instid0(SALU_CYCLE_1)
	s_and_saveexec_b32 s4, s7
	s_cbranch_execz .LBB3_24
; %bb.21:                               ;   in Loop: Header=BB3_18 Depth=1
	ds_load_b32 v8, v5
	v_mov_b32_e32 v9, 0
	s_mov_b32 s7, exec_lo
	s_waitcnt lgkmcnt(0)
	v_dual_mov_b32 v12, 0 :: v_dual_add_f32 v7, v0, v8
	s_delay_alu instid0(VALU_DEP_1)
	v_cmpx_lt_f32_e32 0, v7
	s_cbranch_execz .LBB3_23
; %bb.22:                               ;   in Loop: Header=BB3_18 Depth=1
	v_div_scale_f32 v9, null, v7, v7, 1.0
	v_div_scale_f32 v15, vcc_lo, 1.0, v7, 1.0
	s_delay_alu instid0(VALU_DEP_2) | instskip(SKIP_2) | instid1(VALU_DEP_1)
	v_rcp_f32_e32 v14, v9
	s_waitcnt_depctr 0xfff
	v_fma_f32 v12, -v9, v14, 1.0
	v_fmac_f32_e32 v14, v12, v14
	ds_load_2addr_b32 v[12:13], v6 offset1:1
	v_mul_f32_e32 v16, v15, v14
	s_delay_alu instid0(VALU_DEP_1) | instskip(NEXT) | instid1(VALU_DEP_1)
	v_fma_f32 v17, -v9, v16, v15
	v_fmac_f32_e32 v16, v17, v14
	s_delay_alu instid0(VALU_DEP_1) | instskip(NEXT) | instid1(VALU_DEP_1)
	v_fma_f32 v9, -v9, v16, v15
	v_div_fmas_f32 v9, v9, v14, v16
	s_delay_alu instid0(VALU_DEP_1) | instskip(SKIP_2) | instid1(VALU_DEP_1)
	v_div_fixup_f32 v14, v9, v7, 1.0
	s_waitcnt lgkmcnt(0)
	v_sub_f32_e32 v9, v1, v12
	v_dual_mul_f32 v15, v8, v14 :: v_dual_mul_f32 v16, v9, v9
	v_add_f32_e32 v9, v4, v13
	v_mul_f32_e32 v0, v0, v14
	s_delay_alu instid0(VALU_DEP_3) | instskip(NEXT) | instid1(VALU_DEP_4)
	v_mul_f32_e32 v12, v15, v12
	v_mul_f32_e32 v4, v8, v16
	s_delay_alu instid0(VALU_DEP_2) | instskip(NEXT) | instid1(VALU_DEP_2)
	v_fmac_f32_e32 v12, v1, v0
	v_fmac_f32_e32 v9, v0, v4
.LBB3_23:                               ;   in Loop: Header=BB3_18 Depth=1
	s_or_b32 exec_lo, exec_lo, s7
	s_delay_alu instid0(VALU_DEP_1)
	v_dual_mov_b32 v1, v12 :: v_dual_mov_b32 v4, v9
	v_mov_b32_e32 v0, v7
.LBB3_24:                               ;   in Loop: Header=BB3_18 Depth=1
	s_or_b32 exec_lo, exec_lo, s4
	s_cmp_lt_u32 s8, 4
	s_barrier
	buffer_gl0_inv
	s_cbranch_scc1 .LBB3_26
; %bb.25:                               ;   in Loop: Header=BB3_18 Depth=1
	s_mov_b32 s8, s6
	s_branch .LBB3_18
.LBB3_26:
	v_or_b32_e32 v0, v2, v3
	s_mov_b32 s3, exec_lo
	s_delay_alu instid0(VALU_DEP_1)
	v_cmpx_eq_u32_e32 0, v0
	s_cbranch_execz .LBB3_28
; %bb.27:
	v_cvt_f32_i32_e32 v0, s12
	s_delay_alu instid0(VALU_DEP_1) | instskip(SKIP_1) | instid1(VALU_DEP_2)
	v_div_scale_f32 v2, null, v0, v0, v4
	v_div_scale_f32 v6, vcc_lo, v4, v0, v4
	v_rcp_f32_e32 v3, v2
	s_waitcnt_depctr 0xfff
	v_fma_f32 v5, -v2, v3, 1.0
	s_delay_alu instid0(VALU_DEP_1) | instskip(NEXT) | instid1(VALU_DEP_1)
	v_fmac_f32_e32 v3, v5, v3
	v_mul_f32_e32 v5, v6, v3
	s_delay_alu instid0(VALU_DEP_1) | instskip(NEXT) | instid1(VALU_DEP_1)
	v_fma_f32 v7, -v2, v5, v6
	v_fmac_f32_e32 v5, v7, v3
	s_delay_alu instid0(VALU_DEP_1) | instskip(NEXT) | instid1(VALU_DEP_1)
	v_fma_f32 v2, -v2, v5, v6
	v_div_fmas_f32 v2, v2, v3, v5
	s_delay_alu instid0(VALU_DEP_1)
	v_div_fixup_f32 v0, v2, v0, v4
	v_mov_b32_e32 v2, 0
	ds_store_2addr_b32 v2, v1, v0 offset1:1
.LBB3_28:
	s_or_b32 exec_lo, exec_lo, s3
	v_mov_b32_e32 v0, 0
	s_waitcnt lgkmcnt(0)
	s_barrier
	buffer_gl0_inv
	ds_load_2addr_b32 v[8:9], v0 offset1:1
.LBB3_29:
	s_waitcnt lgkmcnt(0)
	s_delay_alu instid0(VALU_DEP_1) | instskip(SKIP_3) | instid1(VALU_DEP_1)
	v_add_f32_e32 v0, s13, v9
	s_clause 0x1
	s_load_b256 s[4:11], s[0:1], 0x10
	s_load_b64 s[0:1], s[0:1], 0x30
	v_mul_f32_e32 v1, 0x4b800000, v0
	v_cmp_gt_f32_e32 vcc_lo, 0x800000, v0
	s_delay_alu instid0(VALU_DEP_2) | instskip(NEXT) | instid1(VALU_DEP_1)
	v_cndmask_b32_e32 v0, v0, v1, vcc_lo
	v_rsq_f32_e32 v0, v0
	s_waitcnt_depctr 0xfff
	v_mul_f32_e32 v1, 0x45800000, v0
	s_delay_alu instid0(VALU_DEP_1)
	v_cndmask_b32_e32 v9, v0, v1, vcc_lo
	s_and_saveexec_b32 s3, s2
	s_cbranch_execz .LBB3_44
; %bb.30:
	s_waitcnt lgkmcnt(0)
	s_cmp_eq_u64 s[4:5], 0
	v_mov_b32_e32 v13, v10
	s_cselect_b32 s2, -1, 0
	s_cmp_eq_u64 s[6:7], 0
	s_cselect_b32 s23, -1, 0
	s_lshl_b64 s[20:21], s[20:21], 2
	v_cndmask_b32_e64 v12, 0, 1, s23
	s_add_u32 s12, s0, s20
	s_addc_u32 s13, s1, s21
	s_add_u32 s14, s14, s20
	s_addc_u32 s15, s15, s21
	s_ashr_i32 s19, s18, 31
	s_or_b32 s20, s2, s23
	s_lshl_b64 s[0:1], s[18:19], 4
	s_mov_b32 s19, 0
	s_branch .LBB3_32
.LBB3_31:                               ;   in Loop: Header=BB3_32 Depth=1
	v_add_nc_u32_e32 v13, s18, v13
	s_waitcnt vmcnt(0)
	v_add_co_u32 v0, s21, s12, v11
	s_add_u32 s12, s12, s0
	v_add_co_ci_u32_e64 v1, null, s13, 0, s21
	s_addc_u32 s13, s13, s1
	s_add_u32 s14, s14, s0
	s_addc_u32 s15, s15, s1
	v_cmp_le_i32_e32 vcc_lo, s22, v13
	s_add_u32 s6, s6, s0
	s_addc_u32 s7, s7, s1
	s_add_u32 s4, s4, s0
	s_addc_u32 s5, s5, s1
	s_or_b32 s19, vcc_lo, s19
	global_store_b128 v[0:1], v[4:7], off
	s_and_not1_b32 exec_lo, exec_lo, s19
	s_cbranch_execz .LBB3_44
.LBB3_32:                               ; =>This Inner Loop Header: Depth=1
	v_add_co_u32 v0, s21, s14, v11
	s_delay_alu instid0(VALU_DEP_1)
	v_add_co_ci_u32_e64 v1, null, s15, 0, s21
	s_and_b32 vcc_lo, exec_lo, s20
	global_load_b128 v[0:3], v[0:1], off
	s_cbranch_vccz .LBB3_36
; %bb.33:                               ;   in Loop: Header=BB3_32 Depth=1
	s_and_b32 vcc_lo, exec_lo, s2
	s_cbranch_vccz .LBB3_37
; %bb.34:                               ;   in Loop: Header=BB3_32 Depth=1
	v_cmp_ne_u32_e32 vcc_lo, 1, v12
	s_cbranch_vccnz .LBB3_38
; %bb.35:                               ;   in Loop: Header=BB3_32 Depth=1
	s_waitcnt vmcnt(0)
	v_sub_f32_e32 v5, v1, v8
	v_sub_f32_e32 v4, v0, v8
	;; [unrolled: 1-line block ×4, first 2 shown]
	s_delay_alu instid0(VALU_DEP_4) | instskip(NEXT) | instid1(VALU_DEP_4)
	v_mul_f32_e32 v5, v9, v5
	v_mul_f32_e32 v4, v9, v4
	s_delay_alu instid0(VALU_DEP_4) | instskip(NEXT) | instid1(VALU_DEP_4)
	v_mul_f32_e32 v7, v9, v7
	v_mul_f32_e32 v6, v9, v6
	s_cbranch_execz .LBB3_39
	s_branch .LBB3_40
.LBB3_36:                               ;   in Loop: Header=BB3_32 Depth=1
                                        ; implicit-def: $vgpr4
	s_branch .LBB3_43
.LBB3_37:                               ;   in Loop: Header=BB3_32 Depth=1
                                        ; implicit-def: $vgpr4
	s_branch .LBB3_41
.LBB3_38:                               ;   in Loop: Header=BB3_32 Depth=1
                                        ; implicit-def: $vgpr4
.LBB3_39:                               ;   in Loop: Header=BB3_32 Depth=1
	v_add_co_u32 v4, s21, s6, v11
	s_delay_alu instid0(VALU_DEP_1)
	v_add_co_ci_u32_e64 v5, null, s7, 0, s21
	s_waitcnt vmcnt(0)
	v_sub_f32_e32 v15, v1, v8
	v_sub_f32_e32 v16, v2, v8
	;; [unrolled: 1-line block ×3, first 2 shown]
	global_load_b128 v[4:7], v[4:5], off
	s_waitcnt vmcnt(0)
	v_dual_sub_f32 v14, v0, v8 :: v_dual_fmac_f32 v7, v9, v17
	s_delay_alu instid0(VALU_DEP_1)
	v_fma_f32 v4, v9, v14, v4
	v_fma_f32 v5, v9, v15, v5
	;; [unrolled: 1-line block ×3, first 2 shown]
.LBB3_40:                               ;   in Loop: Header=BB3_32 Depth=1
	s_cbranch_execnz .LBB3_42
.LBB3_41:                               ;   in Loop: Header=BB3_32 Depth=1
	v_add_co_u32 v4, s21, s4, v11
	s_delay_alu instid0(VALU_DEP_1)
	v_add_co_ci_u32_e64 v5, null, s5, 0, s21
	s_waitcnt vmcnt(0)
	v_sub_f32_e32 v17, v3, v8
	v_sub_f32_e32 v16, v2, v8
	global_load_b128 v[4:7], v[4:5], off
	v_mul_f32_e32 v17, v9, v17
	v_mul_f32_e32 v16, v9, v16
	s_waitcnt vmcnt(0)
	s_delay_alu instid0(VALU_DEP_1) | instskip(NEXT) | instid1(VALU_DEP_1)
	v_dual_sub_f32 v15, v1, v8 :: v_dual_mul_f32 v6, v16, v6
	v_dual_sub_f32 v14, v0, v8 :: v_dual_mul_f32 v15, v9, v15
	v_mul_f32_e32 v7, v17, v7
	s_delay_alu instid0(VALU_DEP_2) | instskip(NEXT) | instid1(VALU_DEP_1)
	v_dual_mul_f32 v14, v9, v14 :: v_dual_mul_f32 v5, v15, v5
	v_mul_f32_e32 v4, v14, v4
.LBB3_42:                               ;   in Loop: Header=BB3_32 Depth=1
	s_cbranch_execnz .LBB3_31
.LBB3_43:                               ;   in Loop: Header=BB3_32 Depth=1
	v_add_co_u32 v4, s21, s4, v11
	s_delay_alu instid0(VALU_DEP_1) | instskip(SKIP_1) | instid1(VALU_DEP_1)
	v_add_co_ci_u32_e64 v5, null, s5, 0, s21
	v_add_co_u32 v6, s21, s6, v11
	v_add_co_ci_u32_e64 v7, null, s7, 0, s21
	global_load_b128 v[14:17], v[4:5], off
	global_load_b128 v[4:7], v[6:7], off
	s_waitcnt vmcnt(2)
	v_sub_f32_e32 v1, v1, v8
	v_sub_f32_e32 v0, v0, v8
	;; [unrolled: 1-line block ×3, first 2 shown]
	s_delay_alu instid0(VALU_DEP_3) | instskip(NEXT) | instid1(VALU_DEP_2)
	v_dual_sub_f32 v2, v2, v8 :: v_dual_mul_f32 v1, v9, v1
	v_mul_f32_e32 v3, v9, v3
	s_delay_alu instid0(VALU_DEP_4) | instskip(SKIP_1) | instid1(VALU_DEP_2)
	v_mul_f32_e32 v0, v9, v0
	s_waitcnt vmcnt(0)
	v_dual_mul_f32 v2, v9, v2 :: v_dual_fmac_f32 v7, v3, v17
	s_delay_alu instid0(VALU_DEP_2) | instskip(SKIP_1) | instid1(VALU_DEP_3)
	v_fma_f32 v4, v0, v14, v4
	v_fma_f32 v5, v1, v15, v5
	;; [unrolled: 1-line block ×3, first 2 shown]
	s_branch .LBB3_31
.LBB3_44:
	s_or_b32 exec_lo, exec_lo, s3
	s_waitcnt lgkmcnt(0)
	s_mov_b32 s0, exec_lo
	v_cmpx_eq_u32_e32 0, v10
; %bb.45:
	s_lshl_b64 s[0:1], s[16:17], 2
	v_mov_b32_e32 v0, 0
	s_add_u32 s2, s8, s0
	s_addc_u32 s3, s9, s1
	s_add_u32 s0, s10, s0
	s_addc_u32 s1, s11, s1
	s_clause 0x1
	global_store_b32 v0, v8, s[2:3]
	global_store_b32 v0, v9, s[0:1]
; %bb.46:
	s_nop 0
	s_sendmsg sendmsg(MSG_DEALLOC_VGPRS)
	s_endpgm
	.section	.rodata,"a",@progbits
	.p2align	6, 0x0
	.amdhsa_kernel _ZN2at6native12_GLOBAL__N_128vectorized_layer_norm_kernelIffLb0EEEviT0_PKT_S6_S6_PS3_S7_PS4_
		.amdhsa_group_segment_fixed_size 0
		.amdhsa_private_segment_fixed_size 0
		.amdhsa_kernarg_size 312
		.amdhsa_user_sgpr_count 15
		.amdhsa_user_sgpr_dispatch_ptr 0
		.amdhsa_user_sgpr_queue_ptr 0
		.amdhsa_user_sgpr_kernarg_segment_ptr 1
		.amdhsa_user_sgpr_dispatch_id 0
		.amdhsa_user_sgpr_private_segment_size 0
		.amdhsa_wavefront_size32 1
		.amdhsa_uses_dynamic_stack 0
		.amdhsa_enable_private_segment 0
		.amdhsa_system_sgpr_workgroup_id_x 1
		.amdhsa_system_sgpr_workgroup_id_y 0
		.amdhsa_system_sgpr_workgroup_id_z 0
		.amdhsa_system_sgpr_workgroup_info 0
		.amdhsa_system_vgpr_workitem_id 1
		.amdhsa_next_free_vgpr 34
		.amdhsa_next_free_sgpr 24
		.amdhsa_reserve_vcc 1
		.amdhsa_float_round_mode_32 0
		.amdhsa_float_round_mode_16_64 0
		.amdhsa_float_denorm_mode_32 3
		.amdhsa_float_denorm_mode_16_64 3
		.amdhsa_dx10_clamp 1
		.amdhsa_ieee_mode 1
		.amdhsa_fp16_overflow 0
		.amdhsa_workgroup_processor_mode 1
		.amdhsa_memory_ordered 1
		.amdhsa_forward_progress 0
		.amdhsa_shared_vgpr_count 0
		.amdhsa_exception_fp_ieee_invalid_op 0
		.amdhsa_exception_fp_denorm_src 0
		.amdhsa_exception_fp_ieee_div_zero 0
		.amdhsa_exception_fp_ieee_overflow 0
		.amdhsa_exception_fp_ieee_underflow 0
		.amdhsa_exception_fp_ieee_inexact 0
		.amdhsa_exception_int_div_zero 0
	.end_amdhsa_kernel
	.section	.text._ZN2at6native12_GLOBAL__N_128vectorized_layer_norm_kernelIffLb0EEEviT0_PKT_S6_S6_PS3_S7_PS4_,"axG",@progbits,_ZN2at6native12_GLOBAL__N_128vectorized_layer_norm_kernelIffLb0EEEviT0_PKT_S6_S6_PS3_S7_PS4_,comdat
.Lfunc_end3:
	.size	_ZN2at6native12_GLOBAL__N_128vectorized_layer_norm_kernelIffLb0EEEviT0_PKT_S6_S6_PS3_S7_PS4_, .Lfunc_end3-_ZN2at6native12_GLOBAL__N_128vectorized_layer_norm_kernelIffLb0EEEviT0_PKT_S6_S6_PS3_S7_PS4_
                                        ; -- End function
	.section	.AMDGPU.csdata,"",@progbits
; Kernel info:
; codeLenInByte = 3408
; NumSgprs: 26
; NumVgprs: 34
; ScratchSize: 0
; MemoryBound: 0
; FloatMode: 240
; IeeeMode: 1
; LDSByteSize: 0 bytes/workgroup (compile time only)
; SGPRBlocks: 3
; VGPRBlocks: 4
; NumSGPRsForWavesPerEU: 26
; NumVGPRsForWavesPerEU: 34
; Occupancy: 16
; WaveLimiterHint : 0
; COMPUTE_PGM_RSRC2:SCRATCH_EN: 0
; COMPUTE_PGM_RSRC2:USER_SGPR: 15
; COMPUTE_PGM_RSRC2:TRAP_HANDLER: 0
; COMPUTE_PGM_RSRC2:TGID_X_EN: 1
; COMPUTE_PGM_RSRC2:TGID_Y_EN: 0
; COMPUTE_PGM_RSRC2:TGID_Z_EN: 0
; COMPUTE_PGM_RSRC2:TIDIG_COMP_CNT: 1
	.section	.text._ZN2at6native12_GLOBAL__N_124RowwiseMomentsCUDAKernelIffLb0EEEvlT0_PKT_PS3_S7_,"axG",@progbits,_ZN2at6native12_GLOBAL__N_124RowwiseMomentsCUDAKernelIffLb0EEEvlT0_PKT_PS3_S7_,comdat
	.globl	_ZN2at6native12_GLOBAL__N_124RowwiseMomentsCUDAKernelIffLb0EEEvlT0_PKT_PS3_S7_ ; -- Begin function _ZN2at6native12_GLOBAL__N_124RowwiseMomentsCUDAKernelIffLb0EEEvlT0_PKT_PS3_S7_
	.p2align	8
	.type	_ZN2at6native12_GLOBAL__N_124RowwiseMomentsCUDAKernelIffLb0EEEvlT0_PKT_PS3_S7_,@function
_ZN2at6native12_GLOBAL__N_124RowwiseMomentsCUDAKernelIffLb0EEEvlT0_PKT_PS3_S7_: ; @_ZN2at6native12_GLOBAL__N_124RowwiseMomentsCUDAKernelIffLb0EEEvlT0_PKT_PS3_S7_
; %bb.0:
	s_clause 0x2
	s_load_b64 s[12:13], s[0:1], 0x0
	s_load_b128 s[4:7], s[0:1], 0x10
	s_load_b64 s[8:9], s[0:1], 0x20
	v_dual_mov_b32 v1, 0 :: v_dual_mov_b32 v4, 0
	v_mov_b32_e32 v5, 0
	s_mov_b32 s10, s15
	s_mov_b32 s11, 0
	s_delay_alu instid0(VALU_DEP_2)
	v_mov_b32_e32 v2, v1
	v_mov_b32_e32 v3, v1
	s_mov_b32 s3, exec_lo
	s_waitcnt lgkmcnt(0)
	v_cmpx_gt_i64_e64 s[12:13], v[0:1]
	s_cbranch_execz .LBB4_4
; %bb.1:
	s_load_b32 s2, s[0:1], 0x34
	s_mul_i32 s15, s13, s10
	s_mul_hi_u32 s16, s12, s10
	s_mul_i32 s14, s12, s10
	s_add_i32 s15, s16, s15
	v_dual_mov_b32 v3, 0 :: v_dual_lshlrev_b32 v2, 2, v0
	s_lshl_b64 s[16:17], s[14:15], 2
	v_dual_mov_b32 v7, v1 :: v_dual_mov_b32 v6, v0
	s_waitcnt lgkmcnt(0)
	s_and_b32 s14, s2, 0xffff
	s_add_u32 s2, s4, s16
	s_addc_u32 s4, s5, s17
	v_add_co_u32 v8, s2, s2, v2
	s_delay_alu instid0(VALU_DEP_1)
	v_add_co_ci_u32_e64 v9, null, s4, 0, s2
	v_mov_b32_e32 v2, 0
	s_lshl_b32 s15, s14, 2
	s_mov_b64 s[4:5], 0
	s_mov_b32 s16, s11
	s_set_inst_prefetch_distance 0x1
	.p2align	6
.LBB4_2:                                ; =>This Inner Loop Header: Depth=1
	global_load_b32 v4, v[8:9], off
	s_add_u32 s4, s4, 1
	s_addc_u32 s5, s5, 0
	s_delay_alu instid0(SALU_CYCLE_1) | instskip(NEXT) | instid1(SALU_CYCLE_1)
	s_clz_i32_u32 s2, s5
	s_min_u32 s2, s2, 32
	s_delay_alu instid0(SALU_CYCLE_1) | instskip(SKIP_2) | instid1(SALU_CYCLE_1)
	s_lshl_b64 s[18:19], s[4:5], s2
	s_sub_i32 s2, 32, s2
	s_min_u32 s17, s18, 1
	s_or_b32 s17, s19, s17
	s_delay_alu instid0(SALU_CYCLE_1) | instskip(NEXT) | instid1(VALU_DEP_1)
	v_cvt_f32_u32_e32 v1, s17
	v_ldexp_f32 v1, v1, s2
	s_waitcnt vmcnt(0)
	v_sub_f32_e32 v10, v4, v2
	s_delay_alu instid0(VALU_DEP_1) | instskip(SKIP_1) | instid1(VALU_DEP_2)
	v_div_scale_f32 v5, null, v1, v1, v10
	v_div_scale_f32 v13, vcc_lo, v10, v1, v10
	v_rcp_f32_e32 v11, v5
	s_waitcnt_depctr 0xfff
	v_fma_f32 v12, -v5, v11, 1.0
	s_delay_alu instid0(VALU_DEP_1) | instskip(NEXT) | instid1(VALU_DEP_1)
	v_fmac_f32_e32 v11, v12, v11
	v_mul_f32_e32 v12, v13, v11
	s_delay_alu instid0(VALU_DEP_1) | instskip(NEXT) | instid1(VALU_DEP_1)
	v_fma_f32 v14, -v5, v12, v13
	v_fmac_f32_e32 v12, v14, v11
	s_delay_alu instid0(VALU_DEP_1) | instskip(NEXT) | instid1(VALU_DEP_1)
	v_fma_f32 v5, -v5, v12, v13
	v_div_fmas_f32 v5, v5, v11, v12
	v_add_co_u32 v6, vcc_lo, v6, s14
	v_add_co_ci_u32_e32 v7, vcc_lo, 0, v7, vcc_lo
	s_delay_alu instid0(VALU_DEP_3) | instskip(SKIP_1) | instid1(VALU_DEP_3)
	v_div_fixup_f32 v5, v5, v1, v10
	v_add_co_u32 v8, vcc_lo, v8, s15
	v_cmp_le_i64_e64 s2, s[12:13], v[6:7]
	v_add_co_ci_u32_e32 v9, vcc_lo, 0, v9, vcc_lo
	s_delay_alu instid0(VALU_DEP_4) | instskip(NEXT) | instid1(VALU_DEP_3)
	v_add_f32_e32 v2, v2, v5
	s_or_b32 s16, s2, s16
	s_delay_alu instid0(VALU_DEP_1) | instskip(SKIP_1) | instid1(VALU_DEP_2)
	v_dual_sub_f32 v11, v4, v2 :: v_dual_mov_b32 v4, s4
	v_mov_b32_e32 v5, s5
	v_fmac_f32_e32 v3, v10, v11
	s_and_not1_b32 exec_lo, exec_lo, s16
	s_cbranch_execnz .LBB4_2
; %bb.3:
	s_set_inst_prefetch_distance 0x2
	s_or_b32 exec_lo, exec_lo, s16
.LBB4_4:
	s_delay_alu instid0(SALU_CYCLE_1) | instskip(SKIP_2) | instid1(VALU_DEP_1)
	s_or_b32 exec_lo, exec_lo, s3
	v_mbcnt_lo_u32_b32 v12, -1, 0
	s_mov_b32 s2, exec_lo
	v_cmp_gt_u32_e32 vcc_lo, 16, v12
	v_cndmask_b32_e64 v6, 0, 1, vcc_lo
	s_delay_alu instid0(VALU_DEP_1) | instskip(NEXT) | instid1(VALU_DEP_1)
	v_lshlrev_b32_e32 v6, 4, v6
	v_add_lshl_u32 v8, v6, v12, 2
	ds_bpermute_b32 v11, v8, v2
	ds_bpermute_b32 v9, v8, v3
	;; [unrolled: 1-line block ×5, first 2 shown]
	v_cmpx_neq_f32_e32 0, v1
	s_xor_b32 s2, exec_lo, s2
	s_cbranch_execz .LBB4_8
; %bb.5:
	s_mov_b32 s3, exec_lo
	s_waitcnt lgkmcnt(0)
	v_cmpx_neq_f32_e32 0, v10
	s_cbranch_execz .LBB4_7
; %bb.6:
	v_add_f32_e32 v6, v1, v10
	v_sub_f32_e32 v11, v11, v2
	v_add_f32_e32 v3, v3, v9
	s_delay_alu instid0(VALU_DEP_3) | instskip(NEXT) | instid1(VALU_DEP_1)
	v_div_scale_f32 v4, null, v6, v6, v10
	v_rcp_f32_e32 v5, v4
	s_waitcnt_depctr 0xfff
	v_fma_f32 v7, -v4, v5, 1.0
	s_delay_alu instid0(VALU_DEP_1) | instskip(SKIP_1) | instid1(VALU_DEP_1)
	v_fmac_f32_e32 v5, v7, v5
	v_div_scale_f32 v13, vcc_lo, v10, v6, v10
	v_mul_f32_e32 v7, v13, v5
	s_delay_alu instid0(VALU_DEP_1) | instskip(NEXT) | instid1(VALU_DEP_1)
	v_fma_f32 v14, -v4, v7, v13
	v_fmac_f32_e32 v7, v14, v5
	s_delay_alu instid0(VALU_DEP_1) | instskip(NEXT) | instid1(VALU_DEP_1)
	v_fma_f32 v4, -v4, v7, v13
	v_div_fmas_f32 v4, v4, v5, v7
	v_mul_f32_e32 v5, v11, v11
	s_delay_alu instid0(VALU_DEP_2) | instskip(NEXT) | instid1(VALU_DEP_2)
	v_div_fixup_f32 v7, v4, v6, v10
	v_dual_mul_f32 v1, v1, v5 :: v_dual_mov_b32 v4, -1
	s_delay_alu instid0(VALU_DEP_2) | instskip(NEXT) | instid1(VALU_DEP_2)
	v_dual_mov_b32 v5, -1 :: v_dual_fmac_f32 v2, v11, v7
	v_fmac_f32_e32 v3, v1, v7
	v_mov_b32_e32 v1, v6
.LBB4_7:
	s_or_b32 exec_lo, exec_lo, s3
                                        ; implicit-def: $vgpr6
                                        ; implicit-def: $vgpr10
                                        ; implicit-def: $vgpr9
                                        ; implicit-def: $vgpr11
.LBB4_8:
	s_and_not1_saveexec_b32 s2, s2
	s_cbranch_execz .LBB4_10
; %bb.9:
	s_waitcnt lgkmcnt(0)
	v_dual_mov_b32 v1, v10 :: v_dual_mov_b32 v2, v11
	v_dual_mov_b32 v4, v6 :: v_dual_mov_b32 v5, v7
	v_mov_b32_e32 v3, v9
.LBB4_10:
	s_or_b32 exec_lo, exec_lo, s2
	v_cmp_gt_u32_e32 vcc_lo, 24, v12
	s_mov_b32 s2, exec_lo
	s_waitcnt lgkmcnt(2)
	v_cndmask_b32_e64 v6, 0, 1, vcc_lo
	s_delay_alu instid0(VALU_DEP_1) | instskip(NEXT) | instid1(VALU_DEP_1)
	v_lshlrev_b32_e32 v6, 3, v6
	v_add_lshl_u32 v9, v6, v12, 2
	ds_bpermute_b32 v13, v9, v2
	s_waitcnt lgkmcnt(1)
	ds_bpermute_b32 v10, v9, v3
	ds_bpermute_b32 v6, v9, v4
	;; [unrolled: 1-line block ×4, first 2 shown]
	v_cmpx_neq_f32_e32 0, v1
	s_xor_b32 s2, exec_lo, s2
	s_cbranch_execz .LBB4_14
; %bb.11:
	s_mov_b32 s3, exec_lo
	s_waitcnt lgkmcnt(0)
	v_cmpx_neq_f32_e32 0, v11
	s_cbranch_execz .LBB4_13
; %bb.12:
	v_add_f32_e32 v6, v1, v11
	v_sub_f32_e32 v13, v13, v2
	s_delay_alu instid0(VALU_DEP_2) | instskip(NEXT) | instid1(VALU_DEP_1)
	v_div_scale_f32 v4, null, v6, v6, v11
	v_rcp_f32_e32 v5, v4
	s_waitcnt_depctr 0xfff
	v_fma_f32 v7, -v4, v5, 1.0
	s_delay_alu instid0(VALU_DEP_1) | instskip(SKIP_1) | instid1(VALU_DEP_1)
	v_fmac_f32_e32 v5, v7, v5
	v_div_scale_f32 v14, vcc_lo, v11, v6, v11
	v_mul_f32_e32 v7, v14, v5
	s_delay_alu instid0(VALU_DEP_1) | instskip(NEXT) | instid1(VALU_DEP_1)
	v_fma_f32 v15, -v4, v7, v14
	v_fmac_f32_e32 v7, v15, v5
	s_delay_alu instid0(VALU_DEP_1) | instskip(NEXT) | instid1(VALU_DEP_1)
	v_fma_f32 v4, -v4, v7, v14
	v_div_fmas_f32 v4, v4, v5, v7
	v_mul_f32_e32 v5, v13, v13
	s_delay_alu instid0(VALU_DEP_2) | instskip(SKIP_1) | instid1(VALU_DEP_3)
	v_div_fixup_f32 v7, v4, v6, v11
	v_add_f32_e32 v3, v3, v10
	v_dual_mul_f32 v1, v1, v5 :: v_dual_mov_b32 v4, -1
	s_delay_alu instid0(VALU_DEP_3) | instskip(NEXT) | instid1(VALU_DEP_2)
	v_dual_mov_b32 v5, -1 :: v_dual_fmac_f32 v2, v13, v7
	v_fmac_f32_e32 v3, v1, v7
	v_mov_b32_e32 v1, v6
.LBB4_13:
	s_or_b32 exec_lo, exec_lo, s3
                                        ; implicit-def: $vgpr6
                                        ; implicit-def: $vgpr11
                                        ; implicit-def: $vgpr10
                                        ; implicit-def: $vgpr13
.LBB4_14:
	s_and_not1_saveexec_b32 s2, s2
	s_cbranch_execz .LBB4_16
; %bb.15:
	s_waitcnt lgkmcnt(0)
	v_dual_mov_b32 v1, v11 :: v_dual_mov_b32 v4, v6
	v_dual_mov_b32 v5, v7 :: v_dual_mov_b32 v2, v13
	v_mov_b32_e32 v3, v10
.LBB4_16:
	s_or_b32 exec_lo, exec_lo, s2
	v_cmp_gt_u32_e32 vcc_lo, 28, v12
	s_mov_b32 s2, exec_lo
	s_waitcnt lgkmcnt(2)
	v_cndmask_b32_e64 v6, 0, 1, vcc_lo
	s_delay_alu instid0(VALU_DEP_1) | instskip(NEXT) | instid1(VALU_DEP_1)
	v_lshlrev_b32_e32 v6, 2, v6
	v_add_lshl_u32 v10, v6, v12, 2
	ds_bpermute_b32 v14, v10, v2
	s_waitcnt lgkmcnt(1)
	ds_bpermute_b32 v11, v10, v3
	ds_bpermute_b32 v6, v10, v4
	;; [unrolled: 1-line block ×4, first 2 shown]
	v_cmpx_neq_f32_e32 0, v1
	s_xor_b32 s2, exec_lo, s2
	s_cbranch_execz .LBB4_20
; %bb.17:
	s_mov_b32 s3, exec_lo
	s_waitcnt lgkmcnt(0)
	v_cmpx_neq_f32_e32 0, v13
	s_cbranch_execz .LBB4_19
; %bb.18:
	v_dual_sub_f32 v14, v14, v2 :: v_dual_add_f32 v3, v3, v11
	v_add_f32_e32 v6, v1, v13
	s_delay_alu instid0(VALU_DEP_1) | instskip(SKIP_1) | instid1(VALU_DEP_2)
	v_div_scale_f32 v4, null, v6, v6, v13
	v_div_scale_f32 v15, vcc_lo, v13, v6, v13
	v_rcp_f32_e32 v5, v4
	s_waitcnt_depctr 0xfff
	v_fma_f32 v7, -v4, v5, 1.0
	s_delay_alu instid0(VALU_DEP_1) | instskip(NEXT) | instid1(VALU_DEP_1)
	v_fmac_f32_e32 v5, v7, v5
	v_mul_f32_e32 v7, v15, v5
	s_delay_alu instid0(VALU_DEP_1) | instskip(NEXT) | instid1(VALU_DEP_1)
	v_fma_f32 v16, -v4, v7, v15
	v_fmac_f32_e32 v7, v16, v5
	s_delay_alu instid0(VALU_DEP_1) | instskip(NEXT) | instid1(VALU_DEP_1)
	v_fma_f32 v4, -v4, v7, v15
	v_div_fmas_f32 v4, v4, v5, v7
	v_mul_f32_e32 v5, v14, v14
	s_delay_alu instid0(VALU_DEP_2) | instskip(NEXT) | instid1(VALU_DEP_2)
	v_div_fixup_f32 v7, v4, v6, v13
	v_dual_mul_f32 v1, v1, v5 :: v_dual_mov_b32 v4, -1
	s_delay_alu instid0(VALU_DEP_2) | instskip(NEXT) | instid1(VALU_DEP_2)
	v_dual_mov_b32 v5, -1 :: v_dual_fmac_f32 v2, v14, v7
	v_fmac_f32_e32 v3, v1, v7
	v_mov_b32_e32 v1, v6
.LBB4_19:
	s_or_b32 exec_lo, exec_lo, s3
                                        ; implicit-def: $vgpr6
                                        ; implicit-def: $vgpr13
                                        ; implicit-def: $vgpr11
                                        ; implicit-def: $vgpr14
.LBB4_20:
	s_and_not1_saveexec_b32 s2, s2
	s_cbranch_execz .LBB4_22
; %bb.21:
	s_waitcnt lgkmcnt(0)
	v_dual_mov_b32 v1, v13 :: v_dual_mov_b32 v4, v6
	v_dual_mov_b32 v5, v7 :: v_dual_mov_b32 v2, v14
	v_mov_b32_e32 v3, v11
.LBB4_22:
	s_or_b32 exec_lo, exec_lo, s2
	v_cmp_gt_u32_e32 vcc_lo, 30, v12
	s_mov_b32 s2, exec_lo
	s_waitcnt lgkmcnt(2)
	v_cndmask_b32_e64 v6, 0, 1, vcc_lo
	s_delay_alu instid0(VALU_DEP_1) | instskip(NEXT) | instid1(VALU_DEP_1)
	v_lshlrev_b32_e32 v6, 1, v6
	v_add_lshl_u32 v11, v6, v12, 2
	ds_bpermute_b32 v15, v11, v2
	s_waitcnt lgkmcnt(1)
	ds_bpermute_b32 v13, v11, v3
	ds_bpermute_b32 v6, v11, v4
	;; [unrolled: 1-line block ×4, first 2 shown]
	v_cmpx_neq_f32_e32 0, v1
	s_xor_b32 s2, exec_lo, s2
	s_cbranch_execz .LBB4_26
; %bb.23:
	s_mov_b32 s3, exec_lo
	s_waitcnt lgkmcnt(0)
	v_cmpx_neq_f32_e32 0, v14
	s_cbranch_execz .LBB4_25
; %bb.24:
	v_add_f32_e32 v6, v1, v14
	v_sub_f32_e32 v15, v15, v2
	v_add_f32_e32 v3, v3, v13
	s_delay_alu instid0(VALU_DEP_3) | instskip(NEXT) | instid1(VALU_DEP_1)
	v_div_scale_f32 v4, null, v6, v6, v14
	v_rcp_f32_e32 v5, v4
	s_waitcnt_depctr 0xfff
	v_fma_f32 v7, -v4, v5, 1.0
	s_delay_alu instid0(VALU_DEP_1) | instskip(SKIP_1) | instid1(VALU_DEP_1)
	v_fmac_f32_e32 v5, v7, v5
	v_div_scale_f32 v16, vcc_lo, v14, v6, v14
	v_mul_f32_e32 v7, v16, v5
	s_delay_alu instid0(VALU_DEP_1) | instskip(NEXT) | instid1(VALU_DEP_1)
	v_fma_f32 v17, -v4, v7, v16
	v_fmac_f32_e32 v7, v17, v5
	s_delay_alu instid0(VALU_DEP_1) | instskip(NEXT) | instid1(VALU_DEP_1)
	v_fma_f32 v4, -v4, v7, v16
	v_div_fmas_f32 v4, v4, v5, v7
	v_mul_f32_e32 v5, v15, v15
	s_delay_alu instid0(VALU_DEP_2) | instskip(NEXT) | instid1(VALU_DEP_2)
	v_div_fixup_f32 v7, v4, v6, v14
	v_dual_mul_f32 v1, v1, v5 :: v_dual_mov_b32 v4, -1
	s_delay_alu instid0(VALU_DEP_2) | instskip(NEXT) | instid1(VALU_DEP_2)
	v_dual_mov_b32 v5, -1 :: v_dual_fmac_f32 v2, v15, v7
	v_fmac_f32_e32 v3, v1, v7
	v_mov_b32_e32 v1, v6
.LBB4_25:
	s_or_b32 exec_lo, exec_lo, s3
                                        ; implicit-def: $vgpr6
                                        ; implicit-def: $vgpr14
                                        ; implicit-def: $vgpr13
                                        ; implicit-def: $vgpr15
.LBB4_26:
	s_and_not1_saveexec_b32 s2, s2
	s_cbranch_execz .LBB4_28
; %bb.27:
	s_waitcnt lgkmcnt(0)
	v_dual_mov_b32 v1, v14 :: v_dual_mov_b32 v2, v15
	v_dual_mov_b32 v4, v6 :: v_dual_mov_b32 v5, v7
	v_mov_b32_e32 v3, v13
.LBB4_28:
	s_or_b32 exec_lo, exec_lo, s2
	v_cmp_ne_u32_e32 vcc_lo, 31, v12
	s_mov_b32 s2, exec_lo
	s_waitcnt lgkmcnt(2)
	v_add_co_ci_u32_e32 v6, vcc_lo, 0, v12, vcc_lo
	s_delay_alu instid0(VALU_DEP_1)
	v_lshlrev_b32_e32 v12, 2, v6
	ds_bpermute_b32 v15, v12, v2
	ds_bpermute_b32 v13, v12, v3
	;; [unrolled: 1-line block ×3, first 2 shown]
	s_waitcnt lgkmcnt(4)
	ds_bpermute_b32 v7, v12, v5
	s_waitcnt lgkmcnt(4)
	ds_bpermute_b32 v14, v12, v1
	v_cmpx_neq_f32_e32 0, v1
	s_xor_b32 s2, exec_lo, s2
	s_cbranch_execz .LBB4_32
; %bb.29:
	s_mov_b32 s3, exec_lo
	s_waitcnt lgkmcnt(0)
	v_cmpx_neq_f32_e32 0, v14
	s_cbranch_execz .LBB4_31
; %bb.30:
	v_add_f32_e32 v6, v1, v14
	v_sub_f32_e32 v15, v15, v2
	v_add_f32_e32 v3, v3, v13
	s_delay_alu instid0(VALU_DEP_3) | instskip(NEXT) | instid1(VALU_DEP_1)
	v_div_scale_f32 v4, null, v6, v6, v14
	v_rcp_f32_e32 v5, v4
	s_waitcnt_depctr 0xfff
	v_fma_f32 v7, -v4, v5, 1.0
	s_delay_alu instid0(VALU_DEP_1) | instskip(SKIP_1) | instid1(VALU_DEP_1)
	v_fmac_f32_e32 v5, v7, v5
	v_div_scale_f32 v16, vcc_lo, v14, v6, v14
	v_mul_f32_e32 v7, v16, v5
	s_delay_alu instid0(VALU_DEP_1) | instskip(NEXT) | instid1(VALU_DEP_1)
	v_fma_f32 v17, -v4, v7, v16
	v_fmac_f32_e32 v7, v17, v5
	s_delay_alu instid0(VALU_DEP_1) | instskip(NEXT) | instid1(VALU_DEP_1)
	v_fma_f32 v4, -v4, v7, v16
	v_div_fmas_f32 v4, v4, v5, v7
	v_mul_f32_e32 v5, v15, v15
	s_delay_alu instid0(VALU_DEP_2) | instskip(NEXT) | instid1(VALU_DEP_2)
	v_div_fixup_f32 v7, v4, v6, v14
	v_dual_mul_f32 v1, v1, v5 :: v_dual_mov_b32 v4, -1
	s_delay_alu instid0(VALU_DEP_2) | instskip(NEXT) | instid1(VALU_DEP_2)
	v_dual_mov_b32 v5, -1 :: v_dual_fmac_f32 v2, v15, v7
	v_fmac_f32_e32 v3, v1, v7
	v_mov_b32_e32 v1, v6
.LBB4_31:
	s_or_b32 exec_lo, exec_lo, s3
                                        ; implicit-def: $vgpr6
                                        ; implicit-def: $vgpr14
                                        ; implicit-def: $vgpr13
                                        ; implicit-def: $vgpr15
.LBB4_32:
	s_and_not1_saveexec_b32 s2, s2
	s_cbranch_execz .LBB4_34
; %bb.33:
	s_waitcnt lgkmcnt(0)
	v_dual_mov_b32 v1, v14 :: v_dual_mov_b32 v2, v15
	v_dual_mov_b32 v4, v6 :: v_dual_mov_b32 v5, v7
	v_mov_b32_e32 v3, v13
.LBB4_34:
	s_or_b32 exec_lo, exec_lo, s2
	s_waitcnt lgkmcnt(2)
	v_and_b32_e32 v6, 31, v0
	s_mov_b32 s2, exec_lo
	s_waitcnt lgkmcnt(0)
	s_barrier
	buffer_gl0_inv
	v_cmpx_eq_u32_e32 0, v6
	s_cbranch_execz .LBB4_36
; %bb.35:
	v_lshrrev_b32_e32 v7, 5, v0
	s_delay_alu instid0(VALU_DEP_1)
	v_mul_u32_u24_e32 v7, 24, v7
	ds_store_2addr_b64 v7, v[2:3], v[4:5] offset1:1
	ds_store_b32 v7, v1 offset:16
.LBB4_36:
	s_or_b32 exec_lo, exec_lo, s2
	s_waitcnt lgkmcnt(0)
	s_barrier
	buffer_gl0_inv
	s_load_b32 s2, s[0:1], 0x34
	v_mul_u32_u24_e32 v4, 24, v6
	v_dual_mov_b32 v2, 0 :: v_dual_mov_b32 v1, 0
	s_waitcnt lgkmcnt(0)
	s_bfe_u32 s2, s2, 0xb0005
	s_delay_alu instid0(SALU_CYCLE_1)
	v_cmp_gt_u32_e32 vcc_lo, s2, v0
	s_and_saveexec_b32 s2, vcc_lo
	s_cbranch_execnz .LBB4_65
; %bb.37:
	s_or_b32 exec_lo, exec_lo, s2
	s_and_saveexec_b32 s2, vcc_lo
	s_cbranch_execnz .LBB4_66
.LBB4_38:
	s_or_b32 exec_lo, exec_lo, s2
	v_mov_b32_e32 v3, 0
	s_and_saveexec_b32 s2, vcc_lo
	s_cbranch_execz .LBB4_40
.LBB4_39:
	ds_load_b32 v3, v4 offset:16
.LBB4_40:
	s_or_b32 exec_lo, exec_lo, s2
	s_delay_alu instid0(SALU_CYCLE_1)
	s_mov_b32 s2, exec_lo
	v_cmpx_gt_u32_e32 32, v0
	s_cbranch_execz .LBB4_62
; %bb.41:
	s_waitcnt lgkmcnt(0)
	ds_bpermute_b32 v6, v8, v1
	ds_bpermute_b32 v4, v8, v2
	;; [unrolled: 1-line block ×3, first 2 shown]
	s_mov_b32 s3, exec_lo
	v_cmpx_neq_f32_e32 0, v3
	s_cbranch_execz .LBB4_45
; %bb.42:
	s_mov_b32 s4, exec_lo
	s_waitcnt lgkmcnt(0)
	v_cmpx_neq_f32_e32 0, v5
	s_cbranch_execz .LBB4_44
; %bb.43:
	v_dual_add_f32 v7, v3, v5 :: v_dual_add_f32 v2, v2, v4
	v_sub_f32_e32 v6, v6, v1
	s_delay_alu instid0(VALU_DEP_2) | instskip(SKIP_1) | instid1(VALU_DEP_2)
	v_div_scale_f32 v8, null, v7, v7, v5
	v_div_scale_f32 v15, vcc_lo, v5, v7, v5
	v_rcp_f32_e32 v13, v8
	s_waitcnt_depctr 0xfff
	v_fma_f32 v14, -v8, v13, 1.0
	s_delay_alu instid0(VALU_DEP_1) | instskip(NEXT) | instid1(VALU_DEP_1)
	v_fmac_f32_e32 v13, v14, v13
	v_mul_f32_e32 v14, v15, v13
	s_delay_alu instid0(VALU_DEP_1) | instskip(NEXT) | instid1(VALU_DEP_1)
	v_fma_f32 v16, -v8, v14, v15
	v_fmac_f32_e32 v14, v16, v13
	s_delay_alu instid0(VALU_DEP_1) | instskip(NEXT) | instid1(VALU_DEP_1)
	v_fma_f32 v8, -v8, v14, v15
	v_div_fmas_f32 v8, v8, v13, v14
	v_mul_f32_e32 v13, v6, v6
	s_delay_alu instid0(VALU_DEP_2) | instskip(NEXT) | instid1(VALU_DEP_2)
	v_div_fixup_f32 v4, v8, v7, v5
	v_mul_f32_e32 v3, v3, v13
	s_delay_alu instid0(VALU_DEP_1)
	v_fmac_f32_e32 v2, v3, v4
	v_mov_b32_e32 v3, v7
	v_fmac_f32_e32 v1, v6, v4
.LBB4_44:
	s_or_b32 exec_lo, exec_lo, s4
	s_delay_alu instid0(VALU_DEP_2) | instskip(NEXT) | instid1(VALU_DEP_2)
	v_dual_mov_b32 v5, v3 :: v_dual_mov_b32 v4, v2
	v_mov_b32_e32 v6, v1
.LBB4_45:
	s_or_b32 exec_lo, exec_lo, s3
	s_waitcnt lgkmcnt(2)
	ds_bpermute_b32 v7, v9, v6
	s_waitcnt lgkmcnt(2)
	ds_bpermute_b32 v1, v9, v4
	;; [unrolled: 2-line block ×3, first 2 shown]
	s_mov_b32 s3, exec_lo
	v_cmpx_neq_f32_e32 0, v5
	s_cbranch_execz .LBB4_49
; %bb.46:
	s_mov_b32 s4, exec_lo
	s_waitcnt lgkmcnt(0)
	v_cmpx_neq_f32_e32 0, v3
	s_cbranch_execz .LBB4_48
; %bb.47:
	v_dual_add_f32 v2, v5, v3 :: v_dual_sub_f32 v7, v7, v6
	v_add_f32_e32 v4, v4, v1
	s_delay_alu instid0(VALU_DEP_2) | instskip(SKIP_1) | instid1(VALU_DEP_2)
	v_div_scale_f32 v8, null, v2, v2, v3
	v_div_scale_f32 v14, vcc_lo, v3, v2, v3
	v_rcp_f32_e32 v9, v8
	s_waitcnt_depctr 0xfff
	v_fma_f32 v13, -v8, v9, 1.0
	s_delay_alu instid0(VALU_DEP_1) | instskip(NEXT) | instid1(VALU_DEP_1)
	v_fmac_f32_e32 v9, v13, v9
	v_mul_f32_e32 v13, v14, v9
	s_delay_alu instid0(VALU_DEP_1) | instskip(NEXT) | instid1(VALU_DEP_1)
	v_fma_f32 v15, -v8, v13, v14
	v_fmac_f32_e32 v13, v15, v9
	s_delay_alu instid0(VALU_DEP_1) | instskip(NEXT) | instid1(VALU_DEP_1)
	v_fma_f32 v8, -v8, v13, v14
	v_div_fmas_f32 v8, v8, v9, v13
	v_mul_f32_e32 v9, v7, v7
	s_delay_alu instid0(VALU_DEP_2) | instskip(NEXT) | instid1(VALU_DEP_2)
	v_div_fixup_f32 v1, v8, v2, v3
	v_mul_f32_e32 v3, v5, v9
	s_delay_alu instid0(VALU_DEP_2) | instskip(NEXT) | instid1(VALU_DEP_2)
	v_dual_mov_b32 v5, v2 :: v_dual_fmac_f32 v6, v7, v1
	v_fmac_f32_e32 v4, v3, v1
.LBB4_48:
	s_or_b32 exec_lo, exec_lo, s4
	s_delay_alu instid0(VALU_DEP_2) | instskip(NEXT) | instid1(VALU_DEP_2)
	v_mov_b32_e32 v3, v5
	v_mov_b32_e32 v1, v4
	;; [unrolled: 1-line block ×3, first 2 shown]
.LBB4_49:
	s_or_b32 exec_lo, exec_lo, s3
	s_waitcnt lgkmcnt(2)
	ds_bpermute_b32 v8, v10, v7
	s_waitcnt lgkmcnt(2)
	ds_bpermute_b32 v2, v10, v1
	;; [unrolled: 2-line block ×3, first 2 shown]
	s_mov_b32 s3, exec_lo
	v_cmpx_neq_f32_e32 0, v3
	s_cbranch_execz .LBB4_53
; %bb.50:
	s_mov_b32 s4, exec_lo
	s_waitcnt lgkmcnt(0)
	v_cmpx_neq_f32_e32 0, v6
	s_cbranch_execz .LBB4_52
; %bb.51:
	v_add_f32_e32 v4, v3, v6
	v_dual_sub_f32 v8, v8, v7 :: v_dual_add_f32 v1, v1, v2
	s_delay_alu instid0(VALU_DEP_2) | instskip(NEXT) | instid1(VALU_DEP_1)
	v_div_scale_f32 v5, null, v4, v4, v6
	v_rcp_f32_e32 v9, v5
	s_waitcnt_depctr 0xfff
	v_fma_f32 v10, -v5, v9, 1.0
	s_delay_alu instid0(VALU_DEP_1) | instskip(SKIP_1) | instid1(VALU_DEP_1)
	v_fmac_f32_e32 v9, v10, v9
	v_div_scale_f32 v13, vcc_lo, v6, v4, v6
	v_mul_f32_e32 v10, v13, v9
	s_delay_alu instid0(VALU_DEP_1) | instskip(NEXT) | instid1(VALU_DEP_1)
	v_fma_f32 v14, -v5, v10, v13
	v_fmac_f32_e32 v10, v14, v9
	s_delay_alu instid0(VALU_DEP_1) | instskip(NEXT) | instid1(VALU_DEP_1)
	v_fma_f32 v5, -v5, v10, v13
	v_div_fmas_f32 v5, v5, v9, v10
	v_mul_f32_e32 v9, v8, v8
	s_delay_alu instid0(VALU_DEP_2) | instskip(NEXT) | instid1(VALU_DEP_2)
	v_div_fixup_f32 v2, v5, v4, v6
	v_mul_f32_e32 v3, v3, v9
	s_delay_alu instid0(VALU_DEP_2) | instskip(NEXT) | instid1(VALU_DEP_2)
	v_fmac_f32_e32 v7, v8, v2
	v_fmac_f32_e32 v1, v3, v2
	v_mov_b32_e32 v3, v4
.LBB4_52:
	s_or_b32 exec_lo, exec_lo, s4
	s_delay_alu instid0(VALU_DEP_1) | instskip(NEXT) | instid1(VALU_DEP_3)
	v_mov_b32_e32 v6, v3
	v_mov_b32_e32 v2, v1
	;; [unrolled: 1-line block ×3, first 2 shown]
.LBB4_53:
	s_or_b32 exec_lo, exec_lo, s3
	s_waitcnt lgkmcnt(2)
	ds_bpermute_b32 v7, v11, v8
	s_waitcnt lgkmcnt(2)
	ds_bpermute_b32 v4, v11, v2
	;; [unrolled: 2-line block ×3, first 2 shown]
	s_mov_b32 s3, exec_lo
	v_cmpx_neq_f32_e32 0, v6
	s_cbranch_execz .LBB4_57
; %bb.54:
	s_mov_b32 s4, exec_lo
	s_waitcnt lgkmcnt(0)
	v_cmpx_neq_f32_e32 0, v5
	s_cbranch_execz .LBB4_56
; %bb.55:
	v_sub_f32_e32 v7, v7, v8
	v_add_f32_e32 v1, v6, v5
	v_add_f32_e32 v2, v2, v4
	s_delay_alu instid0(VALU_DEP_2) | instskip(SKIP_1) | instid1(VALU_DEP_2)
	v_div_scale_f32 v3, null, v1, v1, v5
	v_div_scale_f32 v11, vcc_lo, v5, v1, v5
	v_rcp_f32_e32 v9, v3
	s_waitcnt_depctr 0xfff
	v_fma_f32 v10, -v3, v9, 1.0
	s_delay_alu instid0(VALU_DEP_1) | instskip(NEXT) | instid1(VALU_DEP_1)
	v_fmac_f32_e32 v9, v10, v9
	v_mul_f32_e32 v10, v11, v9
	s_delay_alu instid0(VALU_DEP_1) | instskip(NEXT) | instid1(VALU_DEP_1)
	v_fma_f32 v13, -v3, v10, v11
	v_fmac_f32_e32 v10, v13, v9
	s_delay_alu instid0(VALU_DEP_1) | instskip(NEXT) | instid1(VALU_DEP_1)
	v_fma_f32 v3, -v3, v10, v11
	v_div_fmas_f32 v3, v3, v9, v10
	v_mul_f32_e32 v9, v7, v7
	s_delay_alu instid0(VALU_DEP_2) | instskip(NEXT) | instid1(VALU_DEP_2)
	v_div_fixup_f32 v3, v3, v1, v5
	v_mul_f32_e32 v4, v6, v9
	s_delay_alu instid0(VALU_DEP_2) | instskip(NEXT) | instid1(VALU_DEP_2)
	v_fmac_f32_e32 v8, v7, v3
	v_fmac_f32_e32 v2, v4, v3
	v_mov_b32_e32 v6, v1
.LBB4_56:
	s_or_b32 exec_lo, exec_lo, s4
	s_delay_alu instid0(VALU_DEP_1) | instskip(NEXT) | instid1(VALU_DEP_3)
	v_mov_b32_e32 v5, v6
	v_dual_mov_b32 v4, v2 :: v_dual_mov_b32 v7, v8
.LBB4_57:
	s_or_b32 exec_lo, exec_lo, s3
	s_waitcnt lgkmcnt(2)
	ds_bpermute_b32 v1, v12, v7
	s_waitcnt lgkmcnt(2)
	ds_bpermute_b32 v2, v12, v4
	;; [unrolled: 2-line block ×3, first 2 shown]
	s_mov_b32 s3, exec_lo
	v_cmpx_neq_f32_e32 0, v5
	s_cbranch_execz .LBB4_61
; %bb.58:
	s_mov_b32 s4, exec_lo
	s_waitcnt lgkmcnt(0)
	v_cmpx_neq_f32_e32 0, v3
	s_cbranch_execz .LBB4_60
; %bb.59:
	v_add_f32_e32 v6, v5, v3
	v_dual_sub_f32 v1, v1, v7 :: v_dual_add_f32 v4, v4, v2
	s_delay_alu instid0(VALU_DEP_2) | instskip(NEXT) | instid1(VALU_DEP_1)
	v_div_scale_f32 v8, null, v6, v6, v3
	v_rcp_f32_e32 v9, v8
	s_waitcnt_depctr 0xfff
	v_fma_f32 v10, -v8, v9, 1.0
	s_delay_alu instid0(VALU_DEP_1) | instskip(SKIP_1) | instid1(VALU_DEP_1)
	v_fmac_f32_e32 v9, v10, v9
	v_div_scale_f32 v11, vcc_lo, v3, v6, v3
	v_mul_f32_e32 v10, v11, v9
	s_delay_alu instid0(VALU_DEP_1) | instskip(NEXT) | instid1(VALU_DEP_1)
	v_fma_f32 v12, -v8, v10, v11
	v_fmac_f32_e32 v10, v12, v9
	s_delay_alu instid0(VALU_DEP_1) | instskip(NEXT) | instid1(VALU_DEP_1)
	v_fma_f32 v8, -v8, v10, v11
	v_div_fmas_f32 v8, v8, v9, v10
	v_mul_f32_e32 v9, v1, v1
	s_delay_alu instid0(VALU_DEP_2) | instskip(NEXT) | instid1(VALU_DEP_2)
	v_div_fixup_f32 v2, v8, v6, v3
	v_mul_f32_e32 v3, v5, v9
	v_mov_b32_e32 v5, v6
	s_delay_alu instid0(VALU_DEP_3) | instskip(NEXT) | instid1(VALU_DEP_3)
	v_fmac_f32_e32 v7, v1, v2
	v_fmac_f32_e32 v4, v3, v2
.LBB4_60:
	s_or_b32 exec_lo, exec_lo, s4
	s_delay_alu instid0(VALU_DEP_1) | instskip(NEXT) | instid1(VALU_DEP_3)
	v_dual_mov_b32 v3, v5 :: v_dual_mov_b32 v2, v4
	v_mov_b32_e32 v1, v7
.LBB4_61:
	s_or_b32 exec_lo, exec_lo, s3
.LBB4_62:
	s_delay_alu instid0(SALU_CYCLE_1) | instskip(NEXT) | instid1(SALU_CYCLE_1)
	s_or_b32 exec_lo, exec_lo, s2
	s_mov_b32 s2, exec_lo
	v_cmpx_eq_u32_e32 0, v0
	s_cbranch_execz .LBB4_64
; %bb.63:
	s_waitcnt lgkmcnt(0)
	v_max_f32_e32 v0, v3, v3
	s_load_b32 s0, s[0:1], 0x8
	s_delay_alu instid0(VALU_DEP_1) | instskip(NEXT) | instid1(VALU_DEP_1)
	v_max_f32_e32 v0, 0, v0
	v_div_scale_f32 v3, null, v0, v0, v2
	s_delay_alu instid0(VALU_DEP_1) | instskip(SKIP_2) | instid1(VALU_DEP_1)
	v_rcp_f32_e32 v4, v3
	s_waitcnt_depctr 0xfff
	v_fma_f32 v5, -v3, v4, 1.0
	v_fmac_f32_e32 v4, v5, v4
	v_div_scale_f32 v5, vcc_lo, v2, v0, v2
	s_delay_alu instid0(VALU_DEP_1) | instskip(NEXT) | instid1(VALU_DEP_1)
	v_mul_f32_e32 v6, v5, v4
	v_fma_f32 v7, -v3, v6, v5
	s_delay_alu instid0(VALU_DEP_1) | instskip(NEXT) | instid1(VALU_DEP_1)
	v_fmac_f32_e32 v6, v7, v4
	v_fma_f32 v3, -v3, v6, v5
	s_delay_alu instid0(VALU_DEP_1) | instskip(NEXT) | instid1(VALU_DEP_1)
	v_div_fmas_f32 v3, v3, v4, v6
	v_div_fixup_f32 v0, v3, v0, v2
	s_waitcnt lgkmcnt(0)
	s_delay_alu instid0(VALU_DEP_1) | instskip(SKIP_1) | instid1(SALU_CYCLE_1)
	v_dual_mov_b32 v3, 0 :: v_dual_add_f32 v0, s0, v0
	s_lshl_b64 s[0:1], s[10:11], 2
	s_add_u32 s2, s6, s0
	s_addc_u32 s3, s7, s1
	s_delay_alu instid0(VALU_DEP_1) | instskip(SKIP_3) | instid1(VALU_DEP_2)
	v_mul_f32_e32 v2, 0x4b800000, v0
	v_cmp_gt_f32_e32 vcc_lo, 0x800000, v0
	s_add_u32 s0, s8, s0
	s_addc_u32 s1, s9, s1
	v_cndmask_b32_e32 v0, v0, v2, vcc_lo
	s_delay_alu instid0(VALU_DEP_1) | instskip(SKIP_2) | instid1(VALU_DEP_1)
	v_rsq_f32_e32 v0, v0
	s_waitcnt_depctr 0xfff
	v_mul_f32_e32 v2, 0x45800000, v0
	v_cndmask_b32_e32 v0, v0, v2, vcc_lo
	s_clause 0x1
	global_store_b32 v3, v1, s[2:3]
	global_store_b32 v3, v0, s[0:1]
.LBB4_64:
	s_nop 0
	s_sendmsg sendmsg(MSG_DEALLOC_VGPRS)
	s_endpgm
.LBB4_65:
	ds_load_b32 v1, v4
	s_or_b32 exec_lo, exec_lo, s2
	s_and_saveexec_b32 s2, vcc_lo
	s_cbranch_execz .LBB4_38
.LBB4_66:
	ds_load_b32 v2, v4 offset:4
	s_or_b32 exec_lo, exec_lo, s2
	v_mov_b32_e32 v3, 0
	s_and_saveexec_b32 s2, vcc_lo
	s_cbranch_execnz .LBB4_39
	s_branch .LBB4_40
	.section	.rodata,"a",@progbits
	.p2align	6, 0x0
	.amdhsa_kernel _ZN2at6native12_GLOBAL__N_124RowwiseMomentsCUDAKernelIffLb0EEEvlT0_PKT_PS3_S7_
		.amdhsa_group_segment_fixed_size 768
		.amdhsa_private_segment_fixed_size 0
		.amdhsa_kernarg_size 296
		.amdhsa_user_sgpr_count 15
		.amdhsa_user_sgpr_dispatch_ptr 0
		.amdhsa_user_sgpr_queue_ptr 0
		.amdhsa_user_sgpr_kernarg_segment_ptr 1
		.amdhsa_user_sgpr_dispatch_id 0
		.amdhsa_user_sgpr_private_segment_size 0
		.amdhsa_wavefront_size32 1
		.amdhsa_uses_dynamic_stack 0
		.amdhsa_enable_private_segment 0
		.amdhsa_system_sgpr_workgroup_id_x 1
		.amdhsa_system_sgpr_workgroup_id_y 0
		.amdhsa_system_sgpr_workgroup_id_z 0
		.amdhsa_system_sgpr_workgroup_info 0
		.amdhsa_system_vgpr_workitem_id 0
		.amdhsa_next_free_vgpr 18
		.amdhsa_next_free_sgpr 20
		.amdhsa_reserve_vcc 1
		.amdhsa_float_round_mode_32 0
		.amdhsa_float_round_mode_16_64 0
		.amdhsa_float_denorm_mode_32 3
		.amdhsa_float_denorm_mode_16_64 3
		.amdhsa_dx10_clamp 1
		.amdhsa_ieee_mode 1
		.amdhsa_fp16_overflow 0
		.amdhsa_workgroup_processor_mode 1
		.amdhsa_memory_ordered 1
		.amdhsa_forward_progress 0
		.amdhsa_shared_vgpr_count 0
		.amdhsa_exception_fp_ieee_invalid_op 0
		.amdhsa_exception_fp_denorm_src 0
		.amdhsa_exception_fp_ieee_div_zero 0
		.amdhsa_exception_fp_ieee_overflow 0
		.amdhsa_exception_fp_ieee_underflow 0
		.amdhsa_exception_fp_ieee_inexact 0
		.amdhsa_exception_int_div_zero 0
	.end_amdhsa_kernel
	.section	.text._ZN2at6native12_GLOBAL__N_124RowwiseMomentsCUDAKernelIffLb0EEEvlT0_PKT_PS3_S7_,"axG",@progbits,_ZN2at6native12_GLOBAL__N_124RowwiseMomentsCUDAKernelIffLb0EEEvlT0_PKT_PS3_S7_,comdat
.Lfunc_end4:
	.size	_ZN2at6native12_GLOBAL__N_124RowwiseMomentsCUDAKernelIffLb0EEEvlT0_PKT_PS3_S7_, .Lfunc_end4-_ZN2at6native12_GLOBAL__N_124RowwiseMomentsCUDAKernelIffLb0EEEvlT0_PKT_PS3_S7_
                                        ; -- End function
	.section	.AMDGPU.csdata,"",@progbits
; Kernel info:
; codeLenInByte = 3452
; NumSgprs: 22
; NumVgprs: 18
; ScratchSize: 0
; MemoryBound: 0
; FloatMode: 240
; IeeeMode: 1
; LDSByteSize: 768 bytes/workgroup (compile time only)
; SGPRBlocks: 2
; VGPRBlocks: 2
; NumSGPRsForWavesPerEU: 22
; NumVGPRsForWavesPerEU: 18
; Occupancy: 16
; WaveLimiterHint : 0
; COMPUTE_PGM_RSRC2:SCRATCH_EN: 0
; COMPUTE_PGM_RSRC2:USER_SGPR: 15
; COMPUTE_PGM_RSRC2:TRAP_HANDLER: 0
; COMPUTE_PGM_RSRC2:TGID_X_EN: 1
; COMPUTE_PGM_RSRC2:TGID_Y_EN: 0
; COMPUTE_PGM_RSRC2:TGID_Z_EN: 0
; COMPUTE_PGM_RSRC2:TIDIG_COMP_CNT: 0
	.section	.text._ZN2at6native12_GLOBAL__N_126LayerNormForwardCUDAKernelIffLb0EEEvlPKT_PKT0_S8_S5_S5_PS3_,"axG",@progbits,_ZN2at6native12_GLOBAL__N_126LayerNormForwardCUDAKernelIffLb0EEEvlPKT_PKT0_S8_S5_S5_PS3_,comdat
	.globl	_ZN2at6native12_GLOBAL__N_126LayerNormForwardCUDAKernelIffLb0EEEvlPKT_PKT0_S8_S5_S5_PS3_ ; -- Begin function _ZN2at6native12_GLOBAL__N_126LayerNormForwardCUDAKernelIffLb0EEEvlPKT_PKT0_S8_S5_S5_PS3_
	.p2align	8
	.type	_ZN2at6native12_GLOBAL__N_126LayerNormForwardCUDAKernelIffLb0EEEvlPKT_PKT0_S8_S5_S5_PS3_,@function
_ZN2at6native12_GLOBAL__N_126LayerNormForwardCUDAKernelIffLb0EEEvlPKT_PKT0_S8_S5_S5_PS3_: ; @_ZN2at6native12_GLOBAL__N_126LayerNormForwardCUDAKernelIffLb0EEEvlPKT_PKT0_S8_S5_S5_PS3_
; %bb.0:
	s_load_b256 s[4:11], s[0:1], 0x0
	v_mov_b32_e32 v1, 0
	s_mov_b32 s3, exec_lo
	s_waitcnt lgkmcnt(0)
	s_delay_alu instid0(VALU_DEP_1)
	v_cmpx_gt_i64_e64 s[4:5], v[0:1]
	s_cbranch_execz .LBB5_8
; %bb.1:
	s_mov_b32 s2, s15
	s_clause 0x1
	s_load_b256 s[12:19], s[0:1], 0x20
	s_load_b32 s0, s[0:1], 0x44
	s_mov_b32 s3, 0
	s_waitcnt lgkmcnt(0)
	s_mul_i32 s19, s5, s2
	s_mul_hi_u32 s21, s4, s2
	s_mul_i32 s20, s4, s2
	v_dual_mov_b32 v5, v1 :: v_dual_lshlrev_b32 v4, 2, v0
	v_dual_mov_b32 v3, v1 :: v_dual_mov_b32 v2, v0
	s_cmp_lg_u64 s[12:13], 0
	s_cselect_b32 s1, -1, 0
	s_cmp_lg_u64 s[14:15], 0
	s_cselect_b32 s18, -1, 0
	s_lshl_b64 s[22:23], s[2:3], 2
	s_delay_alu instid0(SALU_CYCLE_1)
	s_add_u32 s8, s8, s22
	s_addc_u32 s9, s9, s23
	s_add_u32 s10, s10, s22
	s_addc_u32 s11, s11, s23
	s_add_i32 s21, s21, s19
	s_and_b32 s2, s0, 0xffff
	s_lshl_b64 s[20:21], s[20:21], 2
	s_delay_alu instid0(SALU_CYCLE_1)
	s_add_u32 s6, s6, s20
	s_addc_u32 s7, s7, s21
	s_lshl_b32 s19, s2, 2
	s_add_u32 s16, s16, s20
	s_addc_u32 s17, s17, s21
	s_set_inst_prefetch_distance 0x1
	s_branch .LBB5_4
	.p2align	6
.LBB5_2:                                ;   in Loop: Header=BB5_4 Depth=1
	v_add_co_u32 v6, vcc_lo, s14, v4
	v_add_co_ci_u32_e32 v7, vcc_lo, s15, v5, vcc_lo
	global_load_b32 v6, v[6:7], off
.LBB5_3:                                ;   in Loop: Header=BB5_4 Depth=1
	v_add_co_u32 v7, vcc_lo, s6, v4
	v_add_co_ci_u32_e32 v8, vcc_lo, s7, v5, vcc_lo
	v_add_co_u32 v2, vcc_lo, v2, s2
	v_add_co_ci_u32_e32 v3, vcc_lo, 0, v3, vcc_lo
	global_load_b32 v7, v[7:8], off
	s_clause 0x1
	global_load_b32 v8, v1, s[8:9]
	global_load_b32 v9, v1, s[10:11]
	s_waitcnt vmcnt(1)
	v_sub_f32_e32 v7, v7, v8
	s_waitcnt vmcnt(0)
	s_delay_alu instid0(VALU_DEP_1) | instskip(SKIP_2) | instid1(VALU_DEP_3)
	v_mul_f32_e32 v9, v7, v9
	v_add_co_u32 v7, vcc_lo, s16, v4
	v_add_co_ci_u32_e32 v8, vcc_lo, s17, v5, vcc_lo
	v_fmac_f32_e32 v6, v0, v9
	v_cmp_le_i64_e32 vcc_lo, s[4:5], v[2:3]
	v_add_co_u32 v4, s0, v4, s19
	s_delay_alu instid0(VALU_DEP_1) | instskip(SKIP_2) | instid1(SALU_CYCLE_1)
	v_add_co_ci_u32_e64 v5, s0, 0, v5, s0
	global_store_b32 v[7:8], v6, off
	s_or_b32 s3, vcc_lo, s3
	s_and_not1_b32 exec_lo, exec_lo, s3
	s_cbranch_execz .LBB5_8
.LBB5_4:                                ; =>This Inner Loop Header: Depth=1
	s_and_not1_b32 vcc_lo, exec_lo, s1
	s_cbranch_vccnz .LBB5_6
; %bb.5:                                ;   in Loop: Header=BB5_4 Depth=1
	v_add_co_u32 v6, vcc_lo, s12, v4
	v_add_co_ci_u32_e32 v7, vcc_lo, s13, v5, vcc_lo
	global_load_b32 v0, v[6:7], off
	s_and_not1_b32 vcc_lo, exec_lo, s18
	s_cbranch_vccz .LBB5_2
	s_branch .LBB5_7
.LBB5_6:                                ;   in Loop: Header=BB5_4 Depth=1
	v_mov_b32_e32 v0, 1.0
	s_and_not1_b32 vcc_lo, exec_lo, s18
	s_cbranch_vccz .LBB5_2
.LBB5_7:                                ;   in Loop: Header=BB5_4 Depth=1
	v_mov_b32_e32 v6, 0
	s_branch .LBB5_3
.LBB5_8:
	s_set_inst_prefetch_distance 0x2
	s_nop 0
	s_sendmsg sendmsg(MSG_DEALLOC_VGPRS)
	s_endpgm
	.section	.rodata,"a",@progbits
	.p2align	6, 0x0
	.amdhsa_kernel _ZN2at6native12_GLOBAL__N_126LayerNormForwardCUDAKernelIffLb0EEEvlPKT_PKT0_S8_S5_S5_PS3_
		.amdhsa_group_segment_fixed_size 0
		.amdhsa_private_segment_fixed_size 0
		.amdhsa_kernarg_size 312
		.amdhsa_user_sgpr_count 15
		.amdhsa_user_sgpr_dispatch_ptr 0
		.amdhsa_user_sgpr_queue_ptr 0
		.amdhsa_user_sgpr_kernarg_segment_ptr 1
		.amdhsa_user_sgpr_dispatch_id 0
		.amdhsa_user_sgpr_private_segment_size 0
		.amdhsa_wavefront_size32 1
		.amdhsa_uses_dynamic_stack 0
		.amdhsa_enable_private_segment 0
		.amdhsa_system_sgpr_workgroup_id_x 1
		.amdhsa_system_sgpr_workgroup_id_y 0
		.amdhsa_system_sgpr_workgroup_id_z 0
		.amdhsa_system_sgpr_workgroup_info 0
		.amdhsa_system_vgpr_workitem_id 0
		.amdhsa_next_free_vgpr 10
		.amdhsa_next_free_sgpr 24
		.amdhsa_reserve_vcc 1
		.amdhsa_float_round_mode_32 0
		.amdhsa_float_round_mode_16_64 0
		.amdhsa_float_denorm_mode_32 3
		.amdhsa_float_denorm_mode_16_64 3
		.amdhsa_dx10_clamp 1
		.amdhsa_ieee_mode 1
		.amdhsa_fp16_overflow 0
		.amdhsa_workgroup_processor_mode 1
		.amdhsa_memory_ordered 1
		.amdhsa_forward_progress 0
		.amdhsa_shared_vgpr_count 0
		.amdhsa_exception_fp_ieee_invalid_op 0
		.amdhsa_exception_fp_denorm_src 0
		.amdhsa_exception_fp_ieee_div_zero 0
		.amdhsa_exception_fp_ieee_overflow 0
		.amdhsa_exception_fp_ieee_underflow 0
		.amdhsa_exception_fp_ieee_inexact 0
		.amdhsa_exception_int_div_zero 0
	.end_amdhsa_kernel
	.section	.text._ZN2at6native12_GLOBAL__N_126LayerNormForwardCUDAKernelIffLb0EEEvlPKT_PKT0_S8_S5_S5_PS3_,"axG",@progbits,_ZN2at6native12_GLOBAL__N_126LayerNormForwardCUDAKernelIffLb0EEEvlPKT_PKT0_S8_S5_S5_PS3_,comdat
.Lfunc_end5:
	.size	_ZN2at6native12_GLOBAL__N_126LayerNormForwardCUDAKernelIffLb0EEEvlPKT_PKT0_S8_S5_S5_PS3_, .Lfunc_end5-_ZN2at6native12_GLOBAL__N_126LayerNormForwardCUDAKernelIffLb0EEEvlPKT_PKT0_S8_S5_S5_PS3_
                                        ; -- End function
	.section	.AMDGPU.csdata,"",@progbits
; Kernel info:
; codeLenInByte = 412
; NumSgprs: 26
; NumVgprs: 10
; ScratchSize: 0
; MemoryBound: 0
; FloatMode: 240
; IeeeMode: 1
; LDSByteSize: 0 bytes/workgroup (compile time only)
; SGPRBlocks: 3
; VGPRBlocks: 1
; NumSGPRsForWavesPerEU: 26
; NumVGPRsForWavesPerEU: 10
; Occupancy: 16
; WaveLimiterHint : 0
; COMPUTE_PGM_RSRC2:SCRATCH_EN: 0
; COMPUTE_PGM_RSRC2:USER_SGPR: 15
; COMPUTE_PGM_RSRC2:TRAP_HANDLER: 0
; COMPUTE_PGM_RSRC2:TGID_X_EN: 1
; COMPUTE_PGM_RSRC2:TGID_Y_EN: 0
; COMPUTE_PGM_RSRC2:TGID_Z_EN: 0
; COMPUTE_PGM_RSRC2:TIDIG_COMP_CNT: 0
	.section	.text._ZN2at6native12_GLOBAL__N_128vectorized_layer_norm_kernelIN3c104HalfEfLb0EEEviT0_PKT_S8_S8_PS5_S9_PS6_,"axG",@progbits,_ZN2at6native12_GLOBAL__N_128vectorized_layer_norm_kernelIN3c104HalfEfLb0EEEviT0_PKT_S8_S8_PS5_S9_PS6_,comdat
	.globl	_ZN2at6native12_GLOBAL__N_128vectorized_layer_norm_kernelIN3c104HalfEfLb0EEEviT0_PKT_S8_S8_PS5_S9_PS6_ ; -- Begin function _ZN2at6native12_GLOBAL__N_128vectorized_layer_norm_kernelIN3c104HalfEfLb0EEEviT0_PKT_S8_S8_PS5_S9_PS6_
	.p2align	8
	.type	_ZN2at6native12_GLOBAL__N_128vectorized_layer_norm_kernelIN3c104HalfEfLb0EEEviT0_PKT_S8_S8_PS5_S9_PS6_,@function
_ZN2at6native12_GLOBAL__N_128vectorized_layer_norm_kernelIN3c104HalfEfLb0EEEviT0_PKT_S8_S8_PS5_S9_PS6_: ; @_ZN2at6native12_GLOBAL__N_128vectorized_layer_norm_kernelIN3c104HalfEfLb0EEEviT0_PKT_S8_S8_PS5_S9_PS6_
; %bb.0:
	s_mov_b32 s16, s15
	s_clause 0x1
	s_load_b128 s[12:15], s[0:1], 0x0
	s_load_b32 s3, s[0:1], 0x44
	v_and_b32_e32 v2, 0x3ff, v0
	v_bfe_u32 v3, v0, 10, 10
	v_dual_mov_b32 v6, 0 :: v_dual_mov_b32 v5, 0
	v_mov_b32_e32 v4, 0
	s_mov_b32 s17, 0
	s_waitcnt lgkmcnt(0)
	s_ashr_i32 s2, s12, 31
	s_and_b32 s5, s3, 0xffff
	s_mul_i32 s6, s2, s16
	s_lshr_b32 s2, s2, 30
	v_mul_u32_u24_e32 v0, s5, v3
	v_mad_u32_u24 v7, v3, s5, v2
	s_add_i32 s2, s12, s2
	s_mul_hi_u32 s4, s12, s16
	s_ashr_i32 s22, s2, 2
	v_add_lshl_u32 v8, v0, v2, 3
	v_cmp_gt_i32_e64 s2, s22, v7
	s_lshr_b32 s8, s3, 16
	s_add_i32 s21, s4, s6
	s_mul_i32 s20, s12, s16
	s_mul_i32 s18, s8, s5
	s_and_saveexec_b32 s9, s2
	s_cbranch_execz .LBB6_4
; %bb.1:
	s_lshl_b64 s[4:5], s[20:21], 1
	v_dual_mov_b32 v6, 0 :: v_dual_mov_b32 v9, v7
	s_add_u32 s3, s14, s4
	s_addc_u32 s4, s15, s5
	v_add_co_u32 v0, s3, s3, v8
	s_delay_alu instid0(VALU_DEP_1) | instskip(SKIP_1) | instid1(VALU_DEP_3)
	v_add_co_ci_u32_e64 v1, null, s4, 0, s3
	v_dual_mov_b32 v4, 0 :: v_dual_mov_b32 v5, 0
	v_add_co_u32 v0, vcc_lo, v0, 4
	s_delay_alu instid0(VALU_DEP_3)
	v_add_co_ci_u32_e32 v1, vcc_lo, 0, v1, vcc_lo
	s_ashr_i32 s19, s18, 31
	s_mov_b32 s10, s17
	s_lshl_b64 s[6:7], s[18:19], 3
.LBB6_2:                                ; =>This Inner Loop Header: Depth=1
	global_load_b64 v[10:11], v[0:1], off offset:-4
	v_add_f32_e32 v12, 1.0, v6
	s_delay_alu instid0(VALU_DEP_1) | instskip(NEXT) | instid1(VALU_DEP_1)
	v_div_scale_f32 v14, null, v12, v12, 1.0
	v_rcp_f32_e32 v17, v14
	s_waitcnt_depctr 0xfff
	v_fma_f32 v23, -v14, v17, 1.0
	s_delay_alu instid0(VALU_DEP_1) | instskip(SKIP_2) | instid1(VALU_DEP_2)
	v_fmac_f32_e32 v17, v23, v17
	v_add_f32_e32 v13, 1.0, v12
	v_div_scale_f32 v15, vcc_lo, 1.0, v12, 1.0
	v_add_f32_e32 v18, 1.0, v13
	s_delay_alu instid0(VALU_DEP_1) | instskip(SKIP_2) | instid1(VALU_DEP_3)
	v_add_f32_e32 v6, 1.0, v18
	v_div_scale_f32 v16, null, v13, v13, 1.0
	v_div_scale_f32 v21, null, v18, v18, 1.0
	;; [unrolled: 1-line block ×3, first 2 shown]
	s_delay_alu instid0(VALU_DEP_3) | instskip(NEXT) | instid1(VALU_DEP_2)
	v_rcp_f32_e32 v20, v16
	v_rcp_f32_e32 v24, v21
	v_div_scale_f32 v26, s5, 1.0, v6, 1.0
	s_delay_alu instid0(VALU_DEP_2) | instskip(SKIP_2) | instid1(TRANS32_DEP_3)
	v_rcp_f32_e32 v27, v25
	v_div_scale_f32 v22, s4, 1.0, v18, 1.0
	v_div_scale_f32 v19, s3, 1.0, v13, 1.0
	v_fma_f32 v23, -v16, v20, 1.0
	s_delay_alu instid0(VALU_DEP_1) | instskip(NEXT) | instid1(TRANS32_DEP_2)
	v_fmac_f32_e32 v20, v23, v20
	v_fma_f32 v23, -v21, v24, 1.0
	s_delay_alu instid0(VALU_DEP_1) | instskip(NEXT) | instid1(TRANS32_DEP_1)
	v_fmac_f32_e32 v24, v23, v24
	v_fma_f32 v23, -v25, v27, 1.0
	s_delay_alu instid0(VALU_DEP_2) | instskip(NEXT) | instid1(VALU_DEP_2)
	v_mul_f32_e32 v31, v22, v24
	v_fmac_f32_e32 v27, v23, v27
	s_delay_alu instid0(VALU_DEP_1) | instskip(NEXT) | instid1(VALU_DEP_1)
	v_dual_mul_f32 v28, v15, v17 :: v_dual_mul_f32 v23, v26, v27
	v_fma_f32 v29, -v14, v28, v15
	s_delay_alu instid0(VALU_DEP_1) | instskip(NEXT) | instid1(VALU_DEP_1)
	v_fmac_f32_e32 v28, v29, v17
	v_fma_f32 v14, -v14, v28, v15
	v_fma_f32 v15, -v21, v31, v22
	s_delay_alu instid0(VALU_DEP_1) | instskip(NEXT) | instid1(VALU_DEP_3)
	v_fmac_f32_e32 v31, v15, v24
	v_div_fmas_f32 v14, v14, v17, v28
	v_fma_f32 v15, -v25, v23, v26
	s_mov_b32 vcc_lo, s3
	s_delay_alu instid0(VALU_DEP_2) | instskip(SKIP_3) | instid1(VALU_DEP_1)
	v_div_fixup_f32 v12, v14, v12, 1.0
	s_waitcnt vmcnt(0)
	v_cvt_f32_f16_e32 v17, v10
	v_lshrrev_b32_e32 v10, 16, v10
	v_cvt_f32_f16_e32 v10, v10
	v_fmac_f32_e32 v23, v15, v27
	s_delay_alu instid0(VALU_DEP_4) | instskip(NEXT) | instid1(VALU_DEP_1)
	v_dual_sub_f32 v15, v17, v5 :: v_dual_mul_f32 v30, v19, v20
	v_fmac_f32_e32 v5, v12, v15
	s_delay_alu instid0(VALU_DEP_2) | instskip(NEXT) | instid1(VALU_DEP_2)
	v_fma_f32 v29, -v16, v30, v19
	v_sub_f32_e32 v17, v17, v5
	s_delay_alu instid0(VALU_DEP_2) | instskip(NEXT) | instid1(VALU_DEP_2)
	v_fmac_f32_e32 v30, v29, v20
	v_fmac_f32_e32 v4, v15, v17
	s_delay_alu instid0(VALU_DEP_2) | instskip(SKIP_2) | instid1(VALU_DEP_3)
	v_fma_f32 v16, -v16, v30, v19
	v_cvt_f32_f16_e32 v19, v11
	v_lshrrev_b32_e32 v11, 16, v11
	v_div_fmas_f32 v14, v16, v20, v30
	v_fma_f32 v16, -v21, v31, v22
	s_mov_b32 vcc_lo, s4
	s_delay_alu instid0(VALU_DEP_3) | instskip(NEXT) | instid1(VALU_DEP_3)
	v_cvt_f32_f16_e32 v11, v11
	v_div_fixup_f32 v13, v14, v13, 1.0
	s_delay_alu instid0(VALU_DEP_3) | instskip(SKIP_3) | instid1(VALU_DEP_3)
	v_div_fmas_f32 v12, v16, v24, v31
	v_sub_f32_e32 v16, v10, v5
	v_fma_f32 v14, -v25, v23, v26
	s_mov_b32 vcc_lo, s5
	v_div_fixup_f32 v12, v12, v18, 1.0
	s_delay_alu instid0(VALU_DEP_3) | instskip(NEXT) | instid1(VALU_DEP_3)
	v_fmac_f32_e32 v5, v13, v16
	v_div_fmas_f32 v14, v14, v27, v23
	v_add_co_u32 v0, vcc_lo, v0, s6
	v_add_co_ci_u32_e32 v1, vcc_lo, s7, v1, vcc_lo
	s_delay_alu instid0(VALU_DEP_4) | instskip(NEXT) | instid1(VALU_DEP_1)
	v_sub_f32_e32 v10, v10, v5
	v_dual_sub_f32 v13, v19, v5 :: v_dual_fmac_f32 v4, v16, v10
	s_delay_alu instid0(VALU_DEP_1) | instskip(SKIP_1) | instid1(VALU_DEP_2)
	v_fmac_f32_e32 v5, v12, v13
	v_div_fixup_f32 v12, v14, v6, 1.0
	v_sub_f32_e32 v10, v19, v5
	s_delay_alu instid0(VALU_DEP_1) | instskip(SKIP_1) | instid1(VALU_DEP_1)
	v_fmac_f32_e32 v4, v13, v10
	v_sub_f32_e32 v14, v11, v5
	v_fmac_f32_e32 v5, v12, v14
	s_delay_alu instid0(VALU_DEP_1) | instskip(NEXT) | instid1(VALU_DEP_1)
	v_sub_f32_e32 v10, v11, v5
	v_dual_fmac_f32 v4, v14, v10 :: v_dual_add_nc_u32 v9, s18, v9
	s_delay_alu instid0(VALU_DEP_1) | instskip(NEXT) | instid1(VALU_DEP_1)
	v_cmp_le_i32_e64 s3, s22, v9
	s_or_b32 s10, s3, s10
	s_delay_alu instid0(SALU_CYCLE_1)
	s_and_not1_b32 exec_lo, exec_lo, s10
	s_cbranch_execnz .LBB6_2
; %bb.3:
	s_or_b32 exec_lo, exec_lo, s10
.LBB6_4:
	s_delay_alu instid0(SALU_CYCLE_1) | instskip(SKIP_4) | instid1(VALU_DEP_3)
	s_or_b32 exec_lo, exec_lo, s9
	v_mbcnt_lo_u32_b32 v0, -1, 0
	v_mov_b32_e32 v11, 0
	s_mov_b32 s3, exec_lo
	v_mov_b32_e32 v10, 0
	v_cmp_gt_u32_e32 vcc_lo, 16, v0
	v_cndmask_b32_e64 v1, 0, 1, vcc_lo
	s_delay_alu instid0(VALU_DEP_1) | instskip(NEXT) | instid1(VALU_DEP_1)
	v_lshlrev_b32_e32 v1, 4, v1
	v_add_lshl_u32 v1, v1, v0, 2
	ds_bpermute_b32 v13, v1, v6
	ds_bpermute_b32 v12, v1, v5
	;; [unrolled: 1-line block ×3, first 2 shown]
	v_mov_b32_e32 v1, 0
	s_waitcnt lgkmcnt(2)
	v_add_f32_e32 v9, v6, v13
	s_delay_alu instid0(VALU_DEP_1)
	v_cmpx_lt_f32_e32 0, v9
	s_cbranch_execz .LBB6_6
; %bb.5:
	v_div_scale_f32 v10, null, v9, v9, 1.0
	v_div_scale_f32 v16, vcc_lo, 1.0, v9, 1.0
	s_delay_alu instid0(VALU_DEP_2) | instskip(SKIP_2) | instid1(VALU_DEP_1)
	v_rcp_f32_e32 v11, v10
	s_waitcnt_depctr 0xfff
	v_fma_f32 v15, -v10, v11, 1.0
	v_fmac_f32_e32 v11, v15, v11
	s_delay_alu instid0(VALU_DEP_1) | instskip(NEXT) | instid1(VALU_DEP_1)
	v_mul_f32_e32 v15, v16, v11
	v_fma_f32 v17, -v10, v15, v16
	s_delay_alu instid0(VALU_DEP_1) | instskip(NEXT) | instid1(VALU_DEP_1)
	v_fmac_f32_e32 v15, v17, v11
	v_fma_f32 v10, -v10, v15, v16
	s_delay_alu instid0(VALU_DEP_1) | instskip(NEXT) | instid1(VALU_DEP_1)
	v_div_fmas_f32 v10, v10, v11, v15
	v_div_fixup_f32 v11, v10, v9, 1.0
	s_waitcnt lgkmcnt(1)
	v_sub_f32_e32 v10, v5, v12
	s_delay_alu instid0(VALU_DEP_1) | instskip(SKIP_3) | instid1(VALU_DEP_1)
	v_mul_f32_e32 v15, v10, v10
	s_waitcnt lgkmcnt(0)
	v_add_f32_e32 v10, v4, v14
	v_mul_f32_e32 v6, v6, v11
	v_dual_mul_f32 v4, v11, v13 :: v_dual_mul_f32 v11, v5, v6
	v_mul_f32_e32 v5, v15, v13
	s_delay_alu instid0(VALU_DEP_1)
	v_dual_fmac_f32 v11, v4, v12 :: v_dual_fmac_f32 v10, v5, v6
.LBB6_6:
	s_or_b32 exec_lo, exec_lo, s3
	v_cmp_gt_u32_e32 vcc_lo, 24, v0
	v_mov_b32_e32 v6, 0
	s_mov_b32 s3, exec_lo
	v_cndmask_b32_e64 v4, 0, 1, vcc_lo
	s_delay_alu instid0(VALU_DEP_1) | instskip(NEXT) | instid1(VALU_DEP_1)
	v_lshlrev_b32_e32 v4, 3, v4
	v_add_lshl_u32 v4, v4, v0, 2
	s_waitcnt lgkmcnt(1)
	ds_bpermute_b32 v12, v4, v9
	ds_bpermute_b32 v5, v4, v11
	;; [unrolled: 1-line block ×3, first 2 shown]
	s_waitcnt lgkmcnt(2)
	v_add_f32_e32 v4, v9, v12
	s_delay_alu instid0(VALU_DEP_1)
	v_cmpx_lt_f32_e32 0, v4
	s_cbranch_execz .LBB6_8
; %bb.7:
	v_div_scale_f32 v1, null, v4, v4, 1.0
	v_div_scale_f32 v15, vcc_lo, 1.0, v4, 1.0
	s_delay_alu instid0(VALU_DEP_2) | instskip(SKIP_2) | instid1(VALU_DEP_1)
	v_rcp_f32_e32 v6, v1
	s_waitcnt_depctr 0xfff
	v_fma_f32 v14, -v1, v6, 1.0
	v_fmac_f32_e32 v6, v14, v6
	s_delay_alu instid0(VALU_DEP_1) | instskip(NEXT) | instid1(VALU_DEP_1)
	v_mul_f32_e32 v14, v15, v6
	v_fma_f32 v16, -v1, v14, v15
	s_delay_alu instid0(VALU_DEP_1) | instskip(NEXT) | instid1(VALU_DEP_1)
	v_fmac_f32_e32 v14, v16, v6
	v_fma_f32 v1, -v1, v14, v15
	s_delay_alu instid0(VALU_DEP_1) | instskip(NEXT) | instid1(VALU_DEP_1)
	v_div_fmas_f32 v1, v1, v6, v14
	v_div_fixup_f32 v6, v1, v4, 1.0
	s_waitcnt lgkmcnt(1)
	v_sub_f32_e32 v1, v11, v5
	s_delay_alu instid0(VALU_DEP_2) | instskip(NEXT) | instid1(VALU_DEP_2)
	v_mul_f32_e32 v9, v9, v6
	v_mul_f32_e32 v14, v1, v1
	s_waitcnt lgkmcnt(0)
	v_add_f32_e32 v1, v10, v13
	v_mul_f32_e32 v10, v6, v12
	s_delay_alu instid0(VALU_DEP_3) | instskip(NEXT) | instid1(VALU_DEP_1)
	v_dual_mul_f32 v6, v11, v9 :: v_dual_mul_f32 v11, v14, v12
	v_fmac_f32_e32 v6, v10, v5
	s_delay_alu instid0(VALU_DEP_2)
	v_fmac_f32_e32 v1, v11, v9
.LBB6_8:
	s_or_b32 exec_lo, exec_lo, s3
	v_cmp_gt_u32_e32 vcc_lo, 28, v0
	v_mov_b32_e32 v9, 0
	s_mov_b32 s3, exec_lo
	v_mov_b32_e32 v10, 0
	v_mov_b32_e32 v12, 0
	s_waitcnt lgkmcnt(1)
	v_cndmask_b32_e64 v5, 0, 1, vcc_lo
	s_delay_alu instid0(VALU_DEP_1) | instskip(NEXT) | instid1(VALU_DEP_1)
	v_lshlrev_b32_e32 v5, 2, v5
	v_add_lshl_u32 v5, v5, v0, 2
	s_waitcnt lgkmcnt(0)
	ds_bpermute_b32 v13, v5, v4
	ds_bpermute_b32 v11, v5, v6
	;; [unrolled: 1-line block ×3, first 2 shown]
	s_waitcnt lgkmcnt(2)
	v_add_f32_e32 v5, v4, v13
	s_delay_alu instid0(VALU_DEP_1)
	v_cmpx_lt_f32_e32 0, v5
	s_cbranch_execz .LBB6_10
; %bb.9:
	v_div_scale_f32 v10, null, v5, v5, 1.0
	v_div_scale_f32 v16, vcc_lo, 1.0, v5, 1.0
	s_delay_alu instid0(VALU_DEP_2) | instskip(SKIP_2) | instid1(VALU_DEP_1)
	v_rcp_f32_e32 v12, v10
	s_waitcnt_depctr 0xfff
	v_fma_f32 v15, -v10, v12, 1.0
	v_fmac_f32_e32 v12, v15, v12
	s_delay_alu instid0(VALU_DEP_1) | instskip(NEXT) | instid1(VALU_DEP_1)
	v_mul_f32_e32 v15, v16, v12
	v_fma_f32 v17, -v10, v15, v16
	s_delay_alu instid0(VALU_DEP_1) | instskip(NEXT) | instid1(VALU_DEP_1)
	v_fmac_f32_e32 v15, v17, v12
	v_fma_f32 v10, -v10, v15, v16
	s_delay_alu instid0(VALU_DEP_1) | instskip(NEXT) | instid1(VALU_DEP_1)
	v_div_fmas_f32 v10, v10, v12, v15
	v_div_fixup_f32 v12, v10, v5, 1.0
	s_waitcnt lgkmcnt(1)
	v_sub_f32_e32 v10, v6, v11
	s_delay_alu instid0(VALU_DEP_1) | instskip(SKIP_2) | instid1(VALU_DEP_2)
	v_dual_mul_f32 v4, v4, v12 :: v_dual_mul_f32 v15, v10, v10
	s_waitcnt lgkmcnt(0)
	v_dual_add_f32 v10, v1, v14 :: v_dual_mul_f32 v1, v12, v13
	v_mul_f32_e32 v12, v6, v4
	s_delay_alu instid0(VALU_DEP_3) | instskip(NEXT) | instid1(VALU_DEP_2)
	v_mul_f32_e32 v6, v15, v13
	v_fmac_f32_e32 v12, v1, v11
	s_delay_alu instid0(VALU_DEP_2)
	v_fmac_f32_e32 v10, v6, v4
.LBB6_10:
	s_or_b32 exec_lo, exec_lo, s3
	v_cmp_gt_u32_e32 vcc_lo, 30, v0
	s_waitcnt lgkmcnt(1)
	v_mov_b32_e32 v11, 0
	s_mov_b32 s3, exec_lo
	v_cndmask_b32_e64 v1, 0, 1, vcc_lo
	s_delay_alu instid0(VALU_DEP_1) | instskip(NEXT) | instid1(VALU_DEP_1)
	v_lshlrev_b32_e32 v1, 1, v1
	v_add_lshl_u32 v1, v1, v0, 2
	ds_bpermute_b32 v6, v1, v5
	ds_bpermute_b32 v4, v1, v12
	ds_bpermute_b32 v13, v1, v10
	s_waitcnt lgkmcnt(2)
	v_add_f32_e32 v1, v5, v6
	s_delay_alu instid0(VALU_DEP_1)
	v_cmpx_lt_f32_e32 0, v1
	s_cbranch_execz .LBB6_12
; %bb.11:
	v_div_scale_f32 v9, null, v1, v1, 1.0
	v_div_scale_f32 v15, vcc_lo, 1.0, v1, 1.0
	s_delay_alu instid0(VALU_DEP_2) | instskip(SKIP_2) | instid1(VALU_DEP_1)
	v_rcp_f32_e32 v11, v9
	s_waitcnt_depctr 0xfff
	v_fma_f32 v14, -v9, v11, 1.0
	v_fmac_f32_e32 v11, v14, v11
	s_delay_alu instid0(VALU_DEP_1) | instskip(NEXT) | instid1(VALU_DEP_1)
	v_mul_f32_e32 v14, v15, v11
	v_fma_f32 v16, -v9, v14, v15
	s_delay_alu instid0(VALU_DEP_1) | instskip(NEXT) | instid1(VALU_DEP_1)
	v_fmac_f32_e32 v14, v16, v11
	v_fma_f32 v9, -v9, v14, v15
	s_delay_alu instid0(VALU_DEP_1) | instskip(NEXT) | instid1(VALU_DEP_1)
	v_div_fmas_f32 v9, v9, v11, v14
	v_div_fixup_f32 v11, v9, v1, 1.0
	s_waitcnt lgkmcnt(1)
	v_sub_f32_e32 v9, v12, v4
	s_delay_alu instid0(VALU_DEP_2) | instskip(NEXT) | instid1(VALU_DEP_2)
	v_mul_f32_e32 v5, v5, v11
	v_mul_f32_e32 v14, v9, v9
	s_waitcnt lgkmcnt(0)
	v_dual_add_f32 v9, v10, v13 :: v_dual_mul_f32 v10, v11, v6
	s_delay_alu instid0(VALU_DEP_2) | instskip(NEXT) | instid1(VALU_DEP_1)
	v_dual_mul_f32 v11, v12, v5 :: v_dual_mul_f32 v6, v14, v6
	v_fmac_f32_e32 v11, v10, v4
	s_delay_alu instid0(VALU_DEP_2)
	v_fmac_f32_e32 v9, v6, v5
.LBB6_12:
	s_or_b32 exec_lo, exec_lo, s3
	v_cmp_ne_u32_e32 vcc_lo, 31, v0
	v_mov_b32_e32 v6, 0
	s_mov_b32 s3, exec_lo
	v_mov_b32_e32 v5, 0
	v_add_co_ci_u32_e32 v0, vcc_lo, 0, v0, vcc_lo
	s_waitcnt lgkmcnt(1)
	s_delay_alu instid0(VALU_DEP_1)
	v_lshlrev_b32_e32 v4, 2, v0
	ds_bpermute_b32 v10, v4, v1
	ds_bpermute_b32 v0, v4, v11
	;; [unrolled: 1-line block ×3, first 2 shown]
	s_waitcnt lgkmcnt(2)
	v_add_f32_e32 v4, v1, v10
	s_delay_alu instid0(VALU_DEP_1)
	v_cmpx_lt_f32_e32 0, v4
	s_cbranch_execz .LBB6_14
; %bb.13:
	v_div_scale_f32 v5, null, v4, v4, 1.0
	v_div_scale_f32 v14, vcc_lo, 1.0, v4, 1.0
	s_delay_alu instid0(VALU_DEP_2) | instskip(SKIP_2) | instid1(VALU_DEP_1)
	v_rcp_f32_e32 v6, v5
	s_waitcnt_depctr 0xfff
	v_fma_f32 v13, -v5, v6, 1.0
	v_fmac_f32_e32 v6, v13, v6
	s_delay_alu instid0(VALU_DEP_1) | instskip(NEXT) | instid1(VALU_DEP_1)
	v_mul_f32_e32 v13, v14, v6
	v_fma_f32 v15, -v5, v13, v14
	s_delay_alu instid0(VALU_DEP_1) | instskip(NEXT) | instid1(VALU_DEP_1)
	v_fmac_f32_e32 v13, v15, v6
	v_fma_f32 v5, -v5, v13, v14
	s_delay_alu instid0(VALU_DEP_1) | instskip(SKIP_2) | instid1(VALU_DEP_2)
	v_div_fmas_f32 v5, v5, v6, v13
	s_waitcnt lgkmcnt(1)
	v_sub_f32_e32 v6, v11, v0
	v_div_fixup_f32 v5, v5, v4, 1.0
	s_waitcnt lgkmcnt(0)
	s_delay_alu instid0(VALU_DEP_2) | instskip(NEXT) | instid1(VALU_DEP_2)
	v_dual_mul_f32 v13, v6, v6 :: v_dual_add_f32 v6, v9, v12
	v_mul_f32_e32 v1, v1, v5
	v_mul_f32_e32 v9, v5, v10
	s_delay_alu instid0(VALU_DEP_2) | instskip(NEXT) | instid1(VALU_DEP_1)
	v_dual_mul_f32 v10, v13, v10 :: v_dual_mul_f32 v5, v11, v1
	v_dual_fmac_f32 v6, v10, v1 :: v_dual_fmac_f32 v5, v9, v0
.LBB6_14:
	s_or_b32 exec_lo, exec_lo, s3
	s_cmp_lt_u32 s8, 2
	s_cbranch_scc0 .LBB6_16
; %bb.15:
	s_waitcnt lgkmcnt(1)
	v_mov_b32_e32 v0, 0
	v_cvt_f32_i32_e32 v9, s12
	ds_bpermute_b32 v1, v0, v6
	s_waitcnt lgkmcnt(0)
	v_div_scale_f32 v10, null, v9, v9, v1
	s_delay_alu instid0(VALU_DEP_1) | instskip(SKIP_2) | instid1(VALU_DEP_1)
	v_rcp_f32_e32 v11, v10
	s_waitcnt_depctr 0xfff
	v_fma_f32 v12, -v10, v11, 1.0
	v_fmac_f32_e32 v11, v12, v11
	v_div_scale_f32 v12, vcc_lo, v1, v9, v1
	ds_bpermute_b32 v0, v0, v5
	v_mul_f32_e32 v13, v12, v11
	s_delay_alu instid0(VALU_DEP_1) | instskip(NEXT) | instid1(VALU_DEP_1)
	v_fma_f32 v14, -v10, v13, v12
	v_fmac_f32_e32 v13, v14, v11
	s_delay_alu instid0(VALU_DEP_1) | instskip(NEXT) | instid1(VALU_DEP_1)
	v_fma_f32 v10, -v10, v13, v12
	v_div_fmas_f32 v10, v10, v11, v13
	s_delay_alu instid0(VALU_DEP_1)
	v_div_fixup_f32 v1, v10, v9, v1
	s_cbranch_execz .LBB6_17
	s_branch .LBB6_29
.LBB6_16:
                                        ; implicit-def: $vgpr1
.LBB6_17:
	s_lshl_b32 s3, s8, 2
	v_lshl_add_u32 v1, v3, 3, 0
	s_add_i32 s5, s3, 0
	v_cmp_eq_u32_e64 s3, 0, v2
	s_waitcnt lgkmcnt(0)
	v_lshl_add_u32 v0, v3, 2, s5
.LBB6_18:                               ; =>This Inner Loop Header: Depth=1
	s_lshr_b32 s6, s8, 1
	s_and_b32 s4, s8, 0xfffe
	v_cmp_le_u32_e32 vcc_lo, s6, v3
	v_cmp_gt_u32_e64 s4, s4, v3
	s_delay_alu instid0(VALU_DEP_1) | instskip(NEXT) | instid1(SALU_CYCLE_1)
	s_and_b32 s4, vcc_lo, s4
	s_and_b32 s7, s3, s4
	s_delay_alu instid0(SALU_CYCLE_1)
	s_and_saveexec_b32 s4, s7
	s_cbranch_execz .LBB6_20
; %bb.19:                               ;   in Loop: Header=BB6_18 Depth=1
	v_subrev_nc_u32_e32 v9, s6, v3
	s_delay_alu instid0(VALU_DEP_1)
	v_lshl_add_u32 v10, v9, 3, 0
	v_lshl_add_u32 v9, v9, 2, s5
	ds_store_2addr_b32 v10, v5, v6 offset1:1
	ds_store_b32 v9, v4
.LBB6_20:                               ;   in Loop: Header=BB6_18 Depth=1
	s_or_b32 exec_lo, exec_lo, s4
	v_cmp_gt_u32_e32 vcc_lo, s6, v3
	s_waitcnt lgkmcnt(0)
	s_barrier
	buffer_gl0_inv
	s_and_b32 s7, s3, vcc_lo
	s_delay_alu instid0(SALU_CYCLE_1)
	s_and_saveexec_b32 s4, s7
	s_cbranch_execz .LBB6_24
; %bb.21:                               ;   in Loop: Header=BB6_18 Depth=1
	ds_load_b32 v10, v0
	v_mov_b32_e32 v11, 0
	s_mov_b32 s7, exec_lo
	s_waitcnt lgkmcnt(0)
	v_dual_mov_b32 v12, 0 :: v_dual_add_f32 v9, v4, v10
	s_delay_alu instid0(VALU_DEP_1)
	v_cmpx_lt_f32_e32 0, v9
	s_cbranch_execz .LBB6_23
; %bb.22:                               ;   in Loop: Header=BB6_18 Depth=1
	v_div_scale_f32 v11, null, v9, v9, 1.0
	v_div_scale_f32 v15, vcc_lo, 1.0, v9, 1.0
	s_delay_alu instid0(VALU_DEP_2) | instskip(SKIP_2) | instid1(VALU_DEP_1)
	v_rcp_f32_e32 v14, v11
	s_waitcnt_depctr 0xfff
	v_fma_f32 v12, -v11, v14, 1.0
	v_fmac_f32_e32 v14, v12, v14
	ds_load_2addr_b32 v[12:13], v1 offset1:1
	v_mul_f32_e32 v16, v15, v14
	s_delay_alu instid0(VALU_DEP_1) | instskip(NEXT) | instid1(VALU_DEP_1)
	v_fma_f32 v17, -v11, v16, v15
	v_fmac_f32_e32 v16, v17, v14
	s_delay_alu instid0(VALU_DEP_1) | instskip(NEXT) | instid1(VALU_DEP_1)
	v_fma_f32 v11, -v11, v16, v15
	v_div_fmas_f32 v11, v11, v14, v16
	s_delay_alu instid0(VALU_DEP_1) | instskip(SKIP_2) | instid1(VALU_DEP_1)
	v_div_fixup_f32 v14, v11, v9, 1.0
	s_waitcnt lgkmcnt(0)
	v_sub_f32_e32 v11, v5, v12
	v_dual_mul_f32 v15, v10, v14 :: v_dual_mul_f32 v16, v11, v11
	v_dual_add_f32 v11, v6, v13 :: v_dual_mul_f32 v4, v4, v14
	s_delay_alu instid0(VALU_DEP_2) | instskip(NEXT) | instid1(VALU_DEP_1)
	v_mul_f32_e32 v6, v10, v16
	v_dual_mul_f32 v12, v15, v12 :: v_dual_fmac_f32 v11, v4, v6
	s_delay_alu instid0(VALU_DEP_1)
	v_fmac_f32_e32 v12, v5, v4
.LBB6_23:                               ;   in Loop: Header=BB6_18 Depth=1
	s_or_b32 exec_lo, exec_lo, s7
	s_delay_alu instid0(VALU_DEP_1)
	v_dual_mov_b32 v5, v12 :: v_dual_mov_b32 v6, v11
	v_mov_b32_e32 v4, v9
.LBB6_24:                               ;   in Loop: Header=BB6_18 Depth=1
	s_or_b32 exec_lo, exec_lo, s4
	s_cmp_lt_u32 s8, 4
	s_barrier
	buffer_gl0_inv
	s_cbranch_scc1 .LBB6_26
; %bb.25:                               ;   in Loop: Header=BB6_18 Depth=1
	s_mov_b32 s8, s6
	s_branch .LBB6_18
.LBB6_26:
	v_or_b32_e32 v0, v2, v3
	s_mov_b32 s3, exec_lo
	s_delay_alu instid0(VALU_DEP_1)
	v_cmpx_eq_u32_e32 0, v0
	s_cbranch_execz .LBB6_28
; %bb.27:
	v_cvt_f32_i32_e32 v0, s12
	s_delay_alu instid0(VALU_DEP_1) | instskip(SKIP_1) | instid1(VALU_DEP_2)
	v_div_scale_f32 v1, null, v0, v0, v6
	v_div_scale_f32 v4, vcc_lo, v6, v0, v6
	v_rcp_f32_e32 v2, v1
	s_waitcnt_depctr 0xfff
	v_fma_f32 v3, -v1, v2, 1.0
	s_delay_alu instid0(VALU_DEP_1) | instskip(NEXT) | instid1(VALU_DEP_1)
	v_fmac_f32_e32 v2, v3, v2
	v_mul_f32_e32 v3, v4, v2
	s_delay_alu instid0(VALU_DEP_1) | instskip(NEXT) | instid1(VALU_DEP_1)
	v_fma_f32 v9, -v1, v3, v4
	v_fmac_f32_e32 v3, v9, v2
	s_delay_alu instid0(VALU_DEP_1) | instskip(NEXT) | instid1(VALU_DEP_1)
	v_fma_f32 v1, -v1, v3, v4
	v_div_fmas_f32 v1, v1, v2, v3
	s_delay_alu instid0(VALU_DEP_1)
	v_div_fixup_f32 v0, v1, v0, v6
	v_mov_b32_e32 v1, 0
	ds_store_2addr_b32 v1, v5, v0 offset1:1
.LBB6_28:
	s_or_b32 exec_lo, exec_lo, s3
	v_mov_b32_e32 v0, 0
	s_waitcnt lgkmcnt(0)
	s_barrier
	buffer_gl0_inv
	ds_load_2addr_b32 v[0:1], v0 offset1:1
.LBB6_29:
	s_waitcnt lgkmcnt(0)
	s_delay_alu instid0(VALU_DEP_1) | instskip(SKIP_3) | instid1(VALU_DEP_1)
	v_add_f32_e32 v1, s13, v1
	s_clause 0x1
	s_load_b256 s[4:11], s[0:1], 0x10
	s_load_b64 s[0:1], s[0:1], 0x30
	v_mul_f32_e32 v2, 0x4b800000, v1
	v_cmp_gt_f32_e32 vcc_lo, 0x800000, v1
	s_delay_alu instid0(VALU_DEP_2) | instskip(NEXT) | instid1(VALU_DEP_1)
	v_cndmask_b32_e32 v1, v1, v2, vcc_lo
	v_rsq_f32_e32 v1, v1
	s_waitcnt_depctr 0xfff
	v_mul_f32_e32 v2, 0x45800000, v1
	s_delay_alu instid0(VALU_DEP_1)
	v_cndmask_b32_e32 v9, v1, v2, vcc_lo
	s_and_saveexec_b32 s12, s2
	s_cbranch_execz .LBB6_44
; %bb.30:
	s_waitcnt lgkmcnt(0)
	s_cmp_eq_u64 s[4:5], 0
	v_dual_mov_b32 v11, v9 :: v_dual_mov_b32 v12, v0
	s_cselect_b32 s13, -1, 0
	s_cmp_eq_u64 s[6:7], 0
	v_dual_mov_b32 v13, 0 :: v_dual_mov_b32 v14, v7
	s_cselect_b32 s2, -1, 0
	s_lshl_b64 s[24:25], s[20:21], 1
	v_cndmask_b32_e64 v10, 0, 1, s2
	s_add_u32 s20, s0, s24
	s_addc_u32 s1, s1, s25
	s_ashr_i32 s19, s18, 31
	s_or_b32 s21, s13, s2
	s_lshl_b64 s[2:3], s[18:19], 3
	s_add_u32 s0, s24, s14
	s_addc_u32 s15, s25, s15
	s_add_u32 s14, s0, 4
	s_addc_u32 s15, s15, 0
	;; [unrolled: 2-line block ×3, first 2 shown]
	s_mov_b32 s19, 0
	s_branch .LBB6_32
.LBB6_31:                               ;   in Loop: Header=BB6_32 Depth=1
	v_add_nc_u32_e32 v14, s18, v14
	s_delay_alu instid0(VALU_DEP_3)
	v_cvt_f16_f32_e32 v6, v6
	v_cvt_f16_f32_e32 v5, v5
	v_cvt_f16_f32_e32 v4, v4
	v_cvt_f16_f32_e32 v3, v3
	s_waitcnt vmcnt(0)
	v_add_co_u32 v1, vcc_lo, s20, v8
	v_add_co_ci_u32_e32 v2, vcc_lo, s1, v13, vcc_lo
	v_cmp_le_i32_e32 vcc_lo, s22, v14
	v_add_co_u32 v8, s0, v8, s2
	v_pack_b32_f16 v4, v3, v4
	v_pack_b32_f16 v3, v5, v6
	v_add_co_ci_u32_e64 v13, s0, s3, v13, s0
	s_or_b32 s19, vcc_lo, s19
	global_store_b64 v[1:2], v[3:4], off
	s_and_not1_b32 exec_lo, exec_lo, s19
	s_cbranch_execz .LBB6_44
.LBB6_32:                               ; =>This Inner Loop Header: Depth=1
	v_add_co_u32 v1, vcc_lo, s14, v8
	v_add_co_ci_u32_e32 v2, vcc_lo, s15, v13, vcc_lo
	s_and_b32 vcc_lo, exec_lo, s21
	global_load_b64 v[1:2], v[1:2], off offset:-4
	s_cbranch_vccz .LBB6_36
; %bb.33:                               ;   in Loop: Header=BB6_32 Depth=1
	s_and_b32 vcc_lo, exec_lo, s13
	s_cbranch_vccz .LBB6_37
; %bb.34:                               ;   in Loop: Header=BB6_32 Depth=1
	v_cmp_ne_u32_e32 vcc_lo, 1, v10
	s_cbranch_vccnz .LBB6_38
; %bb.35:                               ;   in Loop: Header=BB6_32 Depth=1
	s_waitcnt vmcnt(0)
	v_lshrrev_b32_e32 v3, 16, v1
	v_lshrrev_b32_e32 v4, 16, v2
	v_cvt_f32_f16_e32 v5, v1
	v_cvt_f32_f16_e32 v6, v2
	s_delay_alu instid0(VALU_DEP_4) | instskip(NEXT) | instid1(VALU_DEP_4)
	v_cvt_f32_f16_e32 v3, v3
	v_cvt_f32_f16_e32 v4, v4
	s_delay_alu instid0(VALU_DEP_2) | instskip(SKIP_2) | instid1(VALU_DEP_1)
	v_sub_f32_e32 v15, v3, v12
	v_sub_f32_e32 v5, v5, v0
	;; [unrolled: 1-line block ×3, first 2 shown]
	v_dual_sub_f32 v4, v4, v12 :: v_dual_mul_f32 v3, v9, v6
	s_delay_alu instid0(VALU_DEP_3) | instskip(NEXT) | instid1(VALU_DEP_2)
	v_dual_mul_f32 v6, v11, v15 :: v_dual_mul_f32 v5, v9, v5
	v_mul_f32_e32 v4, v11, v4
	s_cbranch_execz .LBB6_39
	s_branch .LBB6_40
.LBB6_36:                               ;   in Loop: Header=BB6_32 Depth=1
                                        ; implicit-def: $vgpr3_vgpr4
                                        ; implicit-def: $vgpr5_vgpr6
	s_branch .LBB6_43
.LBB6_37:                               ;   in Loop: Header=BB6_32 Depth=1
                                        ; implicit-def: $vgpr3_vgpr4
                                        ; implicit-def: $vgpr5_vgpr6
	s_branch .LBB6_41
.LBB6_38:                               ;   in Loop: Header=BB6_32 Depth=1
                                        ; implicit-def: $vgpr3_vgpr4
                                        ; implicit-def: $vgpr5_vgpr6
.LBB6_39:                               ;   in Loop: Header=BB6_32 Depth=1
	v_add_co_u32 v3, vcc_lo, s6, v8
	v_add_co_ci_u32_e32 v4, vcc_lo, s7, v13, vcc_lo
	s_waitcnt vmcnt(0)
	v_cvt_f32_f16_e32 v5, v1
	v_cvt_f32_f16_e32 v6, v2
	global_load_b64 v[15:16], v[3:4], off
	v_lshrrev_b32_e32 v3, 16, v1
	v_lshrrev_b32_e32 v4, 16, v2
	v_sub_f32_e32 v5, v5, v0
	v_sub_f32_e32 v17, v6, v0
	s_delay_alu instid0(VALU_DEP_4) | instskip(NEXT) | instid1(VALU_DEP_4)
	v_cvt_f32_f16_e32 v3, v3
	v_cvt_f32_f16_e32 v4, v4
	s_delay_alu instid0(VALU_DEP_2) | instskip(NEXT) | instid1(VALU_DEP_2)
	v_sub_f32_e32 v3, v3, v12
	v_sub_f32_e32 v4, v4, v12
	s_waitcnt vmcnt(0)
	s_delay_alu instid0(VALU_DEP_2) | instskip(SKIP_1) | instid1(VALU_DEP_3)
	v_fma_mix_f32 v6, v11, v3, v15 op_sel:[0,0,1] op_sel_hi:[0,0,1]
	v_fma_mix_f32 v5, v9, v5, v15 op_sel_hi:[0,0,1]
	v_fma_mix_f32 v4, v11, v4, v16 op_sel:[0,0,1] op_sel_hi:[0,0,1]
	v_fma_mix_f32 v3, v9, v17, v16 op_sel_hi:[0,0,1]
.LBB6_40:                               ;   in Loop: Header=BB6_32 Depth=1
	s_cbranch_execnz .LBB6_42
.LBB6_41:                               ;   in Loop: Header=BB6_32 Depth=1
	v_add_co_u32 v3, vcc_lo, s4, v8
	v_add_co_ci_u32_e32 v4, vcc_lo, s5, v13, vcc_lo
	s_waitcnt vmcnt(0)
	v_lshrrev_b32_e32 v15, 16, v2
	v_lshrrev_b32_e32 v5, 16, v1
	v_cvt_f32_f16_e32 v16, v2
	global_load_b64 v[3:4], v[3:4], off offset:-4
	v_cvt_f32_f16_e32 v6, v1
	v_cvt_f32_f16_e32 v15, v15
	;; [unrolled: 1-line block ×3, first 2 shown]
	s_delay_alu instid0(VALU_DEP_2) | instskip(NEXT) | instid1(VALU_DEP_1)
	v_sub_f32_e32 v15, v15, v12
	v_dual_sub_f32 v16, v16, v0 :: v_dual_mul_f32 v15, v11, v15
	s_waitcnt vmcnt(0)
	v_lshrrev_b32_e32 v18, 16, v4
	v_cvt_f32_f16_e32 v4, v4
	s_delay_alu instid0(VALU_DEP_2) | instskip(SKIP_1) | instid1(VALU_DEP_1)
	v_cvt_f32_f16_e32 v18, v18
	v_sub_f32_e32 v5, v5, v12
	v_dual_sub_f32 v6, v6, v0 :: v_dual_mul_f32 v17, v11, v5
	v_lshrrev_b32_e32 v5, 16, v3
	v_cvt_f32_f16_e32 v3, v3
	v_mul_f32_e32 v16, v9, v16
	s_delay_alu instid0(VALU_DEP_4) | instskip(NEXT) | instid1(VALU_DEP_4)
	v_mul_f32_e32 v6, v9, v6
	v_cvt_f32_f16_e32 v19, v5
	s_delay_alu instid0(VALU_DEP_2) | instskip(NEXT) | instid1(VALU_DEP_2)
	v_mul_f32_e32 v5, v6, v3
	v_dual_mul_f32 v3, v16, v4 :: v_dual_mul_f32 v6, v17, v19
	v_mul_f32_e32 v4, v15, v18
.LBB6_42:                               ;   in Loop: Header=BB6_32 Depth=1
	s_cbranch_execnz .LBB6_31
.LBB6_43:                               ;   in Loop: Header=BB6_32 Depth=1
	v_add_co_u32 v3, vcc_lo, s4, v8
	v_add_co_ci_u32_e32 v4, vcc_lo, s5, v13, vcc_lo
	v_add_co_u32 v5, vcc_lo, s6, v8
	v_add_co_ci_u32_e32 v6, vcc_lo, s7, v13, vcc_lo
	global_load_b64 v[3:4], v[3:4], off offset:-4
	global_load_b64 v[15:16], v[5:6], off
	s_waitcnt vmcnt(2)
	v_lshrrev_b32_e32 v5, 16, v1
	v_lshrrev_b32_e32 v6, 16, v2
	v_cvt_f32_f16_e32 v1, v1
	v_cvt_f32_f16_e32 v2, v2
	s_delay_alu instid0(VALU_DEP_4) | instskip(NEXT) | instid1(VALU_DEP_4)
	v_cvt_f32_f16_e32 v5, v5
	v_cvt_f32_f16_e32 v6, v6
	s_delay_alu instid0(VALU_DEP_2) | instskip(NEXT) | instid1(VALU_DEP_1)
	v_sub_f32_e32 v5, v5, v12
	v_dual_sub_f32 v6, v6, v12 :: v_dual_mul_f32 v17, v11, v5
	s_delay_alu instid0(VALU_DEP_1) | instskip(NEXT) | instid1(VALU_DEP_1)
	v_dual_sub_f32 v1, v1, v0 :: v_dual_mul_f32 v18, v11, v6
	v_dual_sub_f32 v2, v2, v0 :: v_dual_mul_f32 v1, v9, v1
	s_delay_alu instid0(VALU_DEP_1) | instskip(SKIP_1) | instid1(VALU_DEP_2)
	v_mul_f32_e32 v2, v9, v2
	s_waitcnt vmcnt(0)
	v_fma_mix_f32 v5, v1, v3, v15 op_sel_hi:[0,1,1]
	v_fma_mix_f32 v6, v17, v3, v15 op_sel:[0,1,1] op_sel_hi:[0,1,1]
	s_delay_alu instid0(VALU_DEP_3)
	v_fma_mix_f32 v3, v2, v4, v16 op_sel_hi:[0,1,1]
	v_fma_mix_f32 v4, v18, v4, v16 op_sel:[0,1,1] op_sel_hi:[0,1,1]
	s_branch .LBB6_31
.LBB6_44:
	s_or_b32 exec_lo, exec_lo, s12
	s_waitcnt lgkmcnt(0)
	s_mov_b32 s0, exec_lo
	v_cmpx_eq_u32_e32 0, v7
; %bb.45:
	s_lshl_b64 s[0:1], s[16:17], 2
	v_mov_b32_e32 v1, 0
	s_add_u32 s2, s8, s0
	s_addc_u32 s3, s9, s1
	s_add_u32 s0, s10, s0
	s_addc_u32 s1, s11, s1
	s_clause 0x1
	global_store_b32 v1, v0, s[2:3]
	global_store_b32 v1, v9, s[0:1]
; %bb.46:
	s_nop 0
	s_sendmsg sendmsg(MSG_DEALLOC_VGPRS)
	s_endpgm
	.section	.rodata,"a",@progbits
	.p2align	6, 0x0
	.amdhsa_kernel _ZN2at6native12_GLOBAL__N_128vectorized_layer_norm_kernelIN3c104HalfEfLb0EEEviT0_PKT_S8_S8_PS5_S9_PS6_
		.amdhsa_group_segment_fixed_size 0
		.amdhsa_private_segment_fixed_size 0
		.amdhsa_kernarg_size 312
		.amdhsa_user_sgpr_count 15
		.amdhsa_user_sgpr_dispatch_ptr 0
		.amdhsa_user_sgpr_queue_ptr 0
		.amdhsa_user_sgpr_kernarg_segment_ptr 1
		.amdhsa_user_sgpr_dispatch_id 0
		.amdhsa_user_sgpr_private_segment_size 0
		.amdhsa_wavefront_size32 1
		.amdhsa_uses_dynamic_stack 0
		.amdhsa_enable_private_segment 0
		.amdhsa_system_sgpr_workgroup_id_x 1
		.amdhsa_system_sgpr_workgroup_id_y 0
		.amdhsa_system_sgpr_workgroup_id_z 0
		.amdhsa_system_sgpr_workgroup_info 0
		.amdhsa_system_vgpr_workitem_id 1
		.amdhsa_next_free_vgpr 32
		.amdhsa_next_free_sgpr 26
		.amdhsa_reserve_vcc 1
		.amdhsa_float_round_mode_32 0
		.amdhsa_float_round_mode_16_64 0
		.amdhsa_float_denorm_mode_32 3
		.amdhsa_float_denorm_mode_16_64 3
		.amdhsa_dx10_clamp 1
		.amdhsa_ieee_mode 1
		.amdhsa_fp16_overflow 0
		.amdhsa_workgroup_processor_mode 1
		.amdhsa_memory_ordered 1
		.amdhsa_forward_progress 0
		.amdhsa_shared_vgpr_count 0
		.amdhsa_exception_fp_ieee_invalid_op 0
		.amdhsa_exception_fp_denorm_src 0
		.amdhsa_exception_fp_ieee_div_zero 0
		.amdhsa_exception_fp_ieee_overflow 0
		.amdhsa_exception_fp_ieee_underflow 0
		.amdhsa_exception_fp_ieee_inexact 0
		.amdhsa_exception_int_div_zero 0
	.end_amdhsa_kernel
	.section	.text._ZN2at6native12_GLOBAL__N_128vectorized_layer_norm_kernelIN3c104HalfEfLb0EEEviT0_PKT_S8_S8_PS5_S9_PS6_,"axG",@progbits,_ZN2at6native12_GLOBAL__N_128vectorized_layer_norm_kernelIN3c104HalfEfLb0EEEviT0_PKT_S8_S8_PS5_S9_PS6_,comdat
.Lfunc_end6:
	.size	_ZN2at6native12_GLOBAL__N_128vectorized_layer_norm_kernelIN3c104HalfEfLb0EEEviT0_PKT_S8_S8_PS5_S9_PS6_, .Lfunc_end6-_ZN2at6native12_GLOBAL__N_128vectorized_layer_norm_kernelIN3c104HalfEfLb0EEEviT0_PKT_S8_S8_PS5_S9_PS6_
                                        ; -- End function
	.section	.AMDGPU.csdata,"",@progbits
; Kernel info:
; codeLenInByte = 3592
; NumSgprs: 28
; NumVgprs: 32
; ScratchSize: 0
; MemoryBound: 0
; FloatMode: 240
; IeeeMode: 1
; LDSByteSize: 0 bytes/workgroup (compile time only)
; SGPRBlocks: 3
; VGPRBlocks: 3
; NumSGPRsForWavesPerEU: 28
; NumVGPRsForWavesPerEU: 32
; Occupancy: 16
; WaveLimiterHint : 0
; COMPUTE_PGM_RSRC2:SCRATCH_EN: 0
; COMPUTE_PGM_RSRC2:USER_SGPR: 15
; COMPUTE_PGM_RSRC2:TRAP_HANDLER: 0
; COMPUTE_PGM_RSRC2:TGID_X_EN: 1
; COMPUTE_PGM_RSRC2:TGID_Y_EN: 0
; COMPUTE_PGM_RSRC2:TGID_Z_EN: 0
; COMPUTE_PGM_RSRC2:TIDIG_COMP_CNT: 1
	.section	.text._ZN2at6native12_GLOBAL__N_124RowwiseMomentsCUDAKernelIN3c104HalfEfLb0EEEvlT0_PKT_PS5_S9_,"axG",@progbits,_ZN2at6native12_GLOBAL__N_124RowwiseMomentsCUDAKernelIN3c104HalfEfLb0EEEvlT0_PKT_PS5_S9_,comdat
	.globl	_ZN2at6native12_GLOBAL__N_124RowwiseMomentsCUDAKernelIN3c104HalfEfLb0EEEvlT0_PKT_PS5_S9_ ; -- Begin function _ZN2at6native12_GLOBAL__N_124RowwiseMomentsCUDAKernelIN3c104HalfEfLb0EEEvlT0_PKT_PS5_S9_
	.p2align	8
	.type	_ZN2at6native12_GLOBAL__N_124RowwiseMomentsCUDAKernelIN3c104HalfEfLb0EEEvlT0_PKT_PS5_S9_,@function
_ZN2at6native12_GLOBAL__N_124RowwiseMomentsCUDAKernelIN3c104HalfEfLb0EEEvlT0_PKT_PS5_S9_: ; @_ZN2at6native12_GLOBAL__N_124RowwiseMomentsCUDAKernelIN3c104HalfEfLb0EEEvlT0_PKT_PS5_S9_
; %bb.0:
	s_clause 0x2
	s_load_b64 s[12:13], s[0:1], 0x0
	s_load_b128 s[4:7], s[0:1], 0x10
	s_load_b64 s[8:9], s[0:1], 0x20
	v_dual_mov_b32 v1, 0 :: v_dual_mov_b32 v4, 0
	v_mov_b32_e32 v5, 0
	s_mov_b32 s10, s15
	s_mov_b32 s11, 0
	s_delay_alu instid0(VALU_DEP_2)
	v_mov_b32_e32 v2, v1
	v_mov_b32_e32 v3, v1
	s_mov_b32 s3, exec_lo
	s_waitcnt lgkmcnt(0)
	v_cmpx_gt_i64_e64 s[12:13], v[0:1]
	s_cbranch_execz .LBB7_4
; %bb.1:
	s_load_b32 s2, s[0:1], 0x34
	s_mul_i32 s15, s13, s10
	s_mul_hi_u32 s16, s12, s10
	s_mul_i32 s14, s12, s10
	s_add_i32 s15, s16, s15
	v_dual_mov_b32 v3, 0 :: v_dual_lshlrev_b32 v2, 1, v0
	s_lshl_b64 s[16:17], s[14:15], 1
	v_dual_mov_b32 v7, v1 :: v_dual_mov_b32 v6, v0
	s_waitcnt lgkmcnt(0)
	s_and_b32 s14, s2, 0xffff
	s_add_u32 s2, s4, s16
	s_addc_u32 s4, s5, s17
	v_add_co_u32 v8, s2, s2, v2
	s_delay_alu instid0(VALU_DEP_1)
	v_add_co_ci_u32_e64 v9, null, s4, 0, s2
	v_mov_b32_e32 v2, 0
	s_lshl_b32 s15, s14, 1
	s_mov_b64 s[4:5], 0
	s_mov_b32 s16, s11
.LBB7_2:                                ; =>This Inner Loop Header: Depth=1
	global_load_u16 v1, v[8:9], off
	s_add_u32 s4, s4, 1
	s_addc_u32 s5, s5, 0
	s_delay_alu instid0(SALU_CYCLE_1) | instskip(NEXT) | instid1(SALU_CYCLE_1)
	s_clz_i32_u32 s2, s5
	s_min_u32 s2, s2, 32
	s_delay_alu instid0(SALU_CYCLE_1) | instskip(SKIP_2) | instid1(SALU_CYCLE_1)
	s_lshl_b64 s[18:19], s[4:5], s2
	s_sub_i32 s2, 32, s2
	s_min_u32 s17, s18, 1
	s_or_b32 s17, s19, s17
	s_delay_alu instid0(SALU_CYCLE_1) | instskip(SKIP_2) | instid1(VALU_DEP_2)
	v_cvt_f32_u32_e32 v4, s17
	s_waitcnt vmcnt(0)
	v_cvt_f32_f16_e32 v5, v1
	v_ldexp_f32 v1, v4, s2
	s_delay_alu instid0(VALU_DEP_2) | instskip(NEXT) | instid1(VALU_DEP_1)
	v_sub_f32_e32 v10, v5, v2
	v_div_scale_f32 v4, null, v1, v1, v10
	s_delay_alu instid0(VALU_DEP_1) | instskip(SKIP_2) | instid1(VALU_DEP_1)
	v_rcp_f32_e32 v11, v4
	s_waitcnt_depctr 0xfff
	v_fma_f32 v12, -v4, v11, 1.0
	v_fmac_f32_e32 v11, v12, v11
	v_div_scale_f32 v13, vcc_lo, v10, v1, v10
	s_delay_alu instid0(VALU_DEP_1) | instskip(NEXT) | instid1(VALU_DEP_1)
	v_mul_f32_e32 v12, v13, v11
	v_fma_f32 v14, -v4, v12, v13
	s_delay_alu instid0(VALU_DEP_1) | instskip(NEXT) | instid1(VALU_DEP_1)
	v_fmac_f32_e32 v12, v14, v11
	v_fma_f32 v4, -v4, v12, v13
	s_delay_alu instid0(VALU_DEP_1) | instskip(SKIP_2) | instid1(VALU_DEP_3)
	v_div_fmas_f32 v4, v4, v11, v12
	v_add_co_u32 v6, vcc_lo, v6, s14
	v_add_co_ci_u32_e32 v7, vcc_lo, 0, v7, vcc_lo
	v_div_fixup_f32 v4, v4, v1, v10
	v_add_co_u32 v8, vcc_lo, v8, s15
	s_delay_alu instid0(VALU_DEP_3) | instskip(SKIP_1) | instid1(VALU_DEP_4)
	v_cmp_le_i64_e64 s2, s[12:13], v[6:7]
	v_add_co_ci_u32_e32 v9, vcc_lo, 0, v9, vcc_lo
	v_add_f32_e32 v2, v2, v4
	s_delay_alu instid0(VALU_DEP_3) | instskip(NEXT) | instid1(VALU_DEP_1)
	s_or_b32 s16, s2, s16
	v_dual_sub_f32 v11, v5, v2 :: v_dual_mov_b32 v4, s4
	v_mov_b32_e32 v5, s5
	s_delay_alu instid0(VALU_DEP_2)
	v_fmac_f32_e32 v3, v10, v11
	s_and_not1_b32 exec_lo, exec_lo, s16
	s_cbranch_execnz .LBB7_2
; %bb.3:
	s_or_b32 exec_lo, exec_lo, s16
.LBB7_4:
	s_delay_alu instid0(SALU_CYCLE_1) | instskip(SKIP_2) | instid1(VALU_DEP_1)
	s_or_b32 exec_lo, exec_lo, s3
	v_mbcnt_lo_u32_b32 v12, -1, 0
	s_mov_b32 s2, exec_lo
	v_cmp_gt_u32_e32 vcc_lo, 16, v12
	v_cndmask_b32_e64 v6, 0, 1, vcc_lo
	s_delay_alu instid0(VALU_DEP_1) | instskip(NEXT) | instid1(VALU_DEP_1)
	v_lshlrev_b32_e32 v6, 4, v6
	v_add_lshl_u32 v8, v6, v12, 2
	ds_bpermute_b32 v11, v8, v2
	ds_bpermute_b32 v9, v8, v3
	;; [unrolled: 1-line block ×5, first 2 shown]
	v_cmpx_neq_f32_e32 0, v1
	s_xor_b32 s2, exec_lo, s2
	s_cbranch_execz .LBB7_8
; %bb.5:
	s_mov_b32 s3, exec_lo
	s_waitcnt lgkmcnt(0)
	v_cmpx_neq_f32_e32 0, v10
	s_cbranch_execz .LBB7_7
; %bb.6:
	v_add_f32_e32 v6, v1, v10
	v_sub_f32_e32 v11, v11, v2
	v_add_f32_e32 v3, v3, v9
	s_delay_alu instid0(VALU_DEP_3) | instskip(NEXT) | instid1(VALU_DEP_1)
	v_div_scale_f32 v4, null, v6, v6, v10
	v_rcp_f32_e32 v5, v4
	s_waitcnt_depctr 0xfff
	v_fma_f32 v7, -v4, v5, 1.0
	s_delay_alu instid0(VALU_DEP_1) | instskip(SKIP_1) | instid1(VALU_DEP_1)
	v_fmac_f32_e32 v5, v7, v5
	v_div_scale_f32 v13, vcc_lo, v10, v6, v10
	v_mul_f32_e32 v7, v13, v5
	s_delay_alu instid0(VALU_DEP_1) | instskip(NEXT) | instid1(VALU_DEP_1)
	v_fma_f32 v14, -v4, v7, v13
	v_fmac_f32_e32 v7, v14, v5
	s_delay_alu instid0(VALU_DEP_1) | instskip(NEXT) | instid1(VALU_DEP_1)
	v_fma_f32 v4, -v4, v7, v13
	v_div_fmas_f32 v4, v4, v5, v7
	v_mul_f32_e32 v5, v11, v11
	s_delay_alu instid0(VALU_DEP_2) | instskip(NEXT) | instid1(VALU_DEP_2)
	v_div_fixup_f32 v7, v4, v6, v10
	v_dual_mul_f32 v1, v1, v5 :: v_dual_mov_b32 v4, -1
	s_delay_alu instid0(VALU_DEP_2) | instskip(NEXT) | instid1(VALU_DEP_2)
	v_dual_mov_b32 v5, -1 :: v_dual_fmac_f32 v2, v11, v7
	v_fmac_f32_e32 v3, v1, v7
	v_mov_b32_e32 v1, v6
.LBB7_7:
	s_or_b32 exec_lo, exec_lo, s3
                                        ; implicit-def: $vgpr6
                                        ; implicit-def: $vgpr10
                                        ; implicit-def: $vgpr9
                                        ; implicit-def: $vgpr11
.LBB7_8:
	s_and_not1_saveexec_b32 s2, s2
	s_cbranch_execz .LBB7_10
; %bb.9:
	s_waitcnt lgkmcnt(0)
	v_dual_mov_b32 v1, v10 :: v_dual_mov_b32 v2, v11
	v_dual_mov_b32 v4, v6 :: v_dual_mov_b32 v5, v7
	v_mov_b32_e32 v3, v9
.LBB7_10:
	s_or_b32 exec_lo, exec_lo, s2
	v_cmp_gt_u32_e32 vcc_lo, 24, v12
	s_mov_b32 s2, exec_lo
	s_waitcnt lgkmcnt(2)
	v_cndmask_b32_e64 v6, 0, 1, vcc_lo
	s_delay_alu instid0(VALU_DEP_1) | instskip(NEXT) | instid1(VALU_DEP_1)
	v_lshlrev_b32_e32 v6, 3, v6
	v_add_lshl_u32 v9, v6, v12, 2
	ds_bpermute_b32 v13, v9, v2
	s_waitcnt lgkmcnt(1)
	ds_bpermute_b32 v10, v9, v3
	ds_bpermute_b32 v6, v9, v4
	;; [unrolled: 1-line block ×4, first 2 shown]
	v_cmpx_neq_f32_e32 0, v1
	s_xor_b32 s2, exec_lo, s2
	s_cbranch_execz .LBB7_14
; %bb.11:
	s_mov_b32 s3, exec_lo
	s_waitcnt lgkmcnt(0)
	v_cmpx_neq_f32_e32 0, v11
	s_cbranch_execz .LBB7_13
; %bb.12:
	v_add_f32_e32 v6, v1, v11
	v_sub_f32_e32 v13, v13, v2
	s_delay_alu instid0(VALU_DEP_2) | instskip(NEXT) | instid1(VALU_DEP_1)
	v_div_scale_f32 v4, null, v6, v6, v11
	v_rcp_f32_e32 v5, v4
	s_waitcnt_depctr 0xfff
	v_fma_f32 v7, -v4, v5, 1.0
	s_delay_alu instid0(VALU_DEP_1) | instskip(SKIP_1) | instid1(VALU_DEP_1)
	v_fmac_f32_e32 v5, v7, v5
	v_div_scale_f32 v14, vcc_lo, v11, v6, v11
	v_mul_f32_e32 v7, v14, v5
	s_delay_alu instid0(VALU_DEP_1) | instskip(NEXT) | instid1(VALU_DEP_1)
	v_fma_f32 v15, -v4, v7, v14
	v_fmac_f32_e32 v7, v15, v5
	s_delay_alu instid0(VALU_DEP_1) | instskip(NEXT) | instid1(VALU_DEP_1)
	v_fma_f32 v4, -v4, v7, v14
	v_div_fmas_f32 v4, v4, v5, v7
	v_mul_f32_e32 v5, v13, v13
	s_delay_alu instid0(VALU_DEP_2) | instskip(SKIP_1) | instid1(VALU_DEP_3)
	v_div_fixup_f32 v7, v4, v6, v11
	v_add_f32_e32 v3, v3, v10
	v_dual_mul_f32 v1, v1, v5 :: v_dual_mov_b32 v4, -1
	s_delay_alu instid0(VALU_DEP_3) | instskip(NEXT) | instid1(VALU_DEP_2)
	v_dual_mov_b32 v5, -1 :: v_dual_fmac_f32 v2, v13, v7
	v_fmac_f32_e32 v3, v1, v7
	v_mov_b32_e32 v1, v6
.LBB7_13:
	s_or_b32 exec_lo, exec_lo, s3
                                        ; implicit-def: $vgpr6
                                        ; implicit-def: $vgpr11
                                        ; implicit-def: $vgpr10
                                        ; implicit-def: $vgpr13
.LBB7_14:
	s_and_not1_saveexec_b32 s2, s2
	s_cbranch_execz .LBB7_16
; %bb.15:
	s_waitcnt lgkmcnt(0)
	v_dual_mov_b32 v1, v11 :: v_dual_mov_b32 v4, v6
	v_dual_mov_b32 v5, v7 :: v_dual_mov_b32 v2, v13
	v_mov_b32_e32 v3, v10
.LBB7_16:
	s_or_b32 exec_lo, exec_lo, s2
	v_cmp_gt_u32_e32 vcc_lo, 28, v12
	s_mov_b32 s2, exec_lo
	s_waitcnt lgkmcnt(2)
	v_cndmask_b32_e64 v6, 0, 1, vcc_lo
	s_delay_alu instid0(VALU_DEP_1) | instskip(NEXT) | instid1(VALU_DEP_1)
	v_lshlrev_b32_e32 v6, 2, v6
	v_add_lshl_u32 v10, v6, v12, 2
	ds_bpermute_b32 v14, v10, v2
	s_waitcnt lgkmcnt(1)
	ds_bpermute_b32 v11, v10, v3
	ds_bpermute_b32 v6, v10, v4
	ds_bpermute_b32 v7, v10, v5
	ds_bpermute_b32 v13, v10, v1
	v_cmpx_neq_f32_e32 0, v1
	s_xor_b32 s2, exec_lo, s2
	s_cbranch_execz .LBB7_20
; %bb.17:
	s_mov_b32 s3, exec_lo
	s_waitcnt lgkmcnt(0)
	v_cmpx_neq_f32_e32 0, v13
	s_cbranch_execz .LBB7_19
; %bb.18:
	v_dual_sub_f32 v14, v14, v2 :: v_dual_add_f32 v3, v3, v11
	v_add_f32_e32 v6, v1, v13
	s_delay_alu instid0(VALU_DEP_1) | instskip(SKIP_1) | instid1(VALU_DEP_2)
	v_div_scale_f32 v4, null, v6, v6, v13
	v_div_scale_f32 v15, vcc_lo, v13, v6, v13
	v_rcp_f32_e32 v5, v4
	s_waitcnt_depctr 0xfff
	v_fma_f32 v7, -v4, v5, 1.0
	s_delay_alu instid0(VALU_DEP_1) | instskip(NEXT) | instid1(VALU_DEP_1)
	v_fmac_f32_e32 v5, v7, v5
	v_mul_f32_e32 v7, v15, v5
	s_delay_alu instid0(VALU_DEP_1) | instskip(NEXT) | instid1(VALU_DEP_1)
	v_fma_f32 v16, -v4, v7, v15
	v_fmac_f32_e32 v7, v16, v5
	s_delay_alu instid0(VALU_DEP_1) | instskip(NEXT) | instid1(VALU_DEP_1)
	v_fma_f32 v4, -v4, v7, v15
	v_div_fmas_f32 v4, v4, v5, v7
	v_mul_f32_e32 v5, v14, v14
	s_delay_alu instid0(VALU_DEP_2) | instskip(NEXT) | instid1(VALU_DEP_2)
	v_div_fixup_f32 v7, v4, v6, v13
	v_dual_mul_f32 v1, v1, v5 :: v_dual_mov_b32 v4, -1
	s_delay_alu instid0(VALU_DEP_2) | instskip(NEXT) | instid1(VALU_DEP_2)
	v_dual_mov_b32 v5, -1 :: v_dual_fmac_f32 v2, v14, v7
	v_fmac_f32_e32 v3, v1, v7
	v_mov_b32_e32 v1, v6
.LBB7_19:
	s_or_b32 exec_lo, exec_lo, s3
                                        ; implicit-def: $vgpr6
                                        ; implicit-def: $vgpr13
                                        ; implicit-def: $vgpr11
                                        ; implicit-def: $vgpr14
.LBB7_20:
	s_and_not1_saveexec_b32 s2, s2
	s_cbranch_execz .LBB7_22
; %bb.21:
	s_waitcnt lgkmcnt(0)
	v_dual_mov_b32 v1, v13 :: v_dual_mov_b32 v4, v6
	v_dual_mov_b32 v5, v7 :: v_dual_mov_b32 v2, v14
	v_mov_b32_e32 v3, v11
.LBB7_22:
	s_or_b32 exec_lo, exec_lo, s2
	v_cmp_gt_u32_e32 vcc_lo, 30, v12
	s_mov_b32 s2, exec_lo
	s_waitcnt lgkmcnt(2)
	v_cndmask_b32_e64 v6, 0, 1, vcc_lo
	s_delay_alu instid0(VALU_DEP_1) | instskip(NEXT) | instid1(VALU_DEP_1)
	v_lshlrev_b32_e32 v6, 1, v6
	v_add_lshl_u32 v11, v6, v12, 2
	ds_bpermute_b32 v15, v11, v2
	s_waitcnt lgkmcnt(1)
	ds_bpermute_b32 v13, v11, v3
	ds_bpermute_b32 v6, v11, v4
	;; [unrolled: 1-line block ×4, first 2 shown]
	v_cmpx_neq_f32_e32 0, v1
	s_xor_b32 s2, exec_lo, s2
	s_cbranch_execz .LBB7_26
; %bb.23:
	s_mov_b32 s3, exec_lo
	s_waitcnt lgkmcnt(0)
	v_cmpx_neq_f32_e32 0, v14
	s_cbranch_execz .LBB7_25
; %bb.24:
	v_add_f32_e32 v6, v1, v14
	v_sub_f32_e32 v15, v15, v2
	v_add_f32_e32 v3, v3, v13
	s_delay_alu instid0(VALU_DEP_3) | instskip(NEXT) | instid1(VALU_DEP_1)
	v_div_scale_f32 v4, null, v6, v6, v14
	v_rcp_f32_e32 v5, v4
	s_waitcnt_depctr 0xfff
	v_fma_f32 v7, -v4, v5, 1.0
	s_delay_alu instid0(VALU_DEP_1) | instskip(SKIP_1) | instid1(VALU_DEP_1)
	v_fmac_f32_e32 v5, v7, v5
	v_div_scale_f32 v16, vcc_lo, v14, v6, v14
	v_mul_f32_e32 v7, v16, v5
	s_delay_alu instid0(VALU_DEP_1) | instskip(NEXT) | instid1(VALU_DEP_1)
	v_fma_f32 v17, -v4, v7, v16
	v_fmac_f32_e32 v7, v17, v5
	s_delay_alu instid0(VALU_DEP_1) | instskip(NEXT) | instid1(VALU_DEP_1)
	v_fma_f32 v4, -v4, v7, v16
	v_div_fmas_f32 v4, v4, v5, v7
	v_mul_f32_e32 v5, v15, v15
	s_delay_alu instid0(VALU_DEP_2) | instskip(NEXT) | instid1(VALU_DEP_2)
	v_div_fixup_f32 v7, v4, v6, v14
	v_dual_mul_f32 v1, v1, v5 :: v_dual_mov_b32 v4, -1
	s_delay_alu instid0(VALU_DEP_2) | instskip(NEXT) | instid1(VALU_DEP_2)
	v_dual_mov_b32 v5, -1 :: v_dual_fmac_f32 v2, v15, v7
	v_fmac_f32_e32 v3, v1, v7
	v_mov_b32_e32 v1, v6
.LBB7_25:
	s_or_b32 exec_lo, exec_lo, s3
                                        ; implicit-def: $vgpr6
                                        ; implicit-def: $vgpr14
                                        ; implicit-def: $vgpr13
                                        ; implicit-def: $vgpr15
.LBB7_26:
	s_and_not1_saveexec_b32 s2, s2
	s_cbranch_execz .LBB7_28
; %bb.27:
	s_waitcnt lgkmcnt(0)
	v_dual_mov_b32 v1, v14 :: v_dual_mov_b32 v2, v15
	v_dual_mov_b32 v4, v6 :: v_dual_mov_b32 v5, v7
	v_mov_b32_e32 v3, v13
.LBB7_28:
	s_or_b32 exec_lo, exec_lo, s2
	v_cmp_ne_u32_e32 vcc_lo, 31, v12
	s_mov_b32 s2, exec_lo
	s_waitcnt lgkmcnt(2)
	v_add_co_ci_u32_e32 v6, vcc_lo, 0, v12, vcc_lo
	s_delay_alu instid0(VALU_DEP_1)
	v_lshlrev_b32_e32 v12, 2, v6
	ds_bpermute_b32 v15, v12, v2
	ds_bpermute_b32 v13, v12, v3
	;; [unrolled: 1-line block ×3, first 2 shown]
	s_waitcnt lgkmcnt(4)
	ds_bpermute_b32 v7, v12, v5
	s_waitcnt lgkmcnt(4)
	ds_bpermute_b32 v14, v12, v1
	v_cmpx_neq_f32_e32 0, v1
	s_xor_b32 s2, exec_lo, s2
	s_cbranch_execz .LBB7_32
; %bb.29:
	s_mov_b32 s3, exec_lo
	s_waitcnt lgkmcnt(0)
	v_cmpx_neq_f32_e32 0, v14
	s_cbranch_execz .LBB7_31
; %bb.30:
	v_add_f32_e32 v6, v1, v14
	v_sub_f32_e32 v15, v15, v2
	v_add_f32_e32 v3, v3, v13
	s_delay_alu instid0(VALU_DEP_3) | instskip(NEXT) | instid1(VALU_DEP_1)
	v_div_scale_f32 v4, null, v6, v6, v14
	v_rcp_f32_e32 v5, v4
	s_waitcnt_depctr 0xfff
	v_fma_f32 v7, -v4, v5, 1.0
	s_delay_alu instid0(VALU_DEP_1) | instskip(SKIP_1) | instid1(VALU_DEP_1)
	v_fmac_f32_e32 v5, v7, v5
	v_div_scale_f32 v16, vcc_lo, v14, v6, v14
	v_mul_f32_e32 v7, v16, v5
	s_delay_alu instid0(VALU_DEP_1) | instskip(NEXT) | instid1(VALU_DEP_1)
	v_fma_f32 v17, -v4, v7, v16
	v_fmac_f32_e32 v7, v17, v5
	s_delay_alu instid0(VALU_DEP_1) | instskip(NEXT) | instid1(VALU_DEP_1)
	v_fma_f32 v4, -v4, v7, v16
	v_div_fmas_f32 v4, v4, v5, v7
	v_mul_f32_e32 v5, v15, v15
	s_delay_alu instid0(VALU_DEP_2) | instskip(NEXT) | instid1(VALU_DEP_2)
	v_div_fixup_f32 v7, v4, v6, v14
	v_dual_mul_f32 v1, v1, v5 :: v_dual_mov_b32 v4, -1
	s_delay_alu instid0(VALU_DEP_2) | instskip(NEXT) | instid1(VALU_DEP_2)
	v_dual_mov_b32 v5, -1 :: v_dual_fmac_f32 v2, v15, v7
	v_fmac_f32_e32 v3, v1, v7
	v_mov_b32_e32 v1, v6
.LBB7_31:
	s_or_b32 exec_lo, exec_lo, s3
                                        ; implicit-def: $vgpr6
                                        ; implicit-def: $vgpr14
                                        ; implicit-def: $vgpr13
                                        ; implicit-def: $vgpr15
.LBB7_32:
	s_and_not1_saveexec_b32 s2, s2
	s_cbranch_execz .LBB7_34
; %bb.33:
	s_waitcnt lgkmcnt(0)
	v_dual_mov_b32 v1, v14 :: v_dual_mov_b32 v2, v15
	v_dual_mov_b32 v4, v6 :: v_dual_mov_b32 v5, v7
	v_mov_b32_e32 v3, v13
.LBB7_34:
	s_or_b32 exec_lo, exec_lo, s2
	s_waitcnt lgkmcnt(2)
	v_and_b32_e32 v6, 31, v0
	s_mov_b32 s2, exec_lo
	s_waitcnt lgkmcnt(0)
	s_barrier
	buffer_gl0_inv
	v_cmpx_eq_u32_e32 0, v6
	s_cbranch_execz .LBB7_36
; %bb.35:
	v_lshrrev_b32_e32 v7, 5, v0
	s_delay_alu instid0(VALU_DEP_1)
	v_mul_u32_u24_e32 v7, 24, v7
	ds_store_2addr_b64 v7, v[2:3], v[4:5] offset1:1
	ds_store_b32 v7, v1 offset:16
.LBB7_36:
	s_or_b32 exec_lo, exec_lo, s2
	s_waitcnt lgkmcnt(0)
	s_barrier
	buffer_gl0_inv
	s_load_b32 s2, s[0:1], 0x34
	v_mul_u32_u24_e32 v4, 24, v6
	v_dual_mov_b32 v2, 0 :: v_dual_mov_b32 v1, 0
	s_waitcnt lgkmcnt(0)
	s_bfe_u32 s2, s2, 0xb0005
	s_delay_alu instid0(SALU_CYCLE_1)
	v_cmp_gt_u32_e32 vcc_lo, s2, v0
	s_and_saveexec_b32 s2, vcc_lo
	s_cbranch_execnz .LBB7_65
; %bb.37:
	s_or_b32 exec_lo, exec_lo, s2
	s_and_saveexec_b32 s2, vcc_lo
	s_cbranch_execnz .LBB7_66
.LBB7_38:
	s_or_b32 exec_lo, exec_lo, s2
	v_mov_b32_e32 v3, 0
	s_and_saveexec_b32 s2, vcc_lo
	s_cbranch_execz .LBB7_40
.LBB7_39:
	ds_load_b32 v3, v4 offset:16
.LBB7_40:
	s_or_b32 exec_lo, exec_lo, s2
	s_delay_alu instid0(SALU_CYCLE_1)
	s_mov_b32 s2, exec_lo
	v_cmpx_gt_u32_e32 32, v0
	s_cbranch_execz .LBB7_62
; %bb.41:
	s_waitcnt lgkmcnt(0)
	ds_bpermute_b32 v6, v8, v1
	ds_bpermute_b32 v4, v8, v2
	;; [unrolled: 1-line block ×3, first 2 shown]
	s_mov_b32 s3, exec_lo
	v_cmpx_neq_f32_e32 0, v3
	s_cbranch_execz .LBB7_45
; %bb.42:
	s_mov_b32 s4, exec_lo
	s_waitcnt lgkmcnt(0)
	v_cmpx_neq_f32_e32 0, v5
	s_cbranch_execz .LBB7_44
; %bb.43:
	v_dual_add_f32 v7, v3, v5 :: v_dual_add_f32 v2, v2, v4
	v_sub_f32_e32 v6, v6, v1
	s_delay_alu instid0(VALU_DEP_2) | instskip(SKIP_1) | instid1(VALU_DEP_2)
	v_div_scale_f32 v8, null, v7, v7, v5
	v_div_scale_f32 v15, vcc_lo, v5, v7, v5
	v_rcp_f32_e32 v13, v8
	s_waitcnt_depctr 0xfff
	v_fma_f32 v14, -v8, v13, 1.0
	s_delay_alu instid0(VALU_DEP_1) | instskip(NEXT) | instid1(VALU_DEP_1)
	v_fmac_f32_e32 v13, v14, v13
	v_mul_f32_e32 v14, v15, v13
	s_delay_alu instid0(VALU_DEP_1) | instskip(NEXT) | instid1(VALU_DEP_1)
	v_fma_f32 v16, -v8, v14, v15
	v_fmac_f32_e32 v14, v16, v13
	s_delay_alu instid0(VALU_DEP_1) | instskip(NEXT) | instid1(VALU_DEP_1)
	v_fma_f32 v8, -v8, v14, v15
	v_div_fmas_f32 v8, v8, v13, v14
	v_mul_f32_e32 v13, v6, v6
	s_delay_alu instid0(VALU_DEP_2) | instskip(NEXT) | instid1(VALU_DEP_2)
	v_div_fixup_f32 v4, v8, v7, v5
	v_mul_f32_e32 v3, v3, v13
	s_delay_alu instid0(VALU_DEP_1)
	v_fmac_f32_e32 v2, v3, v4
	v_mov_b32_e32 v3, v7
	v_fmac_f32_e32 v1, v6, v4
.LBB7_44:
	s_or_b32 exec_lo, exec_lo, s4
	s_delay_alu instid0(VALU_DEP_2) | instskip(NEXT) | instid1(VALU_DEP_2)
	v_dual_mov_b32 v5, v3 :: v_dual_mov_b32 v4, v2
	v_mov_b32_e32 v6, v1
.LBB7_45:
	s_or_b32 exec_lo, exec_lo, s3
	s_waitcnt lgkmcnt(2)
	ds_bpermute_b32 v7, v9, v6
	s_waitcnt lgkmcnt(2)
	ds_bpermute_b32 v1, v9, v4
	;; [unrolled: 2-line block ×3, first 2 shown]
	s_mov_b32 s3, exec_lo
	v_cmpx_neq_f32_e32 0, v5
	s_cbranch_execz .LBB7_49
; %bb.46:
	s_mov_b32 s4, exec_lo
	s_waitcnt lgkmcnt(0)
	v_cmpx_neq_f32_e32 0, v3
	s_cbranch_execz .LBB7_48
; %bb.47:
	v_dual_add_f32 v2, v5, v3 :: v_dual_sub_f32 v7, v7, v6
	v_add_f32_e32 v4, v4, v1
	s_delay_alu instid0(VALU_DEP_2) | instskip(SKIP_1) | instid1(VALU_DEP_2)
	v_div_scale_f32 v8, null, v2, v2, v3
	v_div_scale_f32 v14, vcc_lo, v3, v2, v3
	v_rcp_f32_e32 v9, v8
	s_waitcnt_depctr 0xfff
	v_fma_f32 v13, -v8, v9, 1.0
	s_delay_alu instid0(VALU_DEP_1) | instskip(NEXT) | instid1(VALU_DEP_1)
	v_fmac_f32_e32 v9, v13, v9
	v_mul_f32_e32 v13, v14, v9
	s_delay_alu instid0(VALU_DEP_1) | instskip(NEXT) | instid1(VALU_DEP_1)
	v_fma_f32 v15, -v8, v13, v14
	v_fmac_f32_e32 v13, v15, v9
	s_delay_alu instid0(VALU_DEP_1) | instskip(NEXT) | instid1(VALU_DEP_1)
	v_fma_f32 v8, -v8, v13, v14
	v_div_fmas_f32 v8, v8, v9, v13
	v_mul_f32_e32 v9, v7, v7
	s_delay_alu instid0(VALU_DEP_2) | instskip(NEXT) | instid1(VALU_DEP_2)
	v_div_fixup_f32 v1, v8, v2, v3
	v_mul_f32_e32 v3, v5, v9
	s_delay_alu instid0(VALU_DEP_2) | instskip(NEXT) | instid1(VALU_DEP_2)
	v_dual_mov_b32 v5, v2 :: v_dual_fmac_f32 v6, v7, v1
	v_fmac_f32_e32 v4, v3, v1
.LBB7_48:
	s_or_b32 exec_lo, exec_lo, s4
	s_delay_alu instid0(VALU_DEP_2) | instskip(NEXT) | instid1(VALU_DEP_2)
	v_mov_b32_e32 v3, v5
	v_mov_b32_e32 v1, v4
	;; [unrolled: 1-line block ×3, first 2 shown]
.LBB7_49:
	s_or_b32 exec_lo, exec_lo, s3
	s_waitcnt lgkmcnt(2)
	ds_bpermute_b32 v8, v10, v7
	s_waitcnt lgkmcnt(2)
	ds_bpermute_b32 v2, v10, v1
	;; [unrolled: 2-line block ×3, first 2 shown]
	s_mov_b32 s3, exec_lo
	v_cmpx_neq_f32_e32 0, v3
	s_cbranch_execz .LBB7_53
; %bb.50:
	s_mov_b32 s4, exec_lo
	s_waitcnt lgkmcnt(0)
	v_cmpx_neq_f32_e32 0, v6
	s_cbranch_execz .LBB7_52
; %bb.51:
	v_add_f32_e32 v4, v3, v6
	v_dual_sub_f32 v8, v8, v7 :: v_dual_add_f32 v1, v1, v2
	s_delay_alu instid0(VALU_DEP_2) | instskip(NEXT) | instid1(VALU_DEP_1)
	v_div_scale_f32 v5, null, v4, v4, v6
	v_rcp_f32_e32 v9, v5
	s_waitcnt_depctr 0xfff
	v_fma_f32 v10, -v5, v9, 1.0
	s_delay_alu instid0(VALU_DEP_1) | instskip(SKIP_1) | instid1(VALU_DEP_1)
	v_fmac_f32_e32 v9, v10, v9
	v_div_scale_f32 v13, vcc_lo, v6, v4, v6
	v_mul_f32_e32 v10, v13, v9
	s_delay_alu instid0(VALU_DEP_1) | instskip(NEXT) | instid1(VALU_DEP_1)
	v_fma_f32 v14, -v5, v10, v13
	v_fmac_f32_e32 v10, v14, v9
	s_delay_alu instid0(VALU_DEP_1) | instskip(NEXT) | instid1(VALU_DEP_1)
	v_fma_f32 v5, -v5, v10, v13
	v_div_fmas_f32 v5, v5, v9, v10
	v_mul_f32_e32 v9, v8, v8
	s_delay_alu instid0(VALU_DEP_2) | instskip(NEXT) | instid1(VALU_DEP_2)
	v_div_fixup_f32 v2, v5, v4, v6
	v_mul_f32_e32 v3, v3, v9
	s_delay_alu instid0(VALU_DEP_2) | instskip(NEXT) | instid1(VALU_DEP_2)
	v_fmac_f32_e32 v7, v8, v2
	v_fmac_f32_e32 v1, v3, v2
	v_mov_b32_e32 v3, v4
.LBB7_52:
	s_or_b32 exec_lo, exec_lo, s4
	s_delay_alu instid0(VALU_DEP_1) | instskip(NEXT) | instid1(VALU_DEP_3)
	v_mov_b32_e32 v6, v3
	v_mov_b32_e32 v2, v1
	;; [unrolled: 1-line block ×3, first 2 shown]
.LBB7_53:
	s_or_b32 exec_lo, exec_lo, s3
	s_waitcnt lgkmcnt(2)
	ds_bpermute_b32 v7, v11, v8
	s_waitcnt lgkmcnt(2)
	ds_bpermute_b32 v4, v11, v2
	;; [unrolled: 2-line block ×3, first 2 shown]
	s_mov_b32 s3, exec_lo
	v_cmpx_neq_f32_e32 0, v6
	s_cbranch_execz .LBB7_57
; %bb.54:
	s_mov_b32 s4, exec_lo
	s_waitcnt lgkmcnt(0)
	v_cmpx_neq_f32_e32 0, v5
	s_cbranch_execz .LBB7_56
; %bb.55:
	v_sub_f32_e32 v7, v7, v8
	v_add_f32_e32 v1, v6, v5
	v_add_f32_e32 v2, v2, v4
	s_delay_alu instid0(VALU_DEP_2) | instskip(SKIP_1) | instid1(VALU_DEP_2)
	v_div_scale_f32 v3, null, v1, v1, v5
	v_div_scale_f32 v11, vcc_lo, v5, v1, v5
	v_rcp_f32_e32 v9, v3
	s_waitcnt_depctr 0xfff
	v_fma_f32 v10, -v3, v9, 1.0
	s_delay_alu instid0(VALU_DEP_1) | instskip(NEXT) | instid1(VALU_DEP_1)
	v_fmac_f32_e32 v9, v10, v9
	v_mul_f32_e32 v10, v11, v9
	s_delay_alu instid0(VALU_DEP_1) | instskip(NEXT) | instid1(VALU_DEP_1)
	v_fma_f32 v13, -v3, v10, v11
	v_fmac_f32_e32 v10, v13, v9
	s_delay_alu instid0(VALU_DEP_1) | instskip(NEXT) | instid1(VALU_DEP_1)
	v_fma_f32 v3, -v3, v10, v11
	v_div_fmas_f32 v3, v3, v9, v10
	v_mul_f32_e32 v9, v7, v7
	s_delay_alu instid0(VALU_DEP_2) | instskip(NEXT) | instid1(VALU_DEP_2)
	v_div_fixup_f32 v3, v3, v1, v5
	v_mul_f32_e32 v4, v6, v9
	s_delay_alu instid0(VALU_DEP_2) | instskip(NEXT) | instid1(VALU_DEP_2)
	v_fmac_f32_e32 v8, v7, v3
	v_fmac_f32_e32 v2, v4, v3
	v_mov_b32_e32 v6, v1
.LBB7_56:
	s_or_b32 exec_lo, exec_lo, s4
	s_delay_alu instid0(VALU_DEP_1) | instskip(NEXT) | instid1(VALU_DEP_3)
	v_mov_b32_e32 v5, v6
	v_dual_mov_b32 v4, v2 :: v_dual_mov_b32 v7, v8
.LBB7_57:
	s_or_b32 exec_lo, exec_lo, s3
	s_waitcnt lgkmcnt(2)
	ds_bpermute_b32 v1, v12, v7
	s_waitcnt lgkmcnt(2)
	ds_bpermute_b32 v2, v12, v4
	;; [unrolled: 2-line block ×3, first 2 shown]
	s_mov_b32 s3, exec_lo
	v_cmpx_neq_f32_e32 0, v5
	s_cbranch_execz .LBB7_61
; %bb.58:
	s_mov_b32 s4, exec_lo
	s_waitcnt lgkmcnt(0)
	v_cmpx_neq_f32_e32 0, v3
	s_cbranch_execz .LBB7_60
; %bb.59:
	v_add_f32_e32 v6, v5, v3
	v_dual_sub_f32 v1, v1, v7 :: v_dual_add_f32 v4, v4, v2
	s_delay_alu instid0(VALU_DEP_2) | instskip(NEXT) | instid1(VALU_DEP_1)
	v_div_scale_f32 v8, null, v6, v6, v3
	v_rcp_f32_e32 v9, v8
	s_waitcnt_depctr 0xfff
	v_fma_f32 v10, -v8, v9, 1.0
	s_delay_alu instid0(VALU_DEP_1) | instskip(SKIP_1) | instid1(VALU_DEP_1)
	v_fmac_f32_e32 v9, v10, v9
	v_div_scale_f32 v11, vcc_lo, v3, v6, v3
	v_mul_f32_e32 v10, v11, v9
	s_delay_alu instid0(VALU_DEP_1) | instskip(NEXT) | instid1(VALU_DEP_1)
	v_fma_f32 v12, -v8, v10, v11
	v_fmac_f32_e32 v10, v12, v9
	s_delay_alu instid0(VALU_DEP_1) | instskip(NEXT) | instid1(VALU_DEP_1)
	v_fma_f32 v8, -v8, v10, v11
	v_div_fmas_f32 v8, v8, v9, v10
	v_mul_f32_e32 v9, v1, v1
	s_delay_alu instid0(VALU_DEP_2) | instskip(NEXT) | instid1(VALU_DEP_2)
	v_div_fixup_f32 v2, v8, v6, v3
	v_mul_f32_e32 v3, v5, v9
	v_mov_b32_e32 v5, v6
	s_delay_alu instid0(VALU_DEP_3) | instskip(NEXT) | instid1(VALU_DEP_3)
	v_fmac_f32_e32 v7, v1, v2
	v_fmac_f32_e32 v4, v3, v2
.LBB7_60:
	s_or_b32 exec_lo, exec_lo, s4
	s_delay_alu instid0(VALU_DEP_1) | instskip(NEXT) | instid1(VALU_DEP_3)
	v_dual_mov_b32 v3, v5 :: v_dual_mov_b32 v2, v4
	v_mov_b32_e32 v1, v7
.LBB7_61:
	s_or_b32 exec_lo, exec_lo, s3
.LBB7_62:
	s_delay_alu instid0(SALU_CYCLE_1) | instskip(NEXT) | instid1(SALU_CYCLE_1)
	s_or_b32 exec_lo, exec_lo, s2
	s_mov_b32 s2, exec_lo
	v_cmpx_eq_u32_e32 0, v0
	s_cbranch_execz .LBB7_64
; %bb.63:
	s_waitcnt lgkmcnt(0)
	v_max_f32_e32 v0, v3, v3
	s_load_b32 s0, s[0:1], 0x8
	s_delay_alu instid0(VALU_DEP_1) | instskip(NEXT) | instid1(VALU_DEP_1)
	v_max_f32_e32 v0, 0, v0
	v_div_scale_f32 v3, null, v0, v0, v2
	s_delay_alu instid0(VALU_DEP_1) | instskip(SKIP_2) | instid1(VALU_DEP_1)
	v_rcp_f32_e32 v4, v3
	s_waitcnt_depctr 0xfff
	v_fma_f32 v5, -v3, v4, 1.0
	v_fmac_f32_e32 v4, v5, v4
	v_div_scale_f32 v5, vcc_lo, v2, v0, v2
	s_delay_alu instid0(VALU_DEP_1) | instskip(NEXT) | instid1(VALU_DEP_1)
	v_mul_f32_e32 v6, v5, v4
	v_fma_f32 v7, -v3, v6, v5
	s_delay_alu instid0(VALU_DEP_1) | instskip(NEXT) | instid1(VALU_DEP_1)
	v_fmac_f32_e32 v6, v7, v4
	v_fma_f32 v3, -v3, v6, v5
	s_delay_alu instid0(VALU_DEP_1) | instskip(NEXT) | instid1(VALU_DEP_1)
	v_div_fmas_f32 v3, v3, v4, v6
	v_div_fixup_f32 v0, v3, v0, v2
	s_waitcnt lgkmcnt(0)
	s_delay_alu instid0(VALU_DEP_1) | instskip(SKIP_1) | instid1(SALU_CYCLE_1)
	v_dual_mov_b32 v3, 0 :: v_dual_add_f32 v0, s0, v0
	s_lshl_b64 s[0:1], s[10:11], 2
	s_add_u32 s2, s6, s0
	s_addc_u32 s3, s7, s1
	s_delay_alu instid0(VALU_DEP_1) | instskip(SKIP_3) | instid1(VALU_DEP_2)
	v_mul_f32_e32 v2, 0x4b800000, v0
	v_cmp_gt_f32_e32 vcc_lo, 0x800000, v0
	s_add_u32 s0, s8, s0
	s_addc_u32 s1, s9, s1
	v_cndmask_b32_e32 v0, v0, v2, vcc_lo
	s_delay_alu instid0(VALU_DEP_1) | instskip(SKIP_2) | instid1(VALU_DEP_1)
	v_rsq_f32_e32 v0, v0
	s_waitcnt_depctr 0xfff
	v_mul_f32_e32 v2, 0x45800000, v0
	v_cndmask_b32_e32 v0, v0, v2, vcc_lo
	s_clause 0x1
	global_store_b32 v3, v1, s[2:3]
	global_store_b32 v3, v0, s[0:1]
.LBB7_64:
	s_nop 0
	s_sendmsg sendmsg(MSG_DEALLOC_VGPRS)
	s_endpgm
.LBB7_65:
	ds_load_b32 v1, v4
	s_or_b32 exec_lo, exec_lo, s2
	s_and_saveexec_b32 s2, vcc_lo
	s_cbranch_execz .LBB7_38
.LBB7_66:
	ds_load_b32 v2, v4 offset:4
	s_or_b32 exec_lo, exec_lo, s2
	v_mov_b32_e32 v3, 0
	s_and_saveexec_b32 s2, vcc_lo
	s_cbranch_execnz .LBB7_39
	s_branch .LBB7_40
	.section	.rodata,"a",@progbits
	.p2align	6, 0x0
	.amdhsa_kernel _ZN2at6native12_GLOBAL__N_124RowwiseMomentsCUDAKernelIN3c104HalfEfLb0EEEvlT0_PKT_PS5_S9_
		.amdhsa_group_segment_fixed_size 768
		.amdhsa_private_segment_fixed_size 0
		.amdhsa_kernarg_size 296
		.amdhsa_user_sgpr_count 15
		.amdhsa_user_sgpr_dispatch_ptr 0
		.amdhsa_user_sgpr_queue_ptr 0
		.amdhsa_user_sgpr_kernarg_segment_ptr 1
		.amdhsa_user_sgpr_dispatch_id 0
		.amdhsa_user_sgpr_private_segment_size 0
		.amdhsa_wavefront_size32 1
		.amdhsa_uses_dynamic_stack 0
		.amdhsa_enable_private_segment 0
		.amdhsa_system_sgpr_workgroup_id_x 1
		.amdhsa_system_sgpr_workgroup_id_y 0
		.amdhsa_system_sgpr_workgroup_id_z 0
		.amdhsa_system_sgpr_workgroup_info 0
		.amdhsa_system_vgpr_workitem_id 0
		.amdhsa_next_free_vgpr 18
		.amdhsa_next_free_sgpr 20
		.amdhsa_reserve_vcc 1
		.amdhsa_float_round_mode_32 0
		.amdhsa_float_round_mode_16_64 0
		.amdhsa_float_denorm_mode_32 3
		.amdhsa_float_denorm_mode_16_64 3
		.amdhsa_dx10_clamp 1
		.amdhsa_ieee_mode 1
		.amdhsa_fp16_overflow 0
		.amdhsa_workgroup_processor_mode 1
		.amdhsa_memory_ordered 1
		.amdhsa_forward_progress 0
		.amdhsa_shared_vgpr_count 0
		.amdhsa_exception_fp_ieee_invalid_op 0
		.amdhsa_exception_fp_denorm_src 0
		.amdhsa_exception_fp_ieee_div_zero 0
		.amdhsa_exception_fp_ieee_overflow 0
		.amdhsa_exception_fp_ieee_underflow 0
		.amdhsa_exception_fp_ieee_inexact 0
		.amdhsa_exception_int_div_zero 0
	.end_amdhsa_kernel
	.section	.text._ZN2at6native12_GLOBAL__N_124RowwiseMomentsCUDAKernelIN3c104HalfEfLb0EEEvlT0_PKT_PS5_S9_,"axG",@progbits,_ZN2at6native12_GLOBAL__N_124RowwiseMomentsCUDAKernelIN3c104HalfEfLb0EEEvlT0_PKT_PS5_S9_,comdat
.Lfunc_end7:
	.size	_ZN2at6native12_GLOBAL__N_124RowwiseMomentsCUDAKernelIN3c104HalfEfLb0EEEvlT0_PKT_PS5_S9_, .Lfunc_end7-_ZN2at6native12_GLOBAL__N_124RowwiseMomentsCUDAKernelIN3c104HalfEfLb0EEEvlT0_PKT_PS5_S9_
                                        ; -- End function
	.section	.AMDGPU.csdata,"",@progbits
; Kernel info:
; codeLenInByte = 3452
; NumSgprs: 22
; NumVgprs: 18
; ScratchSize: 0
; MemoryBound: 0
; FloatMode: 240
; IeeeMode: 1
; LDSByteSize: 768 bytes/workgroup (compile time only)
; SGPRBlocks: 2
; VGPRBlocks: 2
; NumSGPRsForWavesPerEU: 22
; NumVGPRsForWavesPerEU: 18
; Occupancy: 16
; WaveLimiterHint : 0
; COMPUTE_PGM_RSRC2:SCRATCH_EN: 0
; COMPUTE_PGM_RSRC2:USER_SGPR: 15
; COMPUTE_PGM_RSRC2:TRAP_HANDLER: 0
; COMPUTE_PGM_RSRC2:TGID_X_EN: 1
; COMPUTE_PGM_RSRC2:TGID_Y_EN: 0
; COMPUTE_PGM_RSRC2:TGID_Z_EN: 0
; COMPUTE_PGM_RSRC2:TIDIG_COMP_CNT: 0
	.section	.text._ZN2at6native12_GLOBAL__N_126LayerNormForwardCUDAKernelIN3c104HalfEfLb0EEEvlPKT_PKT0_SA_S7_S7_PS5_,"axG",@progbits,_ZN2at6native12_GLOBAL__N_126LayerNormForwardCUDAKernelIN3c104HalfEfLb0EEEvlPKT_PKT0_SA_S7_S7_PS5_,comdat
	.globl	_ZN2at6native12_GLOBAL__N_126LayerNormForwardCUDAKernelIN3c104HalfEfLb0EEEvlPKT_PKT0_SA_S7_S7_PS5_ ; -- Begin function _ZN2at6native12_GLOBAL__N_126LayerNormForwardCUDAKernelIN3c104HalfEfLb0EEEvlPKT_PKT0_SA_S7_S7_PS5_
	.p2align	8
	.type	_ZN2at6native12_GLOBAL__N_126LayerNormForwardCUDAKernelIN3c104HalfEfLb0EEEvlPKT_PKT0_SA_S7_S7_PS5_,@function
_ZN2at6native12_GLOBAL__N_126LayerNormForwardCUDAKernelIN3c104HalfEfLb0EEEvlPKT_PKT0_SA_S7_S7_PS5_: ; @_ZN2at6native12_GLOBAL__N_126LayerNormForwardCUDAKernelIN3c104HalfEfLb0EEEvlPKT_PKT0_SA_S7_S7_PS5_
; %bb.0:
	s_load_b256 s[4:11], s[0:1], 0x0
	v_mov_b32_e32 v1, 0
	s_mov_b32 s3, exec_lo
	s_waitcnt lgkmcnt(0)
	s_delay_alu instid0(VALU_DEP_1)
	v_cmpx_gt_i64_e64 s[4:5], v[0:1]
	s_cbranch_execz .LBB8_8
; %bb.1:
	s_mov_b32 s2, s15
	s_clause 0x1
	s_load_b256 s[12:19], s[0:1], 0x20
	s_load_b32 s0, s[0:1], 0x44
	s_mov_b32 s3, 0
	v_dual_mov_b32 v3, v1 :: v_dual_lshlrev_b32 v2, 1, v0
	s_waitcnt lgkmcnt(0)
	s_cmp_lg_u64 s[12:13], 0
	s_cselect_b32 s1, -1, 0
	s_cmp_lg_u64 s[14:15], 0
	s_cselect_b32 s18, -1, 0
	s_lshl_b64 s[20:21], s[2:3], 2
	s_delay_alu instid0(SALU_CYCLE_1)
	s_add_u32 s8, s8, s20
	s_addc_u32 s9, s9, s21
	s_add_u32 s10, s10, s20
	s_addc_u32 s11, s11, s21
	s_load_b32 s8, s[8:9], 0x0
	s_load_b32 s9, s[10:11], 0x0
	s_mul_i32 s10, s5, s2
	s_mul_hi_u32 s11, s4, s2
	s_delay_alu instid0(SALU_CYCLE_1) | instskip(SKIP_3) | instid1(SALU_CYCLE_1)
	s_add_i32 s11, s11, s10
	s_mul_i32 s10, s4, s2
	s_and_b32 s2, s0, 0xffff
	s_lshl_b64 s[20:21], s[10:11], 1
	s_add_u32 s6, s6, s20
	s_addc_u32 s7, s7, s21
	s_lshl_b32 s10, s2, 1
	s_add_u32 s11, s16, s20
	s_addc_u32 s16, s17, s21
	s_set_inst_prefetch_distance 0x1
	s_branch .LBB8_4
	.p2align	6
.LBB8_2:                                ;   in Loop: Header=BB8_4 Depth=1
	v_add_co_u32 v5, vcc_lo, s14, v2
	v_add_co_ci_u32_e32 v6, vcc_lo, s15, v3, vcc_lo
	global_load_u16 v5, v[5:6], off
	s_waitcnt vmcnt(0)
	v_cvt_f32_f16_e32 v5, v5
.LBB8_3:                                ;   in Loop: Header=BB8_4 Depth=1
	v_add_co_u32 v6, vcc_lo, s6, v2
	v_add_co_ci_u32_e32 v7, vcc_lo, s7, v3, vcc_lo
	v_add_co_u32 v0, vcc_lo, v0, s2
	v_add_co_ci_u32_e32 v1, vcc_lo, 0, v1, vcc_lo
	global_load_u16 v6, v[6:7], off
	s_waitcnt vmcnt(0)
	v_cvt_f32_f16_e32 v6, v6
	s_waitcnt lgkmcnt(0)
	s_delay_alu instid0(VALU_DEP_1) | instskip(NEXT) | instid1(VALU_DEP_1)
	v_subrev_f32_e32 v6, s8, v6
	v_mul_f32_e32 v8, s9, v6
	v_add_co_u32 v6, vcc_lo, s11, v2
	v_add_co_ci_u32_e32 v7, vcc_lo, s16, v3, vcc_lo
	v_cmp_le_i64_e32 vcc_lo, s[4:5], v[0:1]
	v_add_co_u32 v2, s0, v2, s10
	v_fma_mixlo_f16 v4, v4, v8, v5
	v_add_co_ci_u32_e64 v3, s0, 0, v3, s0
	s_or_b32 s3, vcc_lo, s3
	global_store_b16 v[6:7], v4, off
	s_and_not1_b32 exec_lo, exec_lo, s3
	s_cbranch_execz .LBB8_8
.LBB8_4:                                ; =>This Inner Loop Header: Depth=1
	s_and_not1_b32 vcc_lo, exec_lo, s1
	s_cbranch_vccnz .LBB8_6
; %bb.5:                                ;   in Loop: Header=BB8_4 Depth=1
	v_add_co_u32 v4, vcc_lo, s12, v2
	v_add_co_ci_u32_e32 v5, vcc_lo, s13, v3, vcc_lo
	global_load_u16 v4, v[4:5], off
	s_waitcnt vmcnt(0)
	v_cvt_f32_f16_e32 v4, v4
	s_and_not1_b32 vcc_lo, exec_lo, s18
	s_cbranch_vccz .LBB8_2
	s_branch .LBB8_7
.LBB8_6:                                ;   in Loop: Header=BB8_4 Depth=1
	v_mov_b32_e32 v4, 1.0
	s_and_not1_b32 vcc_lo, exec_lo, s18
	s_cbranch_vccz .LBB8_2
.LBB8_7:                                ;   in Loop: Header=BB8_4 Depth=1
	v_mov_b32_e32 v5, 0
	s_branch .LBB8_3
.LBB8_8:
	s_set_inst_prefetch_distance 0x2
	s_nop 0
	s_sendmsg sendmsg(MSG_DEALLOC_VGPRS)
	s_endpgm
	.section	.rodata,"a",@progbits
	.p2align	6, 0x0
	.amdhsa_kernel _ZN2at6native12_GLOBAL__N_126LayerNormForwardCUDAKernelIN3c104HalfEfLb0EEEvlPKT_PKT0_SA_S7_S7_PS5_
		.amdhsa_group_segment_fixed_size 0
		.amdhsa_private_segment_fixed_size 0
		.amdhsa_kernarg_size 312
		.amdhsa_user_sgpr_count 15
		.amdhsa_user_sgpr_dispatch_ptr 0
		.amdhsa_user_sgpr_queue_ptr 0
		.amdhsa_user_sgpr_kernarg_segment_ptr 1
		.amdhsa_user_sgpr_dispatch_id 0
		.amdhsa_user_sgpr_private_segment_size 0
		.amdhsa_wavefront_size32 1
		.amdhsa_uses_dynamic_stack 0
		.amdhsa_enable_private_segment 0
		.amdhsa_system_sgpr_workgroup_id_x 1
		.amdhsa_system_sgpr_workgroup_id_y 0
		.amdhsa_system_sgpr_workgroup_id_z 0
		.amdhsa_system_sgpr_workgroup_info 0
		.amdhsa_system_vgpr_workitem_id 0
		.amdhsa_next_free_vgpr 9
		.amdhsa_next_free_sgpr 22
		.amdhsa_reserve_vcc 1
		.amdhsa_float_round_mode_32 0
		.amdhsa_float_round_mode_16_64 0
		.amdhsa_float_denorm_mode_32 3
		.amdhsa_float_denorm_mode_16_64 3
		.amdhsa_dx10_clamp 1
		.amdhsa_ieee_mode 1
		.amdhsa_fp16_overflow 0
		.amdhsa_workgroup_processor_mode 1
		.amdhsa_memory_ordered 1
		.amdhsa_forward_progress 0
		.amdhsa_shared_vgpr_count 0
		.amdhsa_exception_fp_ieee_invalid_op 0
		.amdhsa_exception_fp_denorm_src 0
		.amdhsa_exception_fp_ieee_div_zero 0
		.amdhsa_exception_fp_ieee_overflow 0
		.amdhsa_exception_fp_ieee_underflow 0
		.amdhsa_exception_fp_ieee_inexact 0
		.amdhsa_exception_int_div_zero 0
	.end_amdhsa_kernel
	.section	.text._ZN2at6native12_GLOBAL__N_126LayerNormForwardCUDAKernelIN3c104HalfEfLb0EEEvlPKT_PKT0_SA_S7_S7_PS5_,"axG",@progbits,_ZN2at6native12_GLOBAL__N_126LayerNormForwardCUDAKernelIN3c104HalfEfLb0EEEvlPKT_PKT0_SA_S7_S7_PS5_,comdat
.Lfunc_end8:
	.size	_ZN2at6native12_GLOBAL__N_126LayerNormForwardCUDAKernelIN3c104HalfEfLb0EEEvlPKT_PKT0_SA_S7_S7_PS5_, .Lfunc_end8-_ZN2at6native12_GLOBAL__N_126LayerNormForwardCUDAKernelIN3c104HalfEfLb0EEEvlPKT_PKT0_SA_S7_S7_PS5_
                                        ; -- End function
	.section	.AMDGPU.csdata,"",@progbits
; Kernel info:
; codeLenInByte = 420
; NumSgprs: 24
; NumVgprs: 9
; ScratchSize: 0
; MemoryBound: 0
; FloatMode: 240
; IeeeMode: 1
; LDSByteSize: 0 bytes/workgroup (compile time only)
; SGPRBlocks: 2
; VGPRBlocks: 1
; NumSGPRsForWavesPerEU: 24
; NumVGPRsForWavesPerEU: 9
; Occupancy: 16
; WaveLimiterHint : 0
; COMPUTE_PGM_RSRC2:SCRATCH_EN: 0
; COMPUTE_PGM_RSRC2:USER_SGPR: 15
; COMPUTE_PGM_RSRC2:TRAP_HANDLER: 0
; COMPUTE_PGM_RSRC2:TGID_X_EN: 1
; COMPUTE_PGM_RSRC2:TGID_Y_EN: 0
; COMPUTE_PGM_RSRC2:TGID_Z_EN: 0
; COMPUTE_PGM_RSRC2:TIDIG_COMP_CNT: 0
	.section	.text._ZN2at6native12_GLOBAL__N_128vectorized_layer_norm_kernelIN3c108BFloat16EfLb0EEEviT0_PKT_S8_S8_PS5_S9_PS6_,"axG",@progbits,_ZN2at6native12_GLOBAL__N_128vectorized_layer_norm_kernelIN3c108BFloat16EfLb0EEEviT0_PKT_S8_S8_PS5_S9_PS6_,comdat
	.globl	_ZN2at6native12_GLOBAL__N_128vectorized_layer_norm_kernelIN3c108BFloat16EfLb0EEEviT0_PKT_S8_S8_PS5_S9_PS6_ ; -- Begin function _ZN2at6native12_GLOBAL__N_128vectorized_layer_norm_kernelIN3c108BFloat16EfLb0EEEviT0_PKT_S8_S8_PS5_S9_PS6_
	.p2align	8
	.type	_ZN2at6native12_GLOBAL__N_128vectorized_layer_norm_kernelIN3c108BFloat16EfLb0EEEviT0_PKT_S8_S8_PS5_S9_PS6_,@function
_ZN2at6native12_GLOBAL__N_128vectorized_layer_norm_kernelIN3c108BFloat16EfLb0EEEviT0_PKT_S8_S8_PS5_S9_PS6_: ; @_ZN2at6native12_GLOBAL__N_128vectorized_layer_norm_kernelIN3c108BFloat16EfLb0EEEviT0_PKT_S8_S8_PS5_S9_PS6_
; %bb.0:
	s_mov_b32 s16, s15
	s_clause 0x1
	s_load_b128 s[12:15], s[0:1], 0x0
	s_load_b32 s3, s[0:1], 0x44
	v_and_b32_e32 v2, 0x3ff, v0
	v_bfe_u32 v3, v0, 10, 10
	v_dual_mov_b32 v6, 0 :: v_dual_mov_b32 v5, 0
	v_mov_b32_e32 v4, 0
	s_mov_b32 s17, 0
	s_waitcnt lgkmcnt(0)
	s_ashr_i32 s2, s12, 31
	s_and_b32 s5, s3, 0xffff
	s_mul_i32 s6, s2, s16
	s_lshr_b32 s2, s2, 30
	v_mul_u32_u24_e32 v0, s5, v3
	v_mad_u32_u24 v8, v3, s5, v2
	s_add_i32 s2, s12, s2
	s_mul_hi_u32 s4, s12, s16
	s_ashr_i32 s22, s2, 2
	v_add_lshl_u32 v9, v0, v2, 3
	v_cmp_gt_i32_e64 s2, s22, v8
	s_lshr_b32 s8, s3, 16
	s_add_i32 s21, s4, s6
	s_mul_i32 s20, s12, s16
	s_mul_i32 s18, s8, s5
	s_and_saveexec_b32 s9, s2
	s_cbranch_execz .LBB9_4
; %bb.1:
	s_lshl_b64 s[4:5], s[20:21], 1
	v_dual_mov_b32 v6, 0 :: v_dual_mov_b32 v7, v8
	s_add_u32 s3, s14, s4
	s_addc_u32 s4, s15, s5
	v_add_co_u32 v0, s3, s3, v9
	s_delay_alu instid0(VALU_DEP_1)
	v_add_co_ci_u32_e64 v1, null, s4, 0, s3
	v_dual_mov_b32 v4, 0 :: v_dual_mov_b32 v5, 0
	s_ashr_i32 s19, s18, 31
	s_mov_b32 s10, s17
	s_lshl_b64 s[6:7], s[18:19], 3
.LBB9_2:                                ; =>This Inner Loop Header: Depth=1
	global_load_b64 v[10:11], v[0:1], off
	v_dual_add_f32 v12, 1.0, v6 :: v_dual_add_nc_u32 v7, s18, v7
	s_delay_alu instid0(VALU_DEP_1) | instskip(NEXT) | instid1(VALU_DEP_1)
	v_div_scale_f32 v14, null, v12, v12, 1.0
	v_rcp_f32_e32 v17, v14
	s_waitcnt_depctr 0xfff
	v_fma_f32 v23, -v14, v17, 1.0
	s_delay_alu instid0(VALU_DEP_1) | instskip(SKIP_2) | instid1(VALU_DEP_2)
	v_fmac_f32_e32 v17, v23, v17
	v_add_f32_e32 v13, 1.0, v12
	v_div_scale_f32 v15, vcc_lo, 1.0, v12, 1.0
	v_add_f32_e32 v18, 1.0, v13
	s_delay_alu instid0(VALU_DEP_1) | instskip(SKIP_2) | instid1(VALU_DEP_3)
	v_add_f32_e32 v6, 1.0, v18
	v_div_scale_f32 v16, null, v13, v13, 1.0
	v_div_scale_f32 v21, null, v18, v18, 1.0
	;; [unrolled: 1-line block ×3, first 2 shown]
	s_delay_alu instid0(VALU_DEP_3) | instskip(NEXT) | instid1(VALU_DEP_2)
	v_rcp_f32_e32 v20, v16
	v_rcp_f32_e32 v24, v21
	v_div_scale_f32 v26, s5, 1.0, v6, 1.0
	s_delay_alu instid0(VALU_DEP_2) | instskip(SKIP_2) | instid1(TRANS32_DEP_3)
	v_rcp_f32_e32 v27, v25
	v_div_scale_f32 v19, s3, 1.0, v13, 1.0
	v_div_scale_f32 v22, s4, 1.0, v18, 1.0
	v_fma_f32 v23, -v16, v20, 1.0
	s_delay_alu instid0(VALU_DEP_1) | instskip(NEXT) | instid1(TRANS32_DEP_2)
	v_fmac_f32_e32 v20, v23, v20
	v_fma_f32 v23, -v21, v24, 1.0
	s_delay_alu instid0(VALU_DEP_1) | instskip(NEXT) | instid1(TRANS32_DEP_1)
	v_fmac_f32_e32 v24, v23, v24
	v_fma_f32 v23, -v25, v27, 1.0
	s_delay_alu instid0(VALU_DEP_1) | instskip(NEXT) | instid1(VALU_DEP_1)
	v_fmac_f32_e32 v27, v23, v27
	v_dual_mul_f32 v28, v15, v17 :: v_dual_mul_f32 v23, v26, v27
	s_delay_alu instid0(VALU_DEP_1) | instskip(NEXT) | instid1(VALU_DEP_1)
	v_fma_f32 v29, -v14, v28, v15
	v_fmac_f32_e32 v28, v29, v17
	s_delay_alu instid0(VALU_DEP_1) | instskip(NEXT) | instid1(VALU_DEP_1)
	v_fma_f32 v14, -v14, v28, v15
	v_div_fmas_f32 v14, v14, v17, v28
	s_mov_b32 vcc_lo, s3
	v_cmp_le_i32_e64 s3, s22, v7
	s_delay_alu instid0(VALU_DEP_2) | instskip(NEXT) | instid1(VALU_DEP_2)
	v_div_fixup_f32 v12, v14, v12, 1.0
	s_or_b32 s10, s3, s10
	s_waitcnt vmcnt(0)
	v_dual_mul_f32 v30, v19, v20 :: v_dual_lshlrev_b32 v17, 16, v10
	s_delay_alu instid0(VALU_DEP_1) | instskip(NEXT) | instid1(VALU_DEP_1)
	v_fma_f32 v29, -v16, v30, v19
	v_fmac_f32_e32 v30, v29, v20
	s_delay_alu instid0(VALU_DEP_1) | instskip(NEXT) | instid1(VALU_DEP_1)
	v_fma_f32 v16, -v16, v30, v19
	v_div_fmas_f32 v14, v16, v20, v30
	s_mov_b32 vcc_lo, s4
	s_delay_alu instid0(VALU_DEP_1) | instskip(SKIP_1) | instid1(VALU_DEP_1)
	v_div_fixup_f32 v13, v14, v13, 1.0
	v_sub_f32_e32 v14, v17, v5
	v_fmac_f32_e32 v5, v12, v14
	s_delay_alu instid0(VALU_DEP_1) | instskip(SKIP_1) | instid1(VALU_DEP_1)
	v_sub_f32_e32 v17, v17, v5
	v_mul_f32_e32 v31, v22, v24
	v_fma_f32 v15, -v21, v31, v22
	s_delay_alu instid0(VALU_DEP_1) | instskip(SKIP_1) | instid1(VALU_DEP_2)
	v_fmac_f32_e32 v31, v15, v24
	v_fma_f32 v15, -v25, v23, v26
	v_fma_f32 v16, -v21, v31, v22
	s_delay_alu instid0(VALU_DEP_2) | instskip(NEXT) | instid1(VALU_DEP_2)
	v_fmac_f32_e32 v23, v15, v27
	v_div_fmas_f32 v15, v16, v24, v31
	v_and_b32_e32 v16, 0xffff0000, v10
	v_alignbit_b32 v10, v11, v10, 16
	s_mov_b32 vcc_lo, s5
	v_and_b32_e32 v11, 0xffff0000, v11
	v_div_fixup_f32 v15, v15, v18, 1.0
	v_sub_f32_e32 v12, v16, v5
	v_and_b32_e32 v10, 0xffff0000, v10
	s_delay_alu instid0(VALU_DEP_2) | instskip(SKIP_1) | instid1(VALU_DEP_2)
	v_dual_fmac_f32 v4, v14, v17 :: v_dual_fmac_f32 v5, v13, v12
	v_fma_f32 v13, -v25, v23, v26
	v_sub_f32_e32 v16, v16, v5
	s_delay_alu instid0(VALU_DEP_2) | instskip(SKIP_2) | instid1(VALU_DEP_3)
	v_div_fmas_f32 v13, v13, v27, v23
	v_add_co_u32 v0, vcc_lo, v0, s6
	v_add_co_ci_u32_e32 v1, vcc_lo, s7, v1, vcc_lo
	v_div_fixup_f32 v13, v13, v6, 1.0
	v_sub_f32_e32 v18, v10, v5
	s_delay_alu instid0(VALU_DEP_1) | instskip(NEXT) | instid1(VALU_DEP_1)
	v_dual_fmac_f32 v5, v15, v18 :: v_dual_fmac_f32 v4, v12, v16
	v_sub_f32_e32 v14, v11, v5
	s_delay_alu instid0(VALU_DEP_1) | instskip(NEXT) | instid1(VALU_DEP_1)
	v_dual_sub_f32 v10, v10, v5 :: v_dual_fmac_f32 v5, v13, v14
	v_fmac_f32_e32 v4, v18, v10
	s_delay_alu instid0(VALU_DEP_2) | instskip(NEXT) | instid1(VALU_DEP_1)
	v_sub_f32_e32 v10, v11, v5
	v_fmac_f32_e32 v4, v14, v10
	s_and_not1_b32 exec_lo, exec_lo, s10
	s_cbranch_execnz .LBB9_2
; %bb.3:
	s_or_b32 exec_lo, exec_lo, s10
.LBB9_4:
	s_delay_alu instid0(SALU_CYCLE_1) | instskip(SKIP_4) | instid1(VALU_DEP_3)
	s_or_b32 exec_lo, exec_lo, s9
	v_mbcnt_lo_u32_b32 v0, -1, 0
	v_mov_b32_e32 v11, 0
	s_mov_b32 s3, exec_lo
	v_mov_b32_e32 v10, 0
	v_cmp_gt_u32_e32 vcc_lo, 16, v0
	v_cndmask_b32_e64 v1, 0, 1, vcc_lo
	s_delay_alu instid0(VALU_DEP_1) | instskip(NEXT) | instid1(VALU_DEP_1)
	v_lshlrev_b32_e32 v1, 4, v1
	v_add_lshl_u32 v1, v1, v0, 2
	ds_bpermute_b32 v13, v1, v6
	ds_bpermute_b32 v12, v1, v5
	;; [unrolled: 1-line block ×3, first 2 shown]
	v_mov_b32_e32 v1, 0
	s_waitcnt lgkmcnt(2)
	v_add_f32_e32 v7, v6, v13
	s_delay_alu instid0(VALU_DEP_1)
	v_cmpx_lt_f32_e32 0, v7
	s_cbranch_execz .LBB9_6
; %bb.5:
	v_div_scale_f32 v10, null, v7, v7, 1.0
	v_div_scale_f32 v16, vcc_lo, 1.0, v7, 1.0
	s_delay_alu instid0(VALU_DEP_2) | instskip(SKIP_2) | instid1(VALU_DEP_1)
	v_rcp_f32_e32 v11, v10
	s_waitcnt_depctr 0xfff
	v_fma_f32 v15, -v10, v11, 1.0
	v_fmac_f32_e32 v11, v15, v11
	s_delay_alu instid0(VALU_DEP_1) | instskip(NEXT) | instid1(VALU_DEP_1)
	v_mul_f32_e32 v15, v16, v11
	v_fma_f32 v17, -v10, v15, v16
	s_delay_alu instid0(VALU_DEP_1) | instskip(NEXT) | instid1(VALU_DEP_1)
	v_fmac_f32_e32 v15, v17, v11
	v_fma_f32 v10, -v10, v15, v16
	s_delay_alu instid0(VALU_DEP_1) | instskip(NEXT) | instid1(VALU_DEP_1)
	v_div_fmas_f32 v10, v10, v11, v15
	v_div_fixup_f32 v11, v10, v7, 1.0
	s_waitcnt lgkmcnt(1)
	v_sub_f32_e32 v10, v5, v12
	s_delay_alu instid0(VALU_DEP_1) | instskip(SKIP_3) | instid1(VALU_DEP_1)
	v_mul_f32_e32 v15, v10, v10
	s_waitcnt lgkmcnt(0)
	v_add_f32_e32 v10, v4, v14
	v_mul_f32_e32 v6, v6, v11
	v_dual_mul_f32 v4, v11, v13 :: v_dual_mul_f32 v11, v5, v6
	v_mul_f32_e32 v5, v15, v13
	s_delay_alu instid0(VALU_DEP_1)
	v_dual_fmac_f32 v11, v4, v12 :: v_dual_fmac_f32 v10, v5, v6
.LBB9_6:
	s_or_b32 exec_lo, exec_lo, s3
	v_cmp_gt_u32_e32 vcc_lo, 24, v0
	v_mov_b32_e32 v6, 0
	s_mov_b32 s3, exec_lo
	v_cndmask_b32_e64 v4, 0, 1, vcc_lo
	s_delay_alu instid0(VALU_DEP_1) | instskip(NEXT) | instid1(VALU_DEP_1)
	v_lshlrev_b32_e32 v4, 3, v4
	v_add_lshl_u32 v4, v4, v0, 2
	s_waitcnt lgkmcnt(1)
	ds_bpermute_b32 v12, v4, v7
	ds_bpermute_b32 v5, v4, v11
	ds_bpermute_b32 v13, v4, v10
	s_waitcnt lgkmcnt(2)
	v_add_f32_e32 v4, v7, v12
	s_delay_alu instid0(VALU_DEP_1)
	v_cmpx_lt_f32_e32 0, v4
	s_cbranch_execz .LBB9_8
; %bb.7:
	v_div_scale_f32 v1, null, v4, v4, 1.0
	v_div_scale_f32 v15, vcc_lo, 1.0, v4, 1.0
	s_delay_alu instid0(VALU_DEP_2) | instskip(SKIP_2) | instid1(VALU_DEP_1)
	v_rcp_f32_e32 v6, v1
	s_waitcnt_depctr 0xfff
	v_fma_f32 v14, -v1, v6, 1.0
	v_fmac_f32_e32 v6, v14, v6
	s_delay_alu instid0(VALU_DEP_1) | instskip(NEXT) | instid1(VALU_DEP_1)
	v_mul_f32_e32 v14, v15, v6
	v_fma_f32 v16, -v1, v14, v15
	s_delay_alu instid0(VALU_DEP_1) | instskip(NEXT) | instid1(VALU_DEP_1)
	v_fmac_f32_e32 v14, v16, v6
	v_fma_f32 v1, -v1, v14, v15
	s_delay_alu instid0(VALU_DEP_1) | instskip(NEXT) | instid1(VALU_DEP_1)
	v_div_fmas_f32 v1, v1, v6, v14
	v_div_fixup_f32 v6, v1, v4, 1.0
	s_waitcnt lgkmcnt(1)
	v_sub_f32_e32 v1, v11, v5
	s_delay_alu instid0(VALU_DEP_1) | instskip(SKIP_3) | instid1(VALU_DEP_3)
	v_dual_mul_f32 v7, v7, v6 :: v_dual_mul_f32 v14, v1, v1
	s_waitcnt lgkmcnt(0)
	v_add_f32_e32 v1, v10, v13
	v_mul_f32_e32 v10, v6, v12
	v_dual_mul_f32 v6, v11, v7 :: v_dual_mul_f32 v11, v14, v12
	s_delay_alu instid0(VALU_DEP_1)
	v_dual_fmac_f32 v6, v10, v5 :: v_dual_fmac_f32 v1, v11, v7
.LBB9_8:
	s_or_b32 exec_lo, exec_lo, s3
	v_cmp_gt_u32_e32 vcc_lo, 28, v0
	v_mov_b32_e32 v7, 0
	s_mov_b32 s3, exec_lo
	v_mov_b32_e32 v10, 0
	v_mov_b32_e32 v12, 0
	s_waitcnt lgkmcnt(1)
	v_cndmask_b32_e64 v5, 0, 1, vcc_lo
	s_delay_alu instid0(VALU_DEP_1) | instskip(NEXT) | instid1(VALU_DEP_1)
	v_lshlrev_b32_e32 v5, 2, v5
	v_add_lshl_u32 v5, v5, v0, 2
	s_waitcnt lgkmcnt(0)
	ds_bpermute_b32 v13, v5, v4
	ds_bpermute_b32 v11, v5, v6
	;; [unrolled: 1-line block ×3, first 2 shown]
	s_waitcnt lgkmcnt(2)
	v_add_f32_e32 v5, v4, v13
	s_delay_alu instid0(VALU_DEP_1)
	v_cmpx_lt_f32_e32 0, v5
	s_cbranch_execz .LBB9_10
; %bb.9:
	v_div_scale_f32 v10, null, v5, v5, 1.0
	v_div_scale_f32 v16, vcc_lo, 1.0, v5, 1.0
	s_delay_alu instid0(VALU_DEP_2) | instskip(SKIP_2) | instid1(VALU_DEP_1)
	v_rcp_f32_e32 v12, v10
	s_waitcnt_depctr 0xfff
	v_fma_f32 v15, -v10, v12, 1.0
	v_fmac_f32_e32 v12, v15, v12
	s_delay_alu instid0(VALU_DEP_1) | instskip(NEXT) | instid1(VALU_DEP_1)
	v_mul_f32_e32 v15, v16, v12
	v_fma_f32 v17, -v10, v15, v16
	s_delay_alu instid0(VALU_DEP_1) | instskip(NEXT) | instid1(VALU_DEP_1)
	v_fmac_f32_e32 v15, v17, v12
	v_fma_f32 v10, -v10, v15, v16
	s_delay_alu instid0(VALU_DEP_1) | instskip(NEXT) | instid1(VALU_DEP_1)
	v_div_fmas_f32 v10, v10, v12, v15
	v_div_fixup_f32 v12, v10, v5, 1.0
	s_waitcnt lgkmcnt(1)
	v_sub_f32_e32 v10, v6, v11
	s_delay_alu instid0(VALU_DEP_1) | instskip(SKIP_2) | instid1(VALU_DEP_2)
	v_dual_mul_f32 v4, v4, v12 :: v_dual_mul_f32 v15, v10, v10
	s_waitcnt lgkmcnt(0)
	v_dual_add_f32 v10, v1, v14 :: v_dual_mul_f32 v1, v12, v13
	v_mul_f32_e32 v12, v6, v4
	s_delay_alu instid0(VALU_DEP_3) | instskip(NEXT) | instid1(VALU_DEP_2)
	v_mul_f32_e32 v6, v15, v13
	v_fmac_f32_e32 v12, v1, v11
	s_delay_alu instid0(VALU_DEP_2)
	v_fmac_f32_e32 v10, v6, v4
.LBB9_10:
	s_or_b32 exec_lo, exec_lo, s3
	v_cmp_gt_u32_e32 vcc_lo, 30, v0
	s_waitcnt lgkmcnt(1)
	v_mov_b32_e32 v11, 0
	s_mov_b32 s3, exec_lo
	v_cndmask_b32_e64 v1, 0, 1, vcc_lo
	s_delay_alu instid0(VALU_DEP_1) | instskip(NEXT) | instid1(VALU_DEP_1)
	v_lshlrev_b32_e32 v1, 1, v1
	v_add_lshl_u32 v1, v1, v0, 2
	ds_bpermute_b32 v6, v1, v5
	ds_bpermute_b32 v4, v1, v12
	;; [unrolled: 1-line block ×3, first 2 shown]
	s_waitcnt lgkmcnt(2)
	v_add_f32_e32 v1, v5, v6
	s_delay_alu instid0(VALU_DEP_1)
	v_cmpx_lt_f32_e32 0, v1
	s_cbranch_execz .LBB9_12
; %bb.11:
	v_div_scale_f32 v7, null, v1, v1, 1.0
	v_div_scale_f32 v15, vcc_lo, 1.0, v1, 1.0
	s_delay_alu instid0(VALU_DEP_2) | instskip(SKIP_2) | instid1(VALU_DEP_1)
	v_rcp_f32_e32 v11, v7
	s_waitcnt_depctr 0xfff
	v_fma_f32 v14, -v7, v11, 1.0
	v_fmac_f32_e32 v11, v14, v11
	s_delay_alu instid0(VALU_DEP_1) | instskip(NEXT) | instid1(VALU_DEP_1)
	v_mul_f32_e32 v14, v15, v11
	v_fma_f32 v16, -v7, v14, v15
	s_delay_alu instid0(VALU_DEP_1) | instskip(NEXT) | instid1(VALU_DEP_1)
	v_fmac_f32_e32 v14, v16, v11
	v_fma_f32 v7, -v7, v14, v15
	s_delay_alu instid0(VALU_DEP_1) | instskip(NEXT) | instid1(VALU_DEP_1)
	v_div_fmas_f32 v7, v7, v11, v14
	v_div_fixup_f32 v11, v7, v1, 1.0
	s_waitcnt lgkmcnt(1)
	v_sub_f32_e32 v7, v12, v4
	s_delay_alu instid0(VALU_DEP_2) | instskip(SKIP_1) | instid1(VALU_DEP_2)
	v_mul_f32_e32 v5, v5, v11
	s_waitcnt lgkmcnt(0)
	v_dual_mul_f32 v14, v7, v7 :: v_dual_add_f32 v7, v10, v13
	s_delay_alu instid0(VALU_DEP_2) | instskip(NEXT) | instid1(VALU_DEP_2)
	v_dual_mul_f32 v10, v11, v6 :: v_dual_mul_f32 v11, v12, v5
	v_mul_f32_e32 v6, v14, v6
	s_delay_alu instid0(VALU_DEP_2) | instskip(NEXT) | instid1(VALU_DEP_2)
	v_fmac_f32_e32 v11, v10, v4
	v_fmac_f32_e32 v7, v6, v5
.LBB9_12:
	s_or_b32 exec_lo, exec_lo, s3
	v_cmp_ne_u32_e32 vcc_lo, 31, v0
	v_mov_b32_e32 v6, 0
	s_mov_b32 s3, exec_lo
	v_mov_b32_e32 v5, 0
	v_add_co_ci_u32_e32 v0, vcc_lo, 0, v0, vcc_lo
	s_waitcnt lgkmcnt(1)
	s_delay_alu instid0(VALU_DEP_1)
	v_lshlrev_b32_e32 v4, 2, v0
	ds_bpermute_b32 v10, v4, v1
	ds_bpermute_b32 v0, v4, v11
	;; [unrolled: 1-line block ×3, first 2 shown]
	s_waitcnt lgkmcnt(2)
	v_add_f32_e32 v4, v1, v10
	s_delay_alu instid0(VALU_DEP_1)
	v_cmpx_lt_f32_e32 0, v4
	s_cbranch_execz .LBB9_14
; %bb.13:
	v_div_scale_f32 v5, null, v4, v4, 1.0
	v_div_scale_f32 v14, vcc_lo, 1.0, v4, 1.0
	s_delay_alu instid0(VALU_DEP_2) | instskip(SKIP_2) | instid1(VALU_DEP_1)
	v_rcp_f32_e32 v6, v5
	s_waitcnt_depctr 0xfff
	v_fma_f32 v13, -v5, v6, 1.0
	v_fmac_f32_e32 v6, v13, v6
	s_delay_alu instid0(VALU_DEP_1) | instskip(NEXT) | instid1(VALU_DEP_1)
	v_mul_f32_e32 v13, v14, v6
	v_fma_f32 v15, -v5, v13, v14
	s_delay_alu instid0(VALU_DEP_1) | instskip(NEXT) | instid1(VALU_DEP_1)
	v_fmac_f32_e32 v13, v15, v6
	v_fma_f32 v5, -v5, v13, v14
	s_delay_alu instid0(VALU_DEP_1) | instskip(SKIP_2) | instid1(VALU_DEP_2)
	v_div_fmas_f32 v5, v5, v6, v13
	s_waitcnt lgkmcnt(1)
	v_sub_f32_e32 v6, v11, v0
	v_div_fixup_f32 v5, v5, v4, 1.0
	s_waitcnt lgkmcnt(0)
	s_delay_alu instid0(VALU_DEP_2) | instskip(NEXT) | instid1(VALU_DEP_2)
	v_dual_mul_f32 v13, v6, v6 :: v_dual_add_f32 v6, v7, v12
	v_mul_f32_e32 v1, v1, v5
	v_mul_f32_e32 v7, v5, v10
	s_delay_alu instid0(VALU_DEP_2) | instskip(NEXT) | instid1(VALU_DEP_1)
	v_dual_mul_f32 v5, v11, v1 :: v_dual_mul_f32 v10, v13, v10
	v_dual_fmac_f32 v5, v7, v0 :: v_dual_fmac_f32 v6, v10, v1
.LBB9_14:
	s_or_b32 exec_lo, exec_lo, s3
	s_cmp_lt_u32 s8, 2
	s_cbranch_scc0 .LBB9_16
; %bb.15:
	s_waitcnt lgkmcnt(1)
	v_mov_b32_e32 v0, 0
	v_cvt_f32_i32_e32 v7, s12
	ds_bpermute_b32 v1, v0, v6
	s_waitcnt lgkmcnt(0)
	v_div_scale_f32 v10, null, v7, v7, v1
	s_delay_alu instid0(VALU_DEP_1) | instskip(SKIP_2) | instid1(VALU_DEP_1)
	v_rcp_f32_e32 v11, v10
	s_waitcnt_depctr 0xfff
	v_fma_f32 v12, -v10, v11, 1.0
	v_fmac_f32_e32 v11, v12, v11
	v_div_scale_f32 v12, vcc_lo, v1, v7, v1
	ds_bpermute_b32 v0, v0, v5
	v_mul_f32_e32 v13, v12, v11
	s_delay_alu instid0(VALU_DEP_1) | instskip(NEXT) | instid1(VALU_DEP_1)
	v_fma_f32 v14, -v10, v13, v12
	v_fmac_f32_e32 v13, v14, v11
	s_delay_alu instid0(VALU_DEP_1) | instskip(NEXT) | instid1(VALU_DEP_1)
	v_fma_f32 v10, -v10, v13, v12
	v_div_fmas_f32 v10, v10, v11, v13
	s_delay_alu instid0(VALU_DEP_1)
	v_div_fixup_f32 v1, v10, v7, v1
	s_cbranch_execz .LBB9_17
	s_branch .LBB9_29
.LBB9_16:
                                        ; implicit-def: $vgpr1
.LBB9_17:
	s_lshl_b32 s3, s8, 2
	v_lshl_add_u32 v1, v3, 3, 0
	s_add_i32 s5, s3, 0
	v_cmp_eq_u32_e64 s3, 0, v2
	s_waitcnt lgkmcnt(0)
	v_lshl_add_u32 v0, v3, 2, s5
.LBB9_18:                               ; =>This Inner Loop Header: Depth=1
	s_lshr_b32 s6, s8, 1
	s_and_b32 s4, s8, 0xfffe
	v_cmp_le_u32_e32 vcc_lo, s6, v3
	v_cmp_gt_u32_e64 s4, s4, v3
	s_delay_alu instid0(VALU_DEP_1) | instskip(NEXT) | instid1(SALU_CYCLE_1)
	s_and_b32 s4, vcc_lo, s4
	s_and_b32 s7, s3, s4
	s_delay_alu instid0(SALU_CYCLE_1)
	s_and_saveexec_b32 s4, s7
	s_cbranch_execz .LBB9_20
; %bb.19:                               ;   in Loop: Header=BB9_18 Depth=1
	v_subrev_nc_u32_e32 v7, s6, v3
	s_delay_alu instid0(VALU_DEP_1)
	v_lshl_add_u32 v10, v7, 3, 0
	v_lshl_add_u32 v7, v7, 2, s5
	ds_store_2addr_b32 v10, v5, v6 offset1:1
	ds_store_b32 v7, v4
.LBB9_20:                               ;   in Loop: Header=BB9_18 Depth=1
	s_or_b32 exec_lo, exec_lo, s4
	v_cmp_gt_u32_e32 vcc_lo, s6, v3
	s_waitcnt lgkmcnt(0)
	s_barrier
	buffer_gl0_inv
	s_and_b32 s7, s3, vcc_lo
	s_delay_alu instid0(SALU_CYCLE_1)
	s_and_saveexec_b32 s4, s7
	s_cbranch_execz .LBB9_24
; %bb.21:                               ;   in Loop: Header=BB9_18 Depth=1
	ds_load_b32 v10, v0
	v_mov_b32_e32 v11, 0
	s_mov_b32 s7, exec_lo
	s_waitcnt lgkmcnt(0)
	v_dual_mov_b32 v12, 0 :: v_dual_add_f32 v7, v4, v10
	s_delay_alu instid0(VALU_DEP_1)
	v_cmpx_lt_f32_e32 0, v7
	s_cbranch_execz .LBB9_23
; %bb.22:                               ;   in Loop: Header=BB9_18 Depth=1
	v_div_scale_f32 v11, null, v7, v7, 1.0
	v_div_scale_f32 v15, vcc_lo, 1.0, v7, 1.0
	s_delay_alu instid0(VALU_DEP_2) | instskip(SKIP_2) | instid1(VALU_DEP_1)
	v_rcp_f32_e32 v14, v11
	s_waitcnt_depctr 0xfff
	v_fma_f32 v12, -v11, v14, 1.0
	v_fmac_f32_e32 v14, v12, v14
	ds_load_2addr_b32 v[12:13], v1 offset1:1
	v_mul_f32_e32 v16, v15, v14
	s_delay_alu instid0(VALU_DEP_1) | instskip(NEXT) | instid1(VALU_DEP_1)
	v_fma_f32 v17, -v11, v16, v15
	v_fmac_f32_e32 v16, v17, v14
	s_delay_alu instid0(VALU_DEP_1) | instskip(NEXT) | instid1(VALU_DEP_1)
	v_fma_f32 v11, -v11, v16, v15
	v_div_fmas_f32 v11, v11, v14, v16
	s_delay_alu instid0(VALU_DEP_1) | instskip(SKIP_2) | instid1(VALU_DEP_1)
	v_div_fixup_f32 v14, v11, v7, 1.0
	s_waitcnt lgkmcnt(0)
	v_sub_f32_e32 v11, v5, v12
	v_dual_mul_f32 v15, v10, v14 :: v_dual_mul_f32 v16, v11, v11
	v_dual_add_f32 v11, v6, v13 :: v_dual_mul_f32 v4, v4, v14
	s_delay_alu instid0(VALU_DEP_2) | instskip(NEXT) | instid1(VALU_DEP_1)
	v_mul_f32_e32 v6, v10, v16
	v_dual_mul_f32 v12, v15, v12 :: v_dual_fmac_f32 v11, v4, v6
	s_delay_alu instid0(VALU_DEP_1)
	v_fmac_f32_e32 v12, v5, v4
.LBB9_23:                               ;   in Loop: Header=BB9_18 Depth=1
	s_or_b32 exec_lo, exec_lo, s7
	s_delay_alu instid0(VALU_DEP_1)
	v_dual_mov_b32 v5, v12 :: v_dual_mov_b32 v6, v11
	v_mov_b32_e32 v4, v7
.LBB9_24:                               ;   in Loop: Header=BB9_18 Depth=1
	s_or_b32 exec_lo, exec_lo, s4
	s_cmp_lt_u32 s8, 4
	s_barrier
	buffer_gl0_inv
	s_cbranch_scc1 .LBB9_26
; %bb.25:                               ;   in Loop: Header=BB9_18 Depth=1
	s_mov_b32 s8, s6
	s_branch .LBB9_18
.LBB9_26:
	v_or_b32_e32 v0, v2, v3
	s_mov_b32 s3, exec_lo
	s_delay_alu instid0(VALU_DEP_1)
	v_cmpx_eq_u32_e32 0, v0
	s_cbranch_execz .LBB9_28
; %bb.27:
	v_cvt_f32_i32_e32 v0, s12
	s_delay_alu instid0(VALU_DEP_1) | instskip(SKIP_1) | instid1(VALU_DEP_2)
	v_div_scale_f32 v1, null, v0, v0, v6
	v_div_scale_f32 v4, vcc_lo, v6, v0, v6
	v_rcp_f32_e32 v2, v1
	s_waitcnt_depctr 0xfff
	v_fma_f32 v3, -v1, v2, 1.0
	s_delay_alu instid0(VALU_DEP_1) | instskip(NEXT) | instid1(VALU_DEP_1)
	v_fmac_f32_e32 v2, v3, v2
	v_mul_f32_e32 v3, v4, v2
	s_delay_alu instid0(VALU_DEP_1) | instskip(NEXT) | instid1(VALU_DEP_1)
	v_fma_f32 v7, -v1, v3, v4
	v_fmac_f32_e32 v3, v7, v2
	s_delay_alu instid0(VALU_DEP_1) | instskip(NEXT) | instid1(VALU_DEP_1)
	v_fma_f32 v1, -v1, v3, v4
	v_div_fmas_f32 v1, v1, v2, v3
	s_delay_alu instid0(VALU_DEP_1)
	v_div_fixup_f32 v0, v1, v0, v6
	v_mov_b32_e32 v1, 0
	ds_store_2addr_b32 v1, v5, v0 offset1:1
.LBB9_28:
	s_or_b32 exec_lo, exec_lo, s3
	v_mov_b32_e32 v0, 0
	s_waitcnt lgkmcnt(0)
	s_barrier
	buffer_gl0_inv
	ds_load_2addr_b32 v[0:1], v0 offset1:1
.LBB9_29:
	s_waitcnt lgkmcnt(0)
	s_delay_alu instid0(VALU_DEP_1) | instskip(SKIP_3) | instid1(VALU_DEP_1)
	v_add_f32_e32 v1, s13, v1
	s_clause 0x1
	s_load_b256 s[4:11], s[0:1], 0x10
	s_load_b64 s[0:1], s[0:1], 0x30
	v_mul_f32_e32 v2, 0x4b800000, v1
	v_cmp_gt_f32_e32 vcc_lo, 0x800000, v1
	s_delay_alu instid0(VALU_DEP_2) | instskip(NEXT) | instid1(VALU_DEP_1)
	v_cndmask_b32_e32 v1, v1, v2, vcc_lo
	v_rsq_f32_e32 v1, v1
	s_waitcnt_depctr 0xfff
	v_mul_f32_e32 v2, 0x45800000, v1
	s_delay_alu instid0(VALU_DEP_1)
	v_cndmask_b32_e32 v10, v1, v2, vcc_lo
	s_and_saveexec_b32 s3, s2
	s_cbranch_execz .LBB9_44
; %bb.30:
	s_waitcnt lgkmcnt(0)
	s_cmp_eq_u64 s[4:5], 0
	v_dual_mov_b32 v11, v10 :: v_dual_mov_b32 v12, v0
	s_cselect_b32 s2, -1, 0
	s_cmp_eq_u64 s[6:7], 0
	v_mov_b32_e32 v13, 0
	s_cselect_b32 s23, -1, 0
	s_lshl_b64 s[20:21], s[20:21], 1
	v_cndmask_b32_e64 v14, 0, 1, s23
	s_add_u32 s12, s0, s20
	s_addc_u32 s13, s1, s21
	s_add_u32 s14, s14, s20
	v_mov_b32_e32 v15, v8
	s_addc_u32 s15, s15, s21
	s_ashr_i32 s19, s18, 31
	s_or_b32 s20, s2, s23
	s_lshl_b64 s[0:1], s[18:19], 3
	s_mov_b32 s19, 0
	s_branch .LBB9_32
.LBB9_31:                               ;   in Loop: Header=BB9_32 Depth=1
	v_bfe_u32 v1, v16, 16, 1
	v_and_b32_e32 v5, 0xffff, v5
	s_delay_alu instid0(VALU_DEP_3)
	v_lshl_or_b32 v3, v4, 16, v6
	v_cmp_o_f32_e32 vcc_lo, v16, v16
	v_add_nc_u32_e32 v15, s18, v15
	v_add3_u32 v7, v16, v1, 0x7fff
	s_add_u32 s14, s14, s0
	v_or_b32_e32 v5, v13, v5
	v_add_co_u32 v1, s21, s12, v9
	s_delay_alu instid0(VALU_DEP_3) | instskip(SKIP_3) | instid1(VALU_DEP_2)
	v_and_b32_e32 v4, 0xffff0000, v7
	s_addc_u32 s15, s15, s1
	s_add_u32 s12, s12, s0
	v_add_co_ci_u32_e64 v2, null, s13, 0, s21
	v_cndmask_b32_e32 v4, 0x7fc00000, v4, vcc_lo
	s_addc_u32 s13, s13, s1
	v_cmp_le_i32_e32 vcc_lo, s22, v15
	s_add_u32 s4, s4, s0
	s_addc_u32 s5, s5, s1
	v_or_b32_e32 v4, v5, v4
	s_add_u32 s6, s6, s0
	s_addc_u32 s7, s7, s1
	s_or_b32 s19, vcc_lo, s19
	global_store_b64 v[1:2], v[3:4], off
	s_and_not1_b32 exec_lo, exec_lo, s19
	s_cbranch_execz .LBB9_44
.LBB9_32:                               ; =>This Inner Loop Header: Depth=1
	v_add_co_u32 v1, s21, s14, v9
	s_delay_alu instid0(VALU_DEP_1)
	v_add_co_ci_u32_e64 v2, null, s15, 0, s21
	s_and_b32 vcc_lo, exec_lo, s20
	global_load_b64 v[1:2], v[1:2], off
	s_waitcnt vmcnt(0)
	v_lshrrev_b64 v[3:4], 16, v[1:2]
	s_cbranch_vccz .LBB9_36
; %bb.33:                               ;   in Loop: Header=BB9_32 Depth=1
	s_and_b32 vcc_lo, exec_lo, s2
	s_cbranch_vccz .LBB9_37
; %bb.34:                               ;   in Loop: Header=BB9_32 Depth=1
	v_cmp_ne_u32_e32 vcc_lo, 1, v14
	s_cbranch_vccnz .LBB9_38
; %bb.35:                               ;   in Loop: Header=BB9_32 Depth=1
	v_lshlrev_b32_e32 v5, 16, v2
	v_lshlrev_b32_e32 v4, 16, v1
	v_and_b32_e32 v18, 0xffff0000, v2
	s_delay_alu instid0(VALU_DEP_3) | instskip(NEXT) | instid1(VALU_DEP_3)
	v_dual_sub_f32 v5, v5, v12 :: v_dual_lshlrev_b32 v6, 16, v3
	v_sub_f32_e32 v4, v4, v0
	s_delay_alu instid0(VALU_DEP_2) | instskip(NEXT) | instid1(VALU_DEP_3)
	v_dual_sub_f32 v18, v18, v0 :: v_dual_mul_f32 v5, v11, v5
	v_sub_f32_e32 v6, v6, v0
	s_delay_alu instid0(VALU_DEP_3) | instskip(NEXT) | instid1(VALU_DEP_3)
	v_mul_f32_e32 v4, v10, v4
	v_bfe_u32 v16, v5, 16, 1
	s_delay_alu instid0(VALU_DEP_3) | instskip(NEXT) | instid1(VALU_DEP_3)
	v_mul_f32_e32 v7, v10, v6
	v_bfe_u32 v6, v4, 16, 1
	v_cmp_o_f32_e32 vcc_lo, v4, v4
	s_delay_alu instid0(VALU_DEP_4) | instskip(NEXT) | instid1(VALU_DEP_4)
	v_add3_u32 v16, v5, v16, 0x7fff
	v_bfe_u32 v17, v7, 16, 1
	s_delay_alu instid0(VALU_DEP_4) | instskip(NEXT) | instid1(VALU_DEP_3)
	v_add3_u32 v6, v4, v6, 0x7fff
	v_lshrrev_b32_e32 v16, 16, v16
	s_delay_alu instid0(VALU_DEP_3) | instskip(NEXT) | instid1(VALU_DEP_3)
	v_add3_u32 v17, v7, v17, 0x7fff
	v_lshrrev_b32_e32 v6, 16, v6
	s_delay_alu instid0(VALU_DEP_2) | instskip(NEXT) | instid1(VALU_DEP_2)
	v_lshrrev_b32_e32 v17, 16, v17
	v_cndmask_b32_e32 v6, 0x7fc0, v6, vcc_lo
	v_cmp_o_f32_e32 vcc_lo, v5, v5
	v_dual_cndmask_b32 v5, 0x7fc0, v16 :: v_dual_mul_f32 v16, v10, v18
	v_cmp_o_f32_e32 vcc_lo, v7, v7
	v_cndmask_b32_e32 v4, 0x7fc0, v17, vcc_lo
	s_cbranch_execz .LBB9_39
	s_branch .LBB9_40
.LBB9_36:                               ;   in Loop: Header=BB9_32 Depth=1
                                        ; implicit-def: $vgpr4_vgpr5
                                        ; implicit-def: $vgpr16
                                        ; implicit-def: $vgpr6_vgpr7
	s_branch .LBB9_43
.LBB9_37:                               ;   in Loop: Header=BB9_32 Depth=1
                                        ; implicit-def: $vgpr4_vgpr5
                                        ; implicit-def: $vgpr16
                                        ; implicit-def: $vgpr6_vgpr7
	s_branch .LBB9_41
.LBB9_38:                               ;   in Loop: Header=BB9_32 Depth=1
                                        ; implicit-def: $vgpr4_vgpr5
                                        ; implicit-def: $vgpr16
                                        ; implicit-def: $vgpr6_vgpr7
.LBB9_39:                               ;   in Loop: Header=BB9_32 Depth=1
	v_add_co_u32 v4, s21, s6, v9
	s_delay_alu instid0(VALU_DEP_1)
	v_add_co_ci_u32_e64 v5, null, s7, 0, s21
	v_lshlrev_b32_e32 v7, 16, v3
	v_lshlrev_b32_e32 v6, 16, v1
	v_and_b32_e32 v19, 0xffff0000, v2
	global_load_b64 v[4:5], v[4:5], off
	v_dual_sub_f32 v7, v7, v0 :: v_dual_lshlrev_b32 v16, 16, v2
	v_sub_f32_e32 v6, v6, v0
	v_sub_f32_e32 v19, v19, v0
	s_waitcnt vmcnt(0)
	v_lshlrev_b32_e32 v17, 16, v4
	v_and_b32_e32 v4, 0xffff0000, v4
	v_lshlrev_b32_e32 v18, 16, v5
	s_delay_alu instid0(VALU_DEP_2) | instskip(NEXT) | instid1(VALU_DEP_4)
	v_fmac_f32_e32 v4, v10, v7
	v_dual_sub_f32 v16, v16, v12 :: v_dual_fmac_f32 v17, v10, v6
	s_delay_alu instid0(VALU_DEP_1) | instskip(NEXT) | instid1(VALU_DEP_2)
	v_fmac_f32_e32 v18, v11, v16
	v_bfe_u32 v6, v17, 16, 1
	s_delay_alu instid0(VALU_DEP_4) | instskip(SKIP_1) | instid1(VALU_DEP_4)
	v_bfe_u32 v16, v4, 16, 1
	v_cmp_o_f32_e32 vcc_lo, v17, v17
	v_bfe_u32 v7, v18, 16, 1
	s_delay_alu instid0(VALU_DEP_4) | instskip(NEXT) | instid1(VALU_DEP_4)
	v_add3_u32 v6, v17, v6, 0x7fff
	v_add3_u32 v20, v4, v16, 0x7fff
	v_and_b32_e32 v16, 0xffff0000, v5
	s_delay_alu instid0(VALU_DEP_4) | instskip(NEXT) | instid1(VALU_DEP_4)
	v_add3_u32 v7, v18, v7, 0x7fff
	v_lshrrev_b32_e32 v6, 16, v6
	s_delay_alu instid0(VALU_DEP_3) | instskip(NEXT) | instid1(VALU_DEP_3)
	v_fmac_f32_e32 v16, v10, v19
	v_lshrrev_b32_e32 v5, 16, v7
	s_delay_alu instid0(VALU_DEP_3) | instskip(SKIP_2) | instid1(VALU_DEP_4)
	v_cndmask_b32_e32 v6, 0x7fc0, v6, vcc_lo
	v_cmp_o_f32_e32 vcc_lo, v18, v18
	v_lshrrev_b32_e32 v7, 16, v20
	v_cndmask_b32_e32 v5, 0x7fc0, v5, vcc_lo
	v_cmp_o_f32_e32 vcc_lo, v4, v4
	s_delay_alu instid0(VALU_DEP_3)
	v_cndmask_b32_e32 v4, 0x7fc0, v7, vcc_lo
.LBB9_40:                               ;   in Loop: Header=BB9_32 Depth=1
	s_cbranch_execnz .LBB9_42
.LBB9_41:                               ;   in Loop: Header=BB9_32 Depth=1
	v_add_co_u32 v4, s21, s4, v9
	s_delay_alu instid0(VALU_DEP_1)
	v_add_co_ci_u32_e64 v5, null, s5, 0, s21
	v_lshlrev_b32_e32 v7, 16, v3
	v_lshlrev_b32_e32 v6, 16, v1
	global_load_b64 v[4:5], v[4:5], off
	v_sub_f32_e32 v7, v7, v0
	v_sub_f32_e32 v6, v6, v0
	s_delay_alu instid0(VALU_DEP_2) | instskip(NEXT) | instid1(VALU_DEP_2)
	v_dual_mul_f32 v7, v10, v7 :: v_dual_lshlrev_b32 v16, 16, v2
	v_mul_f32_e32 v6, v10, v6
	s_delay_alu instid0(VALU_DEP_2) | instskip(SKIP_4) | instid1(VALU_DEP_3)
	v_sub_f32_e32 v16, v16, v12
	s_waitcnt vmcnt(0)
	v_lshlrev_b32_e32 v17, 16, v4
	v_and_b32_e32 v4, 0xffff0000, v4
	v_and_b32_e32 v20, 0xffff0000, v5
	v_mul_f32_e32 v6, v6, v17
	s_delay_alu instid0(VALU_DEP_3) | instskip(SKIP_1) | instid1(VALU_DEP_3)
	v_dual_mul_f32 v4, v7, v4 :: v_dual_and_b32 v7, 0xffff0000, v2
	v_lshlrev_b32_e32 v18, 16, v5
	v_bfe_u32 v17, v6, 16, 1
	s_delay_alu instid0(VALU_DEP_3) | instskip(NEXT) | instid1(VALU_DEP_4)
	v_bfe_u32 v19, v4, 16, 1
	v_sub_f32_e32 v7, v7, v0
	v_mul_f32_e32 v16, v11, v16
	v_cmp_o_f32_e32 vcc_lo, v6, v6
	v_add3_u32 v17, v6, v17, 0x7fff
	v_add3_u32 v19, v4, v19, 0x7fff
	s_delay_alu instid0(VALU_DEP_4) | instskip(NEXT) | instid1(VALU_DEP_3)
	v_dual_mul_f32 v7, v10, v7 :: v_dual_mul_f32 v16, v16, v18
	v_lshrrev_b32_e32 v17, 16, v17
	s_delay_alu instid0(VALU_DEP_2) | instskip(NEXT) | instid1(VALU_DEP_2)
	v_bfe_u32 v18, v16, 16, 1
	v_cndmask_b32_e32 v6, 0x7fc0, v17, vcc_lo
	v_cmp_o_f32_e32 vcc_lo, v16, v16
	s_delay_alu instid0(VALU_DEP_3) | instskip(SKIP_1) | instid1(VALU_DEP_2)
	v_add3_u32 v18, v16, v18, 0x7fff
	v_mul_f32_e32 v16, v7, v20
	v_lshrrev_b32_e32 v5, 16, v18
	v_lshrrev_b32_e32 v18, 16, v19
	s_delay_alu instid0(VALU_DEP_2) | instskip(SKIP_1) | instid1(VALU_DEP_3)
	v_cndmask_b32_e32 v5, 0x7fc0, v5, vcc_lo
	v_cmp_o_f32_e32 vcc_lo, v4, v4
	v_cndmask_b32_e32 v4, 0x7fc0, v18, vcc_lo
.LBB9_42:                               ;   in Loop: Header=BB9_32 Depth=1
	s_cbranch_execnz .LBB9_31
.LBB9_43:                               ;   in Loop: Header=BB9_32 Depth=1
	v_add_co_u32 v4, s21, s4, v9
	s_delay_alu instid0(VALU_DEP_1) | instskip(SKIP_1) | instid1(VALU_DEP_1)
	v_add_co_ci_u32_e64 v5, null, s5, 0, s21
	v_add_co_u32 v6, s21, s6, v9
	v_add_co_ci_u32_e64 v7, null, s7, 0, s21
	global_load_b64 v[4:5], v[4:5], off
	global_load_b64 v[6:7], v[6:7], off
	v_lshlrev_b32_e32 v16, 16, v2
	s_delay_alu instid0(VALU_DEP_1) | instskip(SKIP_1) | instid1(VALU_DEP_2)
	v_dual_sub_f32 v16, v16, v12 :: v_dual_lshlrev_b32 v1, 16, v1
	v_lshlrev_b32_e32 v3, 16, v3
	v_sub_f32_e32 v1, v1, v0
	s_delay_alu instid0(VALU_DEP_3) | instskip(NEXT) | instid1(VALU_DEP_3)
	v_mul_f32_e32 v16, v11, v16
	v_sub_f32_e32 v3, v3, v0
	s_delay_alu instid0(VALU_DEP_3)
	v_mul_f32_e32 v1, v10, v1
	s_waitcnt vmcnt(1)
	v_lshlrev_b32_e32 v19, 16, v5
	s_waitcnt vmcnt(0)
	v_lshlrev_b32_e32 v18, 16, v6
	v_and_b32_e32 v21, 0xffff0000, v6
	v_lshlrev_b32_e32 v20, 16, v7
	v_lshlrev_b32_e32 v17, 16, v4
	v_and_b32_e32 v4, 0xffff0000, v4
	s_delay_alu instid0(VALU_DEP_3) | instskip(NEXT) | instid1(VALU_DEP_3)
	v_fmac_f32_e32 v20, v16, v19
	v_dual_mul_f32 v3, v10, v3 :: v_dual_fmac_f32 v18, v1, v17
	v_and_b32_e32 v1, 0xffff0000, v2
	v_and_b32_e32 v17, 0xffff0000, v5
	;; [unrolled: 1-line block ×3, first 2 shown]
	s_delay_alu instid0(VALU_DEP_4) | instskip(NEXT) | instid1(VALU_DEP_4)
	v_bfe_u32 v2, v18, 16, 1
	v_sub_f32_e32 v1, v1, v0
	v_cmp_o_f32_e32 vcc_lo, v18, v18
	s_delay_alu instid0(VALU_DEP_3) | instskip(NEXT) | instid1(VALU_DEP_3)
	v_add3_u32 v2, v18, v2, 0x7fff
	v_mul_f32_e32 v1, v10, v1
	s_delay_alu instid0(VALU_DEP_2) | instskip(NEXT) | instid1(VALU_DEP_2)
	v_lshrrev_b32_e32 v2, 16, v2
	v_dual_fmac_f32 v16, v1, v17 :: v_dual_fmac_f32 v21, v3, v4
	v_bfe_u32 v3, v20, 16, 1
	s_delay_alu instid0(VALU_DEP_3) | instskip(SKIP_1) | instid1(VALU_DEP_4)
	v_cndmask_b32_e32 v6, 0x7fc0, v2, vcc_lo
	v_cmp_o_f32_e32 vcc_lo, v20, v20
	v_bfe_u32 v4, v21, 16, 1
	s_delay_alu instid0(VALU_DEP_4) | instskip(NEXT) | instid1(VALU_DEP_2)
	v_add3_u32 v3, v20, v3, 0x7fff
	v_add3_u32 v4, v21, v4, 0x7fff
	s_delay_alu instid0(VALU_DEP_2) | instskip(NEXT) | instid1(VALU_DEP_2)
	v_lshrrev_b32_e32 v3, 16, v3
	v_lshrrev_b32_e32 v4, 16, v4
	s_delay_alu instid0(VALU_DEP_2) | instskip(SKIP_1) | instid1(VALU_DEP_3)
	v_cndmask_b32_e32 v5, 0x7fc0, v3, vcc_lo
	v_cmp_o_f32_e32 vcc_lo, v21, v21
	v_cndmask_b32_e32 v4, 0x7fc0, v4, vcc_lo
	s_branch .LBB9_31
.LBB9_44:
	s_or_b32 exec_lo, exec_lo, s3
	s_waitcnt lgkmcnt(0)
	s_mov_b32 s0, exec_lo
	v_cmpx_eq_u32_e32 0, v8
; %bb.45:
	s_lshl_b64 s[0:1], s[16:17], 2
	v_mov_b32_e32 v1, 0
	s_add_u32 s2, s8, s0
	s_addc_u32 s3, s9, s1
	s_add_u32 s0, s10, s0
	s_addc_u32 s1, s11, s1
	s_clause 0x1
	global_store_b32 v1, v0, s[2:3]
	global_store_b32 v1, v10, s[0:1]
; %bb.46:
	s_nop 0
	s_sendmsg sendmsg(MSG_DEALLOC_VGPRS)
	s_endpgm
	.section	.rodata,"a",@progbits
	.p2align	6, 0x0
	.amdhsa_kernel _ZN2at6native12_GLOBAL__N_128vectorized_layer_norm_kernelIN3c108BFloat16EfLb0EEEviT0_PKT_S8_S8_PS5_S9_PS6_
		.amdhsa_group_segment_fixed_size 0
		.amdhsa_private_segment_fixed_size 0
		.amdhsa_kernarg_size 312
		.amdhsa_user_sgpr_count 15
		.amdhsa_user_sgpr_dispatch_ptr 0
		.amdhsa_user_sgpr_queue_ptr 0
		.amdhsa_user_sgpr_kernarg_segment_ptr 1
		.amdhsa_user_sgpr_dispatch_id 0
		.amdhsa_user_sgpr_private_segment_size 0
		.amdhsa_wavefront_size32 1
		.amdhsa_uses_dynamic_stack 0
		.amdhsa_enable_private_segment 0
		.amdhsa_system_sgpr_workgroup_id_x 1
		.amdhsa_system_sgpr_workgroup_id_y 0
		.amdhsa_system_sgpr_workgroup_id_z 0
		.amdhsa_system_sgpr_workgroup_info 0
		.amdhsa_system_vgpr_workitem_id 1
		.amdhsa_next_free_vgpr 32
		.amdhsa_next_free_sgpr 24
		.amdhsa_reserve_vcc 1
		.amdhsa_float_round_mode_32 0
		.amdhsa_float_round_mode_16_64 0
		.amdhsa_float_denorm_mode_32 3
		.amdhsa_float_denorm_mode_16_64 3
		.amdhsa_dx10_clamp 1
		.amdhsa_ieee_mode 1
		.amdhsa_fp16_overflow 0
		.amdhsa_workgroup_processor_mode 1
		.amdhsa_memory_ordered 1
		.amdhsa_forward_progress 0
		.amdhsa_shared_vgpr_count 0
		.amdhsa_exception_fp_ieee_invalid_op 0
		.amdhsa_exception_fp_denorm_src 0
		.amdhsa_exception_fp_ieee_div_zero 0
		.amdhsa_exception_fp_ieee_overflow 0
		.amdhsa_exception_fp_ieee_underflow 0
		.amdhsa_exception_fp_ieee_inexact 0
		.amdhsa_exception_int_div_zero 0
	.end_amdhsa_kernel
	.section	.text._ZN2at6native12_GLOBAL__N_128vectorized_layer_norm_kernelIN3c108BFloat16EfLb0EEEviT0_PKT_S8_S8_PS5_S9_PS6_,"axG",@progbits,_ZN2at6native12_GLOBAL__N_128vectorized_layer_norm_kernelIN3c108BFloat16EfLb0EEEviT0_PKT_S8_S8_PS5_S9_PS6_,comdat
.Lfunc_end9:
	.size	_ZN2at6native12_GLOBAL__N_128vectorized_layer_norm_kernelIN3c108BFloat16EfLb0EEEviT0_PKT_S8_S8_PS5_S9_PS6_, .Lfunc_end9-_ZN2at6native12_GLOBAL__N_128vectorized_layer_norm_kernelIN3c108BFloat16EfLb0EEEviT0_PKT_S8_S8_PS5_S9_PS6_
                                        ; -- End function
	.section	.AMDGPU.csdata,"",@progbits
; Kernel info:
; codeLenInByte = 4180
; NumSgprs: 26
; NumVgprs: 32
; ScratchSize: 0
; MemoryBound: 0
; FloatMode: 240
; IeeeMode: 1
; LDSByteSize: 0 bytes/workgroup (compile time only)
; SGPRBlocks: 3
; VGPRBlocks: 3
; NumSGPRsForWavesPerEU: 26
; NumVGPRsForWavesPerEU: 32
; Occupancy: 16
; WaveLimiterHint : 0
; COMPUTE_PGM_RSRC2:SCRATCH_EN: 0
; COMPUTE_PGM_RSRC2:USER_SGPR: 15
; COMPUTE_PGM_RSRC2:TRAP_HANDLER: 0
; COMPUTE_PGM_RSRC2:TGID_X_EN: 1
; COMPUTE_PGM_RSRC2:TGID_Y_EN: 0
; COMPUTE_PGM_RSRC2:TGID_Z_EN: 0
; COMPUTE_PGM_RSRC2:TIDIG_COMP_CNT: 1
	.section	.text._ZN2at6native12_GLOBAL__N_124RowwiseMomentsCUDAKernelIN3c108BFloat16EfLb0EEEvlT0_PKT_PS5_S9_,"axG",@progbits,_ZN2at6native12_GLOBAL__N_124RowwiseMomentsCUDAKernelIN3c108BFloat16EfLb0EEEvlT0_PKT_PS5_S9_,comdat
	.globl	_ZN2at6native12_GLOBAL__N_124RowwiseMomentsCUDAKernelIN3c108BFloat16EfLb0EEEvlT0_PKT_PS5_S9_ ; -- Begin function _ZN2at6native12_GLOBAL__N_124RowwiseMomentsCUDAKernelIN3c108BFloat16EfLb0EEEvlT0_PKT_PS5_S9_
	.p2align	8
	.type	_ZN2at6native12_GLOBAL__N_124RowwiseMomentsCUDAKernelIN3c108BFloat16EfLb0EEEvlT0_PKT_PS5_S9_,@function
_ZN2at6native12_GLOBAL__N_124RowwiseMomentsCUDAKernelIN3c108BFloat16EfLb0EEEvlT0_PKT_PS5_S9_: ; @_ZN2at6native12_GLOBAL__N_124RowwiseMomentsCUDAKernelIN3c108BFloat16EfLb0EEEvlT0_PKT_PS5_S9_
; %bb.0:
	s_clause 0x2
	s_load_b64 s[12:13], s[0:1], 0x0
	s_load_b128 s[4:7], s[0:1], 0x10
	s_load_b64 s[8:9], s[0:1], 0x20
	v_dual_mov_b32 v1, 0 :: v_dual_mov_b32 v4, 0
	v_mov_b32_e32 v5, 0
	s_mov_b32 s10, s15
	s_mov_b32 s11, 0
	s_delay_alu instid0(VALU_DEP_2)
	v_mov_b32_e32 v2, v1
	v_mov_b32_e32 v3, v1
	s_mov_b32 s3, exec_lo
	s_waitcnt lgkmcnt(0)
	v_cmpx_gt_i64_e64 s[12:13], v[0:1]
	s_cbranch_execz .LBB10_4
; %bb.1:
	s_load_b32 s2, s[0:1], 0x34
	s_mul_i32 s15, s13, s10
	s_mul_hi_u32 s16, s12, s10
	s_mul_i32 s14, s12, s10
	s_add_i32 s15, s16, s15
	v_dual_mov_b32 v3, 0 :: v_dual_lshlrev_b32 v2, 1, v0
	s_lshl_b64 s[16:17], s[14:15], 1
	v_dual_mov_b32 v7, v1 :: v_dual_mov_b32 v6, v0
	s_waitcnt lgkmcnt(0)
	s_and_b32 s14, s2, 0xffff
	s_add_u32 s2, s4, s16
	s_addc_u32 s4, s5, s17
	v_add_co_u32 v8, s2, s2, v2
	s_delay_alu instid0(VALU_DEP_1)
	v_add_co_ci_u32_e64 v9, null, s4, 0, s2
	v_mov_b32_e32 v2, 0
	s_lshl_b32 s15, s14, 1
	s_mov_b64 s[4:5], 0
	s_mov_b32 s16, s11
.LBB10_2:                               ; =>This Inner Loop Header: Depth=1
	global_load_u16 v1, v[8:9], off
	s_add_u32 s4, s4, 1
	s_addc_u32 s5, s5, 0
	s_delay_alu instid0(SALU_CYCLE_1) | instskip(NEXT) | instid1(SALU_CYCLE_1)
	s_clz_i32_u32 s2, s5
	s_min_u32 s2, s2, 32
	s_delay_alu instid0(SALU_CYCLE_1) | instskip(SKIP_2) | instid1(SALU_CYCLE_1)
	s_lshl_b64 s[18:19], s[4:5], s2
	s_sub_i32 s2, 32, s2
	s_min_u32 s17, s18, 1
	s_or_b32 s17, s19, s17
	s_delay_alu instid0(SALU_CYCLE_1) | instskip(SKIP_2) | instid1(VALU_DEP_2)
	v_cvt_f32_u32_e32 v4, s17
	s_waitcnt vmcnt(0)
	v_lshlrev_b32_e32 v5, 16, v1
	v_ldexp_f32 v1, v4, s2
	s_delay_alu instid0(VALU_DEP_2) | instskip(NEXT) | instid1(VALU_DEP_1)
	v_sub_f32_e32 v10, v5, v2
	v_div_scale_f32 v4, null, v1, v1, v10
	s_delay_alu instid0(VALU_DEP_1) | instskip(SKIP_2) | instid1(VALU_DEP_1)
	v_rcp_f32_e32 v11, v4
	s_waitcnt_depctr 0xfff
	v_fma_f32 v12, -v4, v11, 1.0
	v_fmac_f32_e32 v11, v12, v11
	v_div_scale_f32 v13, vcc_lo, v10, v1, v10
	s_delay_alu instid0(VALU_DEP_1) | instskip(NEXT) | instid1(VALU_DEP_1)
	v_mul_f32_e32 v12, v13, v11
	v_fma_f32 v14, -v4, v12, v13
	s_delay_alu instid0(VALU_DEP_1) | instskip(NEXT) | instid1(VALU_DEP_1)
	v_fmac_f32_e32 v12, v14, v11
	v_fma_f32 v4, -v4, v12, v13
	s_delay_alu instid0(VALU_DEP_1) | instskip(SKIP_2) | instid1(VALU_DEP_3)
	v_div_fmas_f32 v4, v4, v11, v12
	v_add_co_u32 v6, vcc_lo, v6, s14
	v_add_co_ci_u32_e32 v7, vcc_lo, 0, v7, vcc_lo
	v_div_fixup_f32 v4, v4, v1, v10
	v_add_co_u32 v8, vcc_lo, v8, s15
	s_delay_alu instid0(VALU_DEP_3) | instskip(SKIP_1) | instid1(VALU_DEP_4)
	v_cmp_le_i64_e64 s2, s[12:13], v[6:7]
	v_add_co_ci_u32_e32 v9, vcc_lo, 0, v9, vcc_lo
	v_add_f32_e32 v2, v2, v4
	s_delay_alu instid0(VALU_DEP_3) | instskip(NEXT) | instid1(VALU_DEP_1)
	s_or_b32 s16, s2, s16
	v_dual_sub_f32 v11, v5, v2 :: v_dual_mov_b32 v4, s4
	v_mov_b32_e32 v5, s5
	s_delay_alu instid0(VALU_DEP_2)
	v_fmac_f32_e32 v3, v10, v11
	s_and_not1_b32 exec_lo, exec_lo, s16
	s_cbranch_execnz .LBB10_2
; %bb.3:
	s_or_b32 exec_lo, exec_lo, s16
.LBB10_4:
	s_delay_alu instid0(SALU_CYCLE_1) | instskip(SKIP_2) | instid1(VALU_DEP_1)
	s_or_b32 exec_lo, exec_lo, s3
	v_mbcnt_lo_u32_b32 v12, -1, 0
	s_mov_b32 s2, exec_lo
	v_cmp_gt_u32_e32 vcc_lo, 16, v12
	v_cndmask_b32_e64 v6, 0, 1, vcc_lo
	s_delay_alu instid0(VALU_DEP_1) | instskip(NEXT) | instid1(VALU_DEP_1)
	v_lshlrev_b32_e32 v6, 4, v6
	v_add_lshl_u32 v8, v6, v12, 2
	ds_bpermute_b32 v11, v8, v2
	ds_bpermute_b32 v9, v8, v3
	ds_bpermute_b32 v6, v8, v4
	ds_bpermute_b32 v7, v8, v5
	ds_bpermute_b32 v10, v8, v1
	v_cmpx_neq_f32_e32 0, v1
	s_xor_b32 s2, exec_lo, s2
	s_cbranch_execz .LBB10_8
; %bb.5:
	s_mov_b32 s3, exec_lo
	s_waitcnt lgkmcnt(0)
	v_cmpx_neq_f32_e32 0, v10
	s_cbranch_execz .LBB10_7
; %bb.6:
	v_add_f32_e32 v6, v1, v10
	v_sub_f32_e32 v11, v11, v2
	v_add_f32_e32 v3, v3, v9
	s_delay_alu instid0(VALU_DEP_3) | instskip(NEXT) | instid1(VALU_DEP_1)
	v_div_scale_f32 v4, null, v6, v6, v10
	v_rcp_f32_e32 v5, v4
	s_waitcnt_depctr 0xfff
	v_fma_f32 v7, -v4, v5, 1.0
	s_delay_alu instid0(VALU_DEP_1) | instskip(SKIP_1) | instid1(VALU_DEP_1)
	v_fmac_f32_e32 v5, v7, v5
	v_div_scale_f32 v13, vcc_lo, v10, v6, v10
	v_mul_f32_e32 v7, v13, v5
	s_delay_alu instid0(VALU_DEP_1) | instskip(NEXT) | instid1(VALU_DEP_1)
	v_fma_f32 v14, -v4, v7, v13
	v_fmac_f32_e32 v7, v14, v5
	s_delay_alu instid0(VALU_DEP_1) | instskip(NEXT) | instid1(VALU_DEP_1)
	v_fma_f32 v4, -v4, v7, v13
	v_div_fmas_f32 v4, v4, v5, v7
	v_mul_f32_e32 v5, v11, v11
	s_delay_alu instid0(VALU_DEP_2) | instskip(NEXT) | instid1(VALU_DEP_2)
	v_div_fixup_f32 v7, v4, v6, v10
	v_dual_mul_f32 v1, v1, v5 :: v_dual_mov_b32 v4, -1
	s_delay_alu instid0(VALU_DEP_2) | instskip(NEXT) | instid1(VALU_DEP_2)
	v_dual_mov_b32 v5, -1 :: v_dual_fmac_f32 v2, v11, v7
	v_fmac_f32_e32 v3, v1, v7
	v_mov_b32_e32 v1, v6
.LBB10_7:
	s_or_b32 exec_lo, exec_lo, s3
                                        ; implicit-def: $vgpr6
                                        ; implicit-def: $vgpr10
                                        ; implicit-def: $vgpr9
                                        ; implicit-def: $vgpr11
.LBB10_8:
	s_and_not1_saveexec_b32 s2, s2
	s_cbranch_execz .LBB10_10
; %bb.9:
	s_waitcnt lgkmcnt(0)
	v_dual_mov_b32 v1, v10 :: v_dual_mov_b32 v2, v11
	v_dual_mov_b32 v4, v6 :: v_dual_mov_b32 v5, v7
	v_mov_b32_e32 v3, v9
.LBB10_10:
	s_or_b32 exec_lo, exec_lo, s2
	v_cmp_gt_u32_e32 vcc_lo, 24, v12
	s_mov_b32 s2, exec_lo
	s_waitcnt lgkmcnt(2)
	v_cndmask_b32_e64 v6, 0, 1, vcc_lo
	s_delay_alu instid0(VALU_DEP_1) | instskip(NEXT) | instid1(VALU_DEP_1)
	v_lshlrev_b32_e32 v6, 3, v6
	v_add_lshl_u32 v9, v6, v12, 2
	ds_bpermute_b32 v13, v9, v2
	s_waitcnt lgkmcnt(1)
	ds_bpermute_b32 v10, v9, v3
	ds_bpermute_b32 v6, v9, v4
	ds_bpermute_b32 v7, v9, v5
	ds_bpermute_b32 v11, v9, v1
	v_cmpx_neq_f32_e32 0, v1
	s_xor_b32 s2, exec_lo, s2
	s_cbranch_execz .LBB10_14
; %bb.11:
	s_mov_b32 s3, exec_lo
	s_waitcnt lgkmcnt(0)
	v_cmpx_neq_f32_e32 0, v11
	s_cbranch_execz .LBB10_13
; %bb.12:
	v_add_f32_e32 v6, v1, v11
	v_sub_f32_e32 v13, v13, v2
	s_delay_alu instid0(VALU_DEP_2) | instskip(NEXT) | instid1(VALU_DEP_1)
	v_div_scale_f32 v4, null, v6, v6, v11
	v_rcp_f32_e32 v5, v4
	s_waitcnt_depctr 0xfff
	v_fma_f32 v7, -v4, v5, 1.0
	s_delay_alu instid0(VALU_DEP_1) | instskip(SKIP_1) | instid1(VALU_DEP_1)
	v_fmac_f32_e32 v5, v7, v5
	v_div_scale_f32 v14, vcc_lo, v11, v6, v11
	v_mul_f32_e32 v7, v14, v5
	s_delay_alu instid0(VALU_DEP_1) | instskip(NEXT) | instid1(VALU_DEP_1)
	v_fma_f32 v15, -v4, v7, v14
	v_fmac_f32_e32 v7, v15, v5
	s_delay_alu instid0(VALU_DEP_1) | instskip(NEXT) | instid1(VALU_DEP_1)
	v_fma_f32 v4, -v4, v7, v14
	v_div_fmas_f32 v4, v4, v5, v7
	v_mul_f32_e32 v5, v13, v13
	s_delay_alu instid0(VALU_DEP_2) | instskip(SKIP_1) | instid1(VALU_DEP_3)
	v_div_fixup_f32 v7, v4, v6, v11
	v_add_f32_e32 v3, v3, v10
	v_dual_mul_f32 v1, v1, v5 :: v_dual_mov_b32 v4, -1
	s_delay_alu instid0(VALU_DEP_3) | instskip(NEXT) | instid1(VALU_DEP_2)
	v_dual_mov_b32 v5, -1 :: v_dual_fmac_f32 v2, v13, v7
	v_fmac_f32_e32 v3, v1, v7
	v_mov_b32_e32 v1, v6
.LBB10_13:
	s_or_b32 exec_lo, exec_lo, s3
                                        ; implicit-def: $vgpr6
                                        ; implicit-def: $vgpr11
                                        ; implicit-def: $vgpr10
                                        ; implicit-def: $vgpr13
.LBB10_14:
	s_and_not1_saveexec_b32 s2, s2
	s_cbranch_execz .LBB10_16
; %bb.15:
	s_waitcnt lgkmcnt(0)
	v_dual_mov_b32 v1, v11 :: v_dual_mov_b32 v4, v6
	v_dual_mov_b32 v5, v7 :: v_dual_mov_b32 v2, v13
	v_mov_b32_e32 v3, v10
.LBB10_16:
	s_or_b32 exec_lo, exec_lo, s2
	v_cmp_gt_u32_e32 vcc_lo, 28, v12
	s_mov_b32 s2, exec_lo
	s_waitcnt lgkmcnt(2)
	v_cndmask_b32_e64 v6, 0, 1, vcc_lo
	s_delay_alu instid0(VALU_DEP_1) | instskip(NEXT) | instid1(VALU_DEP_1)
	v_lshlrev_b32_e32 v6, 2, v6
	v_add_lshl_u32 v10, v6, v12, 2
	ds_bpermute_b32 v14, v10, v2
	s_waitcnt lgkmcnt(1)
	ds_bpermute_b32 v11, v10, v3
	ds_bpermute_b32 v6, v10, v4
	;; [unrolled: 1-line block ×4, first 2 shown]
	v_cmpx_neq_f32_e32 0, v1
	s_xor_b32 s2, exec_lo, s2
	s_cbranch_execz .LBB10_20
; %bb.17:
	s_mov_b32 s3, exec_lo
	s_waitcnt lgkmcnt(0)
	v_cmpx_neq_f32_e32 0, v13
	s_cbranch_execz .LBB10_19
; %bb.18:
	v_dual_sub_f32 v14, v14, v2 :: v_dual_add_f32 v3, v3, v11
	v_add_f32_e32 v6, v1, v13
	s_delay_alu instid0(VALU_DEP_1) | instskip(SKIP_1) | instid1(VALU_DEP_2)
	v_div_scale_f32 v4, null, v6, v6, v13
	v_div_scale_f32 v15, vcc_lo, v13, v6, v13
	v_rcp_f32_e32 v5, v4
	s_waitcnt_depctr 0xfff
	v_fma_f32 v7, -v4, v5, 1.0
	s_delay_alu instid0(VALU_DEP_1) | instskip(NEXT) | instid1(VALU_DEP_1)
	v_fmac_f32_e32 v5, v7, v5
	v_mul_f32_e32 v7, v15, v5
	s_delay_alu instid0(VALU_DEP_1) | instskip(NEXT) | instid1(VALU_DEP_1)
	v_fma_f32 v16, -v4, v7, v15
	v_fmac_f32_e32 v7, v16, v5
	s_delay_alu instid0(VALU_DEP_1) | instskip(NEXT) | instid1(VALU_DEP_1)
	v_fma_f32 v4, -v4, v7, v15
	v_div_fmas_f32 v4, v4, v5, v7
	v_mul_f32_e32 v5, v14, v14
	s_delay_alu instid0(VALU_DEP_2) | instskip(NEXT) | instid1(VALU_DEP_2)
	v_div_fixup_f32 v7, v4, v6, v13
	v_dual_mul_f32 v1, v1, v5 :: v_dual_mov_b32 v4, -1
	s_delay_alu instid0(VALU_DEP_2) | instskip(NEXT) | instid1(VALU_DEP_2)
	v_dual_mov_b32 v5, -1 :: v_dual_fmac_f32 v2, v14, v7
	v_fmac_f32_e32 v3, v1, v7
	v_mov_b32_e32 v1, v6
.LBB10_19:
	s_or_b32 exec_lo, exec_lo, s3
                                        ; implicit-def: $vgpr6
                                        ; implicit-def: $vgpr13
                                        ; implicit-def: $vgpr11
                                        ; implicit-def: $vgpr14
.LBB10_20:
	s_and_not1_saveexec_b32 s2, s2
	s_cbranch_execz .LBB10_22
; %bb.21:
	s_waitcnt lgkmcnt(0)
	v_dual_mov_b32 v1, v13 :: v_dual_mov_b32 v4, v6
	v_dual_mov_b32 v5, v7 :: v_dual_mov_b32 v2, v14
	v_mov_b32_e32 v3, v11
.LBB10_22:
	s_or_b32 exec_lo, exec_lo, s2
	v_cmp_gt_u32_e32 vcc_lo, 30, v12
	s_mov_b32 s2, exec_lo
	s_waitcnt lgkmcnt(2)
	v_cndmask_b32_e64 v6, 0, 1, vcc_lo
	s_delay_alu instid0(VALU_DEP_1) | instskip(NEXT) | instid1(VALU_DEP_1)
	v_lshlrev_b32_e32 v6, 1, v6
	v_add_lshl_u32 v11, v6, v12, 2
	ds_bpermute_b32 v15, v11, v2
	s_waitcnt lgkmcnt(1)
	ds_bpermute_b32 v13, v11, v3
	ds_bpermute_b32 v6, v11, v4
	;; [unrolled: 1-line block ×4, first 2 shown]
	v_cmpx_neq_f32_e32 0, v1
	s_xor_b32 s2, exec_lo, s2
	s_cbranch_execz .LBB10_26
; %bb.23:
	s_mov_b32 s3, exec_lo
	s_waitcnt lgkmcnt(0)
	v_cmpx_neq_f32_e32 0, v14
	s_cbranch_execz .LBB10_25
; %bb.24:
	v_add_f32_e32 v6, v1, v14
	v_sub_f32_e32 v15, v15, v2
	v_add_f32_e32 v3, v3, v13
	s_delay_alu instid0(VALU_DEP_3) | instskip(NEXT) | instid1(VALU_DEP_1)
	v_div_scale_f32 v4, null, v6, v6, v14
	v_rcp_f32_e32 v5, v4
	s_waitcnt_depctr 0xfff
	v_fma_f32 v7, -v4, v5, 1.0
	s_delay_alu instid0(VALU_DEP_1) | instskip(SKIP_1) | instid1(VALU_DEP_1)
	v_fmac_f32_e32 v5, v7, v5
	v_div_scale_f32 v16, vcc_lo, v14, v6, v14
	v_mul_f32_e32 v7, v16, v5
	s_delay_alu instid0(VALU_DEP_1) | instskip(NEXT) | instid1(VALU_DEP_1)
	v_fma_f32 v17, -v4, v7, v16
	v_fmac_f32_e32 v7, v17, v5
	s_delay_alu instid0(VALU_DEP_1) | instskip(NEXT) | instid1(VALU_DEP_1)
	v_fma_f32 v4, -v4, v7, v16
	v_div_fmas_f32 v4, v4, v5, v7
	v_mul_f32_e32 v5, v15, v15
	s_delay_alu instid0(VALU_DEP_2) | instskip(NEXT) | instid1(VALU_DEP_2)
	v_div_fixup_f32 v7, v4, v6, v14
	v_dual_mul_f32 v1, v1, v5 :: v_dual_mov_b32 v4, -1
	s_delay_alu instid0(VALU_DEP_2) | instskip(NEXT) | instid1(VALU_DEP_2)
	v_dual_mov_b32 v5, -1 :: v_dual_fmac_f32 v2, v15, v7
	v_fmac_f32_e32 v3, v1, v7
	v_mov_b32_e32 v1, v6
.LBB10_25:
	s_or_b32 exec_lo, exec_lo, s3
                                        ; implicit-def: $vgpr6
                                        ; implicit-def: $vgpr14
                                        ; implicit-def: $vgpr13
                                        ; implicit-def: $vgpr15
.LBB10_26:
	s_and_not1_saveexec_b32 s2, s2
	s_cbranch_execz .LBB10_28
; %bb.27:
	s_waitcnt lgkmcnt(0)
	v_dual_mov_b32 v1, v14 :: v_dual_mov_b32 v2, v15
	v_dual_mov_b32 v4, v6 :: v_dual_mov_b32 v5, v7
	v_mov_b32_e32 v3, v13
.LBB10_28:
	s_or_b32 exec_lo, exec_lo, s2
	v_cmp_ne_u32_e32 vcc_lo, 31, v12
	s_mov_b32 s2, exec_lo
	s_waitcnt lgkmcnt(2)
	v_add_co_ci_u32_e32 v6, vcc_lo, 0, v12, vcc_lo
	s_delay_alu instid0(VALU_DEP_1)
	v_lshlrev_b32_e32 v12, 2, v6
	ds_bpermute_b32 v15, v12, v2
	ds_bpermute_b32 v13, v12, v3
	ds_bpermute_b32 v6, v12, v4
	s_waitcnt lgkmcnt(4)
	ds_bpermute_b32 v7, v12, v5
	s_waitcnt lgkmcnt(4)
	ds_bpermute_b32 v14, v12, v1
	v_cmpx_neq_f32_e32 0, v1
	s_xor_b32 s2, exec_lo, s2
	s_cbranch_execz .LBB10_32
; %bb.29:
	s_mov_b32 s3, exec_lo
	s_waitcnt lgkmcnt(0)
	v_cmpx_neq_f32_e32 0, v14
	s_cbranch_execz .LBB10_31
; %bb.30:
	v_add_f32_e32 v6, v1, v14
	v_sub_f32_e32 v15, v15, v2
	v_add_f32_e32 v3, v3, v13
	s_delay_alu instid0(VALU_DEP_3) | instskip(NEXT) | instid1(VALU_DEP_1)
	v_div_scale_f32 v4, null, v6, v6, v14
	v_rcp_f32_e32 v5, v4
	s_waitcnt_depctr 0xfff
	v_fma_f32 v7, -v4, v5, 1.0
	s_delay_alu instid0(VALU_DEP_1) | instskip(SKIP_1) | instid1(VALU_DEP_1)
	v_fmac_f32_e32 v5, v7, v5
	v_div_scale_f32 v16, vcc_lo, v14, v6, v14
	v_mul_f32_e32 v7, v16, v5
	s_delay_alu instid0(VALU_DEP_1) | instskip(NEXT) | instid1(VALU_DEP_1)
	v_fma_f32 v17, -v4, v7, v16
	v_fmac_f32_e32 v7, v17, v5
	s_delay_alu instid0(VALU_DEP_1) | instskip(NEXT) | instid1(VALU_DEP_1)
	v_fma_f32 v4, -v4, v7, v16
	v_div_fmas_f32 v4, v4, v5, v7
	v_mul_f32_e32 v5, v15, v15
	s_delay_alu instid0(VALU_DEP_2) | instskip(NEXT) | instid1(VALU_DEP_2)
	v_div_fixup_f32 v7, v4, v6, v14
	v_dual_mul_f32 v1, v1, v5 :: v_dual_mov_b32 v4, -1
	s_delay_alu instid0(VALU_DEP_2) | instskip(NEXT) | instid1(VALU_DEP_2)
	v_dual_mov_b32 v5, -1 :: v_dual_fmac_f32 v2, v15, v7
	v_fmac_f32_e32 v3, v1, v7
	v_mov_b32_e32 v1, v6
.LBB10_31:
	s_or_b32 exec_lo, exec_lo, s3
                                        ; implicit-def: $vgpr6
                                        ; implicit-def: $vgpr14
                                        ; implicit-def: $vgpr13
                                        ; implicit-def: $vgpr15
.LBB10_32:
	s_and_not1_saveexec_b32 s2, s2
	s_cbranch_execz .LBB10_34
; %bb.33:
	s_waitcnt lgkmcnt(0)
	v_dual_mov_b32 v1, v14 :: v_dual_mov_b32 v2, v15
	v_dual_mov_b32 v4, v6 :: v_dual_mov_b32 v5, v7
	v_mov_b32_e32 v3, v13
.LBB10_34:
	s_or_b32 exec_lo, exec_lo, s2
	s_waitcnt lgkmcnt(2)
	v_and_b32_e32 v6, 31, v0
	s_mov_b32 s2, exec_lo
	s_waitcnt lgkmcnt(0)
	s_barrier
	buffer_gl0_inv
	v_cmpx_eq_u32_e32 0, v6
	s_cbranch_execz .LBB10_36
; %bb.35:
	v_lshrrev_b32_e32 v7, 5, v0
	s_delay_alu instid0(VALU_DEP_1)
	v_mul_u32_u24_e32 v7, 24, v7
	ds_store_2addr_b64 v7, v[2:3], v[4:5] offset1:1
	ds_store_b32 v7, v1 offset:16
.LBB10_36:
	s_or_b32 exec_lo, exec_lo, s2
	s_waitcnt lgkmcnt(0)
	s_barrier
	buffer_gl0_inv
	s_load_b32 s2, s[0:1], 0x34
	v_mul_u32_u24_e32 v4, 24, v6
	v_dual_mov_b32 v2, 0 :: v_dual_mov_b32 v1, 0
	s_waitcnt lgkmcnt(0)
	s_bfe_u32 s2, s2, 0xb0005
	s_delay_alu instid0(SALU_CYCLE_1)
	v_cmp_gt_u32_e32 vcc_lo, s2, v0
	s_and_saveexec_b32 s2, vcc_lo
	s_cbranch_execnz .LBB10_65
; %bb.37:
	s_or_b32 exec_lo, exec_lo, s2
	s_and_saveexec_b32 s2, vcc_lo
	s_cbranch_execnz .LBB10_66
.LBB10_38:
	s_or_b32 exec_lo, exec_lo, s2
	v_mov_b32_e32 v3, 0
	s_and_saveexec_b32 s2, vcc_lo
	s_cbranch_execz .LBB10_40
.LBB10_39:
	ds_load_b32 v3, v4 offset:16
.LBB10_40:
	s_or_b32 exec_lo, exec_lo, s2
	s_delay_alu instid0(SALU_CYCLE_1)
	s_mov_b32 s2, exec_lo
	v_cmpx_gt_u32_e32 32, v0
	s_cbranch_execz .LBB10_62
; %bb.41:
	s_waitcnt lgkmcnt(0)
	ds_bpermute_b32 v6, v8, v1
	ds_bpermute_b32 v4, v8, v2
	;; [unrolled: 1-line block ×3, first 2 shown]
	s_mov_b32 s3, exec_lo
	v_cmpx_neq_f32_e32 0, v3
	s_cbranch_execz .LBB10_45
; %bb.42:
	s_mov_b32 s4, exec_lo
	s_waitcnt lgkmcnt(0)
	v_cmpx_neq_f32_e32 0, v5
	s_cbranch_execz .LBB10_44
; %bb.43:
	v_dual_add_f32 v7, v3, v5 :: v_dual_add_f32 v2, v2, v4
	v_sub_f32_e32 v6, v6, v1
	s_delay_alu instid0(VALU_DEP_2) | instskip(SKIP_1) | instid1(VALU_DEP_2)
	v_div_scale_f32 v8, null, v7, v7, v5
	v_div_scale_f32 v15, vcc_lo, v5, v7, v5
	v_rcp_f32_e32 v13, v8
	s_waitcnt_depctr 0xfff
	v_fma_f32 v14, -v8, v13, 1.0
	s_delay_alu instid0(VALU_DEP_1) | instskip(NEXT) | instid1(VALU_DEP_1)
	v_fmac_f32_e32 v13, v14, v13
	v_mul_f32_e32 v14, v15, v13
	s_delay_alu instid0(VALU_DEP_1) | instskip(NEXT) | instid1(VALU_DEP_1)
	v_fma_f32 v16, -v8, v14, v15
	v_fmac_f32_e32 v14, v16, v13
	s_delay_alu instid0(VALU_DEP_1) | instskip(NEXT) | instid1(VALU_DEP_1)
	v_fma_f32 v8, -v8, v14, v15
	v_div_fmas_f32 v8, v8, v13, v14
	v_mul_f32_e32 v13, v6, v6
	s_delay_alu instid0(VALU_DEP_2) | instskip(NEXT) | instid1(VALU_DEP_2)
	v_div_fixup_f32 v4, v8, v7, v5
	v_mul_f32_e32 v3, v3, v13
	s_delay_alu instid0(VALU_DEP_1)
	v_fmac_f32_e32 v2, v3, v4
	v_mov_b32_e32 v3, v7
	v_fmac_f32_e32 v1, v6, v4
.LBB10_44:
	s_or_b32 exec_lo, exec_lo, s4
	s_delay_alu instid0(VALU_DEP_2) | instskip(NEXT) | instid1(VALU_DEP_2)
	v_dual_mov_b32 v5, v3 :: v_dual_mov_b32 v4, v2
	v_mov_b32_e32 v6, v1
.LBB10_45:
	s_or_b32 exec_lo, exec_lo, s3
	s_waitcnt lgkmcnt(2)
	ds_bpermute_b32 v7, v9, v6
	s_waitcnt lgkmcnt(2)
	ds_bpermute_b32 v1, v9, v4
	;; [unrolled: 2-line block ×3, first 2 shown]
	s_mov_b32 s3, exec_lo
	v_cmpx_neq_f32_e32 0, v5
	s_cbranch_execz .LBB10_49
; %bb.46:
	s_mov_b32 s4, exec_lo
	s_waitcnt lgkmcnt(0)
	v_cmpx_neq_f32_e32 0, v3
	s_cbranch_execz .LBB10_48
; %bb.47:
	v_dual_add_f32 v2, v5, v3 :: v_dual_sub_f32 v7, v7, v6
	v_add_f32_e32 v4, v4, v1
	s_delay_alu instid0(VALU_DEP_2) | instskip(SKIP_1) | instid1(VALU_DEP_2)
	v_div_scale_f32 v8, null, v2, v2, v3
	v_div_scale_f32 v14, vcc_lo, v3, v2, v3
	v_rcp_f32_e32 v9, v8
	s_waitcnt_depctr 0xfff
	v_fma_f32 v13, -v8, v9, 1.0
	s_delay_alu instid0(VALU_DEP_1) | instskip(NEXT) | instid1(VALU_DEP_1)
	v_fmac_f32_e32 v9, v13, v9
	v_mul_f32_e32 v13, v14, v9
	s_delay_alu instid0(VALU_DEP_1) | instskip(NEXT) | instid1(VALU_DEP_1)
	v_fma_f32 v15, -v8, v13, v14
	v_fmac_f32_e32 v13, v15, v9
	s_delay_alu instid0(VALU_DEP_1) | instskip(NEXT) | instid1(VALU_DEP_1)
	v_fma_f32 v8, -v8, v13, v14
	v_div_fmas_f32 v8, v8, v9, v13
	v_mul_f32_e32 v9, v7, v7
	s_delay_alu instid0(VALU_DEP_2) | instskip(NEXT) | instid1(VALU_DEP_2)
	v_div_fixup_f32 v1, v8, v2, v3
	v_mul_f32_e32 v3, v5, v9
	s_delay_alu instid0(VALU_DEP_2) | instskip(NEXT) | instid1(VALU_DEP_2)
	v_dual_mov_b32 v5, v2 :: v_dual_fmac_f32 v6, v7, v1
	v_fmac_f32_e32 v4, v3, v1
.LBB10_48:
	s_or_b32 exec_lo, exec_lo, s4
	s_delay_alu instid0(VALU_DEP_2) | instskip(NEXT) | instid1(VALU_DEP_2)
	v_mov_b32_e32 v3, v5
	v_mov_b32_e32 v1, v4
	;; [unrolled: 1-line block ×3, first 2 shown]
.LBB10_49:
	s_or_b32 exec_lo, exec_lo, s3
	s_waitcnt lgkmcnt(2)
	ds_bpermute_b32 v8, v10, v7
	s_waitcnt lgkmcnt(2)
	ds_bpermute_b32 v2, v10, v1
	;; [unrolled: 2-line block ×3, first 2 shown]
	s_mov_b32 s3, exec_lo
	v_cmpx_neq_f32_e32 0, v3
	s_cbranch_execz .LBB10_53
; %bb.50:
	s_mov_b32 s4, exec_lo
	s_waitcnt lgkmcnt(0)
	v_cmpx_neq_f32_e32 0, v6
	s_cbranch_execz .LBB10_52
; %bb.51:
	v_add_f32_e32 v4, v3, v6
	v_dual_sub_f32 v8, v8, v7 :: v_dual_add_f32 v1, v1, v2
	s_delay_alu instid0(VALU_DEP_2) | instskip(NEXT) | instid1(VALU_DEP_1)
	v_div_scale_f32 v5, null, v4, v4, v6
	v_rcp_f32_e32 v9, v5
	s_waitcnt_depctr 0xfff
	v_fma_f32 v10, -v5, v9, 1.0
	s_delay_alu instid0(VALU_DEP_1) | instskip(SKIP_1) | instid1(VALU_DEP_1)
	v_fmac_f32_e32 v9, v10, v9
	v_div_scale_f32 v13, vcc_lo, v6, v4, v6
	v_mul_f32_e32 v10, v13, v9
	s_delay_alu instid0(VALU_DEP_1) | instskip(NEXT) | instid1(VALU_DEP_1)
	v_fma_f32 v14, -v5, v10, v13
	v_fmac_f32_e32 v10, v14, v9
	s_delay_alu instid0(VALU_DEP_1) | instskip(NEXT) | instid1(VALU_DEP_1)
	v_fma_f32 v5, -v5, v10, v13
	v_div_fmas_f32 v5, v5, v9, v10
	v_mul_f32_e32 v9, v8, v8
	s_delay_alu instid0(VALU_DEP_2) | instskip(NEXT) | instid1(VALU_DEP_2)
	v_div_fixup_f32 v2, v5, v4, v6
	v_mul_f32_e32 v3, v3, v9
	s_delay_alu instid0(VALU_DEP_2) | instskip(NEXT) | instid1(VALU_DEP_2)
	v_fmac_f32_e32 v7, v8, v2
	v_fmac_f32_e32 v1, v3, v2
	v_mov_b32_e32 v3, v4
.LBB10_52:
	s_or_b32 exec_lo, exec_lo, s4
	s_delay_alu instid0(VALU_DEP_1) | instskip(NEXT) | instid1(VALU_DEP_3)
	v_mov_b32_e32 v6, v3
	v_mov_b32_e32 v2, v1
	;; [unrolled: 1-line block ×3, first 2 shown]
.LBB10_53:
	s_or_b32 exec_lo, exec_lo, s3
	s_waitcnt lgkmcnt(2)
	ds_bpermute_b32 v7, v11, v8
	s_waitcnt lgkmcnt(2)
	ds_bpermute_b32 v4, v11, v2
	;; [unrolled: 2-line block ×3, first 2 shown]
	s_mov_b32 s3, exec_lo
	v_cmpx_neq_f32_e32 0, v6
	s_cbranch_execz .LBB10_57
; %bb.54:
	s_mov_b32 s4, exec_lo
	s_waitcnt lgkmcnt(0)
	v_cmpx_neq_f32_e32 0, v5
	s_cbranch_execz .LBB10_56
; %bb.55:
	v_sub_f32_e32 v7, v7, v8
	v_add_f32_e32 v1, v6, v5
	v_add_f32_e32 v2, v2, v4
	s_delay_alu instid0(VALU_DEP_2) | instskip(SKIP_1) | instid1(VALU_DEP_2)
	v_div_scale_f32 v3, null, v1, v1, v5
	v_div_scale_f32 v11, vcc_lo, v5, v1, v5
	v_rcp_f32_e32 v9, v3
	s_waitcnt_depctr 0xfff
	v_fma_f32 v10, -v3, v9, 1.0
	s_delay_alu instid0(VALU_DEP_1) | instskip(NEXT) | instid1(VALU_DEP_1)
	v_fmac_f32_e32 v9, v10, v9
	v_mul_f32_e32 v10, v11, v9
	s_delay_alu instid0(VALU_DEP_1) | instskip(NEXT) | instid1(VALU_DEP_1)
	v_fma_f32 v13, -v3, v10, v11
	v_fmac_f32_e32 v10, v13, v9
	s_delay_alu instid0(VALU_DEP_1) | instskip(NEXT) | instid1(VALU_DEP_1)
	v_fma_f32 v3, -v3, v10, v11
	v_div_fmas_f32 v3, v3, v9, v10
	v_mul_f32_e32 v9, v7, v7
	s_delay_alu instid0(VALU_DEP_2) | instskip(NEXT) | instid1(VALU_DEP_2)
	v_div_fixup_f32 v3, v3, v1, v5
	v_mul_f32_e32 v4, v6, v9
	s_delay_alu instid0(VALU_DEP_2) | instskip(NEXT) | instid1(VALU_DEP_2)
	v_fmac_f32_e32 v8, v7, v3
	v_fmac_f32_e32 v2, v4, v3
	v_mov_b32_e32 v6, v1
.LBB10_56:
	s_or_b32 exec_lo, exec_lo, s4
	s_delay_alu instid0(VALU_DEP_1) | instskip(NEXT) | instid1(VALU_DEP_3)
	v_mov_b32_e32 v5, v6
	v_dual_mov_b32 v4, v2 :: v_dual_mov_b32 v7, v8
.LBB10_57:
	s_or_b32 exec_lo, exec_lo, s3
	s_waitcnt lgkmcnt(2)
	ds_bpermute_b32 v1, v12, v7
	s_waitcnt lgkmcnt(2)
	ds_bpermute_b32 v2, v12, v4
	;; [unrolled: 2-line block ×3, first 2 shown]
	s_mov_b32 s3, exec_lo
	v_cmpx_neq_f32_e32 0, v5
	s_cbranch_execz .LBB10_61
; %bb.58:
	s_mov_b32 s4, exec_lo
	s_waitcnt lgkmcnt(0)
	v_cmpx_neq_f32_e32 0, v3
	s_cbranch_execz .LBB10_60
; %bb.59:
	v_add_f32_e32 v6, v5, v3
	v_dual_sub_f32 v1, v1, v7 :: v_dual_add_f32 v4, v4, v2
	s_delay_alu instid0(VALU_DEP_2) | instskip(NEXT) | instid1(VALU_DEP_1)
	v_div_scale_f32 v8, null, v6, v6, v3
	v_rcp_f32_e32 v9, v8
	s_waitcnt_depctr 0xfff
	v_fma_f32 v10, -v8, v9, 1.0
	s_delay_alu instid0(VALU_DEP_1) | instskip(SKIP_1) | instid1(VALU_DEP_1)
	v_fmac_f32_e32 v9, v10, v9
	v_div_scale_f32 v11, vcc_lo, v3, v6, v3
	v_mul_f32_e32 v10, v11, v9
	s_delay_alu instid0(VALU_DEP_1) | instskip(NEXT) | instid1(VALU_DEP_1)
	v_fma_f32 v12, -v8, v10, v11
	v_fmac_f32_e32 v10, v12, v9
	s_delay_alu instid0(VALU_DEP_1) | instskip(NEXT) | instid1(VALU_DEP_1)
	v_fma_f32 v8, -v8, v10, v11
	v_div_fmas_f32 v8, v8, v9, v10
	v_mul_f32_e32 v9, v1, v1
	s_delay_alu instid0(VALU_DEP_2) | instskip(NEXT) | instid1(VALU_DEP_2)
	v_div_fixup_f32 v2, v8, v6, v3
	v_mul_f32_e32 v3, v5, v9
	v_mov_b32_e32 v5, v6
	s_delay_alu instid0(VALU_DEP_3) | instskip(NEXT) | instid1(VALU_DEP_3)
	v_fmac_f32_e32 v7, v1, v2
	v_fmac_f32_e32 v4, v3, v2
.LBB10_60:
	s_or_b32 exec_lo, exec_lo, s4
	s_delay_alu instid0(VALU_DEP_1) | instskip(NEXT) | instid1(VALU_DEP_3)
	v_dual_mov_b32 v3, v5 :: v_dual_mov_b32 v2, v4
	v_mov_b32_e32 v1, v7
.LBB10_61:
	s_or_b32 exec_lo, exec_lo, s3
.LBB10_62:
	s_delay_alu instid0(SALU_CYCLE_1) | instskip(NEXT) | instid1(SALU_CYCLE_1)
	s_or_b32 exec_lo, exec_lo, s2
	s_mov_b32 s2, exec_lo
	v_cmpx_eq_u32_e32 0, v0
	s_cbranch_execz .LBB10_64
; %bb.63:
	s_waitcnt lgkmcnt(0)
	v_max_f32_e32 v0, v3, v3
	s_load_b32 s0, s[0:1], 0x8
	s_delay_alu instid0(VALU_DEP_1) | instskip(NEXT) | instid1(VALU_DEP_1)
	v_max_f32_e32 v0, 0, v0
	v_div_scale_f32 v3, null, v0, v0, v2
	s_delay_alu instid0(VALU_DEP_1) | instskip(SKIP_2) | instid1(VALU_DEP_1)
	v_rcp_f32_e32 v4, v3
	s_waitcnt_depctr 0xfff
	v_fma_f32 v5, -v3, v4, 1.0
	v_fmac_f32_e32 v4, v5, v4
	v_div_scale_f32 v5, vcc_lo, v2, v0, v2
	s_delay_alu instid0(VALU_DEP_1) | instskip(NEXT) | instid1(VALU_DEP_1)
	v_mul_f32_e32 v6, v5, v4
	v_fma_f32 v7, -v3, v6, v5
	s_delay_alu instid0(VALU_DEP_1) | instskip(NEXT) | instid1(VALU_DEP_1)
	v_fmac_f32_e32 v6, v7, v4
	v_fma_f32 v3, -v3, v6, v5
	s_delay_alu instid0(VALU_DEP_1) | instskip(NEXT) | instid1(VALU_DEP_1)
	v_div_fmas_f32 v3, v3, v4, v6
	v_div_fixup_f32 v0, v3, v0, v2
	s_waitcnt lgkmcnt(0)
	s_delay_alu instid0(VALU_DEP_1) | instskip(SKIP_1) | instid1(SALU_CYCLE_1)
	v_dual_mov_b32 v3, 0 :: v_dual_add_f32 v0, s0, v0
	s_lshl_b64 s[0:1], s[10:11], 2
	s_add_u32 s2, s6, s0
	s_addc_u32 s3, s7, s1
	s_delay_alu instid0(VALU_DEP_1) | instskip(SKIP_3) | instid1(VALU_DEP_2)
	v_mul_f32_e32 v2, 0x4b800000, v0
	v_cmp_gt_f32_e32 vcc_lo, 0x800000, v0
	s_add_u32 s0, s8, s0
	s_addc_u32 s1, s9, s1
	v_cndmask_b32_e32 v0, v0, v2, vcc_lo
	s_delay_alu instid0(VALU_DEP_1) | instskip(SKIP_2) | instid1(VALU_DEP_1)
	v_rsq_f32_e32 v0, v0
	s_waitcnt_depctr 0xfff
	v_mul_f32_e32 v2, 0x45800000, v0
	v_cndmask_b32_e32 v0, v0, v2, vcc_lo
	s_clause 0x1
	global_store_b32 v3, v1, s[2:3]
	global_store_b32 v3, v0, s[0:1]
.LBB10_64:
	s_nop 0
	s_sendmsg sendmsg(MSG_DEALLOC_VGPRS)
	s_endpgm
.LBB10_65:
	ds_load_b32 v1, v4
	s_or_b32 exec_lo, exec_lo, s2
	s_and_saveexec_b32 s2, vcc_lo
	s_cbranch_execz .LBB10_38
.LBB10_66:
	ds_load_b32 v2, v4 offset:4
	s_or_b32 exec_lo, exec_lo, s2
	v_mov_b32_e32 v3, 0
	s_and_saveexec_b32 s2, vcc_lo
	s_cbranch_execnz .LBB10_39
	s_branch .LBB10_40
	.section	.rodata,"a",@progbits
	.p2align	6, 0x0
	.amdhsa_kernel _ZN2at6native12_GLOBAL__N_124RowwiseMomentsCUDAKernelIN3c108BFloat16EfLb0EEEvlT0_PKT_PS5_S9_
		.amdhsa_group_segment_fixed_size 768
		.amdhsa_private_segment_fixed_size 0
		.amdhsa_kernarg_size 296
		.amdhsa_user_sgpr_count 15
		.amdhsa_user_sgpr_dispatch_ptr 0
		.amdhsa_user_sgpr_queue_ptr 0
		.amdhsa_user_sgpr_kernarg_segment_ptr 1
		.amdhsa_user_sgpr_dispatch_id 0
		.amdhsa_user_sgpr_private_segment_size 0
		.amdhsa_wavefront_size32 1
		.amdhsa_uses_dynamic_stack 0
		.amdhsa_enable_private_segment 0
		.amdhsa_system_sgpr_workgroup_id_x 1
		.amdhsa_system_sgpr_workgroup_id_y 0
		.amdhsa_system_sgpr_workgroup_id_z 0
		.amdhsa_system_sgpr_workgroup_info 0
		.amdhsa_system_vgpr_workitem_id 0
		.amdhsa_next_free_vgpr 18
		.amdhsa_next_free_sgpr 20
		.amdhsa_reserve_vcc 1
		.amdhsa_float_round_mode_32 0
		.amdhsa_float_round_mode_16_64 0
		.amdhsa_float_denorm_mode_32 3
		.amdhsa_float_denorm_mode_16_64 3
		.amdhsa_dx10_clamp 1
		.amdhsa_ieee_mode 1
		.amdhsa_fp16_overflow 0
		.amdhsa_workgroup_processor_mode 1
		.amdhsa_memory_ordered 1
		.amdhsa_forward_progress 0
		.amdhsa_shared_vgpr_count 0
		.amdhsa_exception_fp_ieee_invalid_op 0
		.amdhsa_exception_fp_denorm_src 0
		.amdhsa_exception_fp_ieee_div_zero 0
		.amdhsa_exception_fp_ieee_overflow 0
		.amdhsa_exception_fp_ieee_underflow 0
		.amdhsa_exception_fp_ieee_inexact 0
		.amdhsa_exception_int_div_zero 0
	.end_amdhsa_kernel
	.section	.text._ZN2at6native12_GLOBAL__N_124RowwiseMomentsCUDAKernelIN3c108BFloat16EfLb0EEEvlT0_PKT_PS5_S9_,"axG",@progbits,_ZN2at6native12_GLOBAL__N_124RowwiseMomentsCUDAKernelIN3c108BFloat16EfLb0EEEvlT0_PKT_PS5_S9_,comdat
.Lfunc_end10:
	.size	_ZN2at6native12_GLOBAL__N_124RowwiseMomentsCUDAKernelIN3c108BFloat16EfLb0EEEvlT0_PKT_PS5_S9_, .Lfunc_end10-_ZN2at6native12_GLOBAL__N_124RowwiseMomentsCUDAKernelIN3c108BFloat16EfLb0EEEvlT0_PKT_PS5_S9_
                                        ; -- End function
	.section	.AMDGPU.csdata,"",@progbits
; Kernel info:
; codeLenInByte = 3452
; NumSgprs: 22
; NumVgprs: 18
; ScratchSize: 0
; MemoryBound: 0
; FloatMode: 240
; IeeeMode: 1
; LDSByteSize: 768 bytes/workgroup (compile time only)
; SGPRBlocks: 2
; VGPRBlocks: 2
; NumSGPRsForWavesPerEU: 22
; NumVGPRsForWavesPerEU: 18
; Occupancy: 16
; WaveLimiterHint : 0
; COMPUTE_PGM_RSRC2:SCRATCH_EN: 0
; COMPUTE_PGM_RSRC2:USER_SGPR: 15
; COMPUTE_PGM_RSRC2:TRAP_HANDLER: 0
; COMPUTE_PGM_RSRC2:TGID_X_EN: 1
; COMPUTE_PGM_RSRC2:TGID_Y_EN: 0
; COMPUTE_PGM_RSRC2:TGID_Z_EN: 0
; COMPUTE_PGM_RSRC2:TIDIG_COMP_CNT: 0
	.section	.text._ZN2at6native12_GLOBAL__N_126LayerNormForwardCUDAKernelIN3c108BFloat16EfLb0EEEvlPKT_PKT0_SA_S7_S7_PS5_,"axG",@progbits,_ZN2at6native12_GLOBAL__N_126LayerNormForwardCUDAKernelIN3c108BFloat16EfLb0EEEvlPKT_PKT0_SA_S7_S7_PS5_,comdat
	.globl	_ZN2at6native12_GLOBAL__N_126LayerNormForwardCUDAKernelIN3c108BFloat16EfLb0EEEvlPKT_PKT0_SA_S7_S7_PS5_ ; -- Begin function _ZN2at6native12_GLOBAL__N_126LayerNormForwardCUDAKernelIN3c108BFloat16EfLb0EEEvlPKT_PKT0_SA_S7_S7_PS5_
	.p2align	8
	.type	_ZN2at6native12_GLOBAL__N_126LayerNormForwardCUDAKernelIN3c108BFloat16EfLb0EEEvlPKT_PKT0_SA_S7_S7_PS5_,@function
_ZN2at6native12_GLOBAL__N_126LayerNormForwardCUDAKernelIN3c108BFloat16EfLb0EEEvlPKT_PKT0_SA_S7_S7_PS5_: ; @_ZN2at6native12_GLOBAL__N_126LayerNormForwardCUDAKernelIN3c108BFloat16EfLb0EEEvlPKT_PKT0_SA_S7_S7_PS5_
; %bb.0:
	s_load_b256 s[4:11], s[0:1], 0x0
	v_mov_b32_e32 v1, 0
	s_mov_b32 s3, exec_lo
	s_waitcnt lgkmcnt(0)
	s_delay_alu instid0(VALU_DEP_1)
	v_cmpx_gt_i64_e64 s[4:5], v[0:1]
	s_cbranch_execz .LBB11_8
; %bb.1:
	s_mov_b32 s2, s15
	s_clause 0x1
	s_load_b256 s[12:19], s[0:1], 0x20
	s_load_b32 s0, s[0:1], 0x44
	s_mov_b32 s3, 0
	v_dual_mov_b32 v3, v1 :: v_dual_lshlrev_b32 v2, 1, v0
	s_waitcnt lgkmcnt(0)
	s_cmp_lg_u64 s[12:13], 0
	s_cselect_b32 s1, -1, 0
	s_cmp_lg_u64 s[14:15], 0
	s_cselect_b32 s18, -1, 0
	s_lshl_b64 s[20:21], s[2:3], 2
	s_delay_alu instid0(SALU_CYCLE_1)
	s_add_u32 s8, s8, s20
	s_addc_u32 s9, s9, s21
	s_add_u32 s10, s10, s20
	s_addc_u32 s11, s11, s21
	s_load_b32 s8, s[8:9], 0x0
	s_load_b32 s9, s[10:11], 0x0
	s_mul_i32 s10, s5, s2
	s_mul_hi_u32 s11, s4, s2
	s_delay_alu instid0(SALU_CYCLE_1) | instskip(SKIP_3) | instid1(SALU_CYCLE_1)
	s_add_i32 s11, s11, s10
	s_mul_i32 s10, s4, s2
	s_and_b32 s2, s0, 0xffff
	s_lshl_b64 s[20:21], s[10:11], 1
	s_add_u32 s6, s6, s20
	s_addc_u32 s7, s7, s21
	s_lshl_b32 s10, s2, 1
	s_add_u32 s11, s16, s20
	s_addc_u32 s16, s17, s21
	s_branch .LBB11_4
.LBB11_2:                               ;   in Loop: Header=BB11_4 Depth=1
	v_add_co_u32 v6, vcc_lo, s14, v2
	v_add_co_ci_u32_e32 v7, vcc_lo, s15, v3, vcc_lo
	global_load_u16 v4, v[6:7], off
	s_waitcnt vmcnt(0)
	v_lshlrev_b32_e32 v4, 16, v4
.LBB11_3:                               ;   in Loop: Header=BB11_4 Depth=1
	v_add_co_u32 v6, vcc_lo, s6, v2
	v_add_co_ci_u32_e32 v7, vcc_lo, s7, v3, vcc_lo
	v_add_co_u32 v0, vcc_lo, v0, s2
	v_add_co_ci_u32_e32 v1, vcc_lo, 0, v1, vcc_lo
	global_load_u16 v6, v[6:7], off
	s_waitcnt vmcnt(0)
	v_lshlrev_b32_e32 v6, 16, v6
	s_waitcnt lgkmcnt(0)
	s_delay_alu instid0(VALU_DEP_1) | instskip(NEXT) | instid1(VALU_DEP_1)
	v_subrev_f32_e32 v6, s8, v6
	v_mul_f32_e32 v6, s9, v6
	s_delay_alu instid0(VALU_DEP_1) | instskip(NEXT) | instid1(VALU_DEP_1)
	v_fmac_f32_e32 v4, v5, v6
	v_bfe_u32 v5, v4, 16, 1
	v_cmp_o_f32_e64 s0, v4, v4
	s_delay_alu instid0(VALU_DEP_2) | instskip(NEXT) | instid1(VALU_DEP_1)
	v_add3_u32 v5, v4, v5, 0x7fff
	v_lshrrev_b32_e32 v7, 16, v5
	v_add_co_u32 v5, vcc_lo, s11, v2
	v_add_co_ci_u32_e32 v6, vcc_lo, s16, v3, vcc_lo
	v_cmp_le_i64_e32 vcc_lo, s[4:5], v[0:1]
	s_delay_alu instid0(VALU_DEP_4) | instskip(SKIP_1) | instid1(VALU_DEP_1)
	v_cndmask_b32_e64 v4, 0x7fc0, v7, s0
	v_add_co_u32 v2, s0, v2, s10
	v_add_co_ci_u32_e64 v3, s0, 0, v3, s0
	s_or_b32 s3, vcc_lo, s3
	global_store_b16 v[5:6], v4, off
	s_and_not1_b32 exec_lo, exec_lo, s3
	s_cbranch_execz .LBB11_8
.LBB11_4:                               ; =>This Inner Loop Header: Depth=1
	s_and_not1_b32 vcc_lo, exec_lo, s1
	s_cbranch_vccnz .LBB11_6
; %bb.5:                                ;   in Loop: Header=BB11_4 Depth=1
	v_add_co_u32 v4, vcc_lo, s12, v2
	v_add_co_ci_u32_e32 v5, vcc_lo, s13, v3, vcc_lo
	global_load_u16 v4, v[4:5], off
	s_waitcnt vmcnt(0)
	v_lshlrev_b32_e32 v5, 16, v4
	s_and_not1_b32 vcc_lo, exec_lo, s18
	s_cbranch_vccz .LBB11_2
	s_branch .LBB11_7
.LBB11_6:                               ;   in Loop: Header=BB11_4 Depth=1
	v_mov_b32_e32 v5, 1.0
	s_and_not1_b32 vcc_lo, exec_lo, s18
	s_cbranch_vccz .LBB11_2
.LBB11_7:                               ;   in Loop: Header=BB11_4 Depth=1
	v_mov_b32_e32 v4, 0
	s_branch .LBB11_3
.LBB11_8:
	s_nop 0
	s_sendmsg sendmsg(MSG_DEALLOC_VGPRS)
	s_endpgm
	.section	.rodata,"a",@progbits
	.p2align	6, 0x0
	.amdhsa_kernel _ZN2at6native12_GLOBAL__N_126LayerNormForwardCUDAKernelIN3c108BFloat16EfLb0EEEvlPKT_PKT0_SA_S7_S7_PS5_
		.amdhsa_group_segment_fixed_size 0
		.amdhsa_private_segment_fixed_size 0
		.amdhsa_kernarg_size 312
		.amdhsa_user_sgpr_count 15
		.amdhsa_user_sgpr_dispatch_ptr 0
		.amdhsa_user_sgpr_queue_ptr 0
		.amdhsa_user_sgpr_kernarg_segment_ptr 1
		.amdhsa_user_sgpr_dispatch_id 0
		.amdhsa_user_sgpr_private_segment_size 0
		.amdhsa_wavefront_size32 1
		.amdhsa_uses_dynamic_stack 0
		.amdhsa_enable_private_segment 0
		.amdhsa_system_sgpr_workgroup_id_x 1
		.amdhsa_system_sgpr_workgroup_id_y 0
		.amdhsa_system_sgpr_workgroup_id_z 0
		.amdhsa_system_sgpr_workgroup_info 0
		.amdhsa_system_vgpr_workitem_id 0
		.amdhsa_next_free_vgpr 8
		.amdhsa_next_free_sgpr 22
		.amdhsa_reserve_vcc 1
		.amdhsa_float_round_mode_32 0
		.amdhsa_float_round_mode_16_64 0
		.amdhsa_float_denorm_mode_32 3
		.amdhsa_float_denorm_mode_16_64 3
		.amdhsa_dx10_clamp 1
		.amdhsa_ieee_mode 1
		.amdhsa_fp16_overflow 0
		.amdhsa_workgroup_processor_mode 1
		.amdhsa_memory_ordered 1
		.amdhsa_forward_progress 0
		.amdhsa_shared_vgpr_count 0
		.amdhsa_exception_fp_ieee_invalid_op 0
		.amdhsa_exception_fp_denorm_src 0
		.amdhsa_exception_fp_ieee_div_zero 0
		.amdhsa_exception_fp_ieee_overflow 0
		.amdhsa_exception_fp_ieee_underflow 0
		.amdhsa_exception_fp_ieee_inexact 0
		.amdhsa_exception_int_div_zero 0
	.end_amdhsa_kernel
	.section	.text._ZN2at6native12_GLOBAL__N_126LayerNormForwardCUDAKernelIN3c108BFloat16EfLb0EEEvlPKT_PKT0_SA_S7_S7_PS5_,"axG",@progbits,_ZN2at6native12_GLOBAL__N_126LayerNormForwardCUDAKernelIN3c108BFloat16EfLb0EEEvlPKT_PKT0_SA_S7_S7_PS5_,comdat
.Lfunc_end11:
	.size	_ZN2at6native12_GLOBAL__N_126LayerNormForwardCUDAKernelIN3c108BFloat16EfLb0EEEvlPKT_PKT0_SA_S7_S7_PS5_, .Lfunc_end11-_ZN2at6native12_GLOBAL__N_126LayerNormForwardCUDAKernelIN3c108BFloat16EfLb0EEEvlPKT_PKT0_SA_S7_S7_PS5_
                                        ; -- End function
	.section	.AMDGPU.csdata,"",@progbits
; Kernel info:
; codeLenInByte = 464
; NumSgprs: 24
; NumVgprs: 8
; ScratchSize: 0
; MemoryBound: 0
; FloatMode: 240
; IeeeMode: 1
; LDSByteSize: 0 bytes/workgroup (compile time only)
; SGPRBlocks: 2
; VGPRBlocks: 0
; NumSGPRsForWavesPerEU: 24
; NumVGPRsForWavesPerEU: 8
; Occupancy: 16
; WaveLimiterHint : 0
; COMPUTE_PGM_RSRC2:SCRATCH_EN: 0
; COMPUTE_PGM_RSRC2:USER_SGPR: 15
; COMPUTE_PGM_RSRC2:TRAP_HANDLER: 0
; COMPUTE_PGM_RSRC2:TGID_X_EN: 1
; COMPUTE_PGM_RSRC2:TGID_Y_EN: 0
; COMPUTE_PGM_RSRC2:TGID_Z_EN: 0
; COMPUTE_PGM_RSRC2:TIDIG_COMP_CNT: 0
	.section	.text._ZN2at6native12_GLOBAL__N_128vectorized_layer_norm_kernelIddLb1EEEviT0_PKT_S6_S6_PS3_S7_PS4_,"axG",@progbits,_ZN2at6native12_GLOBAL__N_128vectorized_layer_norm_kernelIddLb1EEEviT0_PKT_S6_S6_PS3_S7_PS4_,comdat
	.globl	_ZN2at6native12_GLOBAL__N_128vectorized_layer_norm_kernelIddLb1EEEviT0_PKT_S6_S6_PS3_S7_PS4_ ; -- Begin function _ZN2at6native12_GLOBAL__N_128vectorized_layer_norm_kernelIddLb1EEEviT0_PKT_S6_S6_PS3_S7_PS4_
	.p2align	8
	.type	_ZN2at6native12_GLOBAL__N_128vectorized_layer_norm_kernelIddLb1EEEviT0_PKT_S6_S6_PS3_S7_PS4_,@function
_ZN2at6native12_GLOBAL__N_128vectorized_layer_norm_kernelIddLb1EEEviT0_PKT_S6_S6_PS3_S7_PS4_: ; @_ZN2at6native12_GLOBAL__N_128vectorized_layer_norm_kernelIddLb1EEEviT0_PKT_S6_S6_PS3_S7_PS4_
; %bb.0:
	s_trap 2
	s_sendmsg_rtn_b32 s0, sendmsg(MSG_RTN_GET_DOORBELL)
	s_mov_b32 ttmp2, m0
	s_waitcnt lgkmcnt(0)
	s_and_b32 s0, s0, 0x3ff
	s_delay_alu instid0(SALU_CYCLE_1) | instskip(NEXT) | instid1(SALU_CYCLE_1)
	s_bitset1_b32 s0, 10
	s_mov_b32 m0, s0
	s_sendmsg sendmsg(MSG_INTERRUPT)
	s_mov_b32 m0, ttmp2
.LBB12_1:                               ; =>This Inner Loop Header: Depth=1
	s_sethalt 5
	s_branch .LBB12_1
	.section	.rodata,"a",@progbits
	.p2align	6, 0x0
	.amdhsa_kernel _ZN2at6native12_GLOBAL__N_128vectorized_layer_norm_kernelIddLb1EEEviT0_PKT_S6_S6_PS3_S7_PS4_
		.amdhsa_group_segment_fixed_size 0
		.amdhsa_private_segment_fixed_size 0
		.amdhsa_kernarg_size 64
		.amdhsa_user_sgpr_count 15
		.amdhsa_user_sgpr_dispatch_ptr 0
		.amdhsa_user_sgpr_queue_ptr 0
		.amdhsa_user_sgpr_kernarg_segment_ptr 1
		.amdhsa_user_sgpr_dispatch_id 0
		.amdhsa_user_sgpr_private_segment_size 0
		.amdhsa_wavefront_size32 1
		.amdhsa_uses_dynamic_stack 0
		.amdhsa_enable_private_segment 0
		.amdhsa_system_sgpr_workgroup_id_x 1
		.amdhsa_system_sgpr_workgroup_id_y 0
		.amdhsa_system_sgpr_workgroup_id_z 0
		.amdhsa_system_sgpr_workgroup_info 0
		.amdhsa_system_vgpr_workitem_id 0
		.amdhsa_next_free_vgpr 1
		.amdhsa_next_free_sgpr 1
		.amdhsa_reserve_vcc 0
		.amdhsa_float_round_mode_32 0
		.amdhsa_float_round_mode_16_64 0
		.amdhsa_float_denorm_mode_32 3
		.amdhsa_float_denorm_mode_16_64 3
		.amdhsa_dx10_clamp 1
		.amdhsa_ieee_mode 1
		.amdhsa_fp16_overflow 0
		.amdhsa_workgroup_processor_mode 1
		.amdhsa_memory_ordered 1
		.amdhsa_forward_progress 0
		.amdhsa_shared_vgpr_count 0
		.amdhsa_exception_fp_ieee_invalid_op 0
		.amdhsa_exception_fp_denorm_src 0
		.amdhsa_exception_fp_ieee_div_zero 0
		.amdhsa_exception_fp_ieee_overflow 0
		.amdhsa_exception_fp_ieee_underflow 0
		.amdhsa_exception_fp_ieee_inexact 0
		.amdhsa_exception_int_div_zero 0
	.end_amdhsa_kernel
	.section	.text._ZN2at6native12_GLOBAL__N_128vectorized_layer_norm_kernelIddLb1EEEviT0_PKT_S6_S6_PS3_S7_PS4_,"axG",@progbits,_ZN2at6native12_GLOBAL__N_128vectorized_layer_norm_kernelIddLb1EEEviT0_PKT_S6_S6_PS3_S7_PS4_,comdat
.Lfunc_end12:
	.size	_ZN2at6native12_GLOBAL__N_128vectorized_layer_norm_kernelIddLb1EEEviT0_PKT_S6_S6_PS3_S7_PS4_, .Lfunc_end12-_ZN2at6native12_GLOBAL__N_128vectorized_layer_norm_kernelIddLb1EEEviT0_PKT_S6_S6_PS3_S7_PS4_
                                        ; -- End function
	.section	.AMDGPU.csdata,"",@progbits
; Kernel info:
; codeLenInByte = 52
; NumSgprs: 1
; NumVgprs: 0
; ScratchSize: 0
; MemoryBound: 0
; FloatMode: 240
; IeeeMode: 1
; LDSByteSize: 0 bytes/workgroup (compile time only)
; SGPRBlocks: 0
; VGPRBlocks: 0
; NumSGPRsForWavesPerEU: 1
; NumVGPRsForWavesPerEU: 1
; Occupancy: 16
; WaveLimiterHint : 0
; COMPUTE_PGM_RSRC2:SCRATCH_EN: 0
; COMPUTE_PGM_RSRC2:USER_SGPR: 15
; COMPUTE_PGM_RSRC2:TRAP_HANDLER: 0
; COMPUTE_PGM_RSRC2:TGID_X_EN: 1
; COMPUTE_PGM_RSRC2:TGID_Y_EN: 0
; COMPUTE_PGM_RSRC2:TGID_Z_EN: 0
; COMPUTE_PGM_RSRC2:TIDIG_COMP_CNT: 0
	.section	.text._ZN2at6native12_GLOBAL__N_124RowwiseMomentsCUDAKernelIddLb1EEEvlT0_PKT_PS3_S7_,"axG",@progbits,_ZN2at6native12_GLOBAL__N_124RowwiseMomentsCUDAKernelIddLb1EEEvlT0_PKT_PS3_S7_,comdat
	.globl	_ZN2at6native12_GLOBAL__N_124RowwiseMomentsCUDAKernelIddLb1EEEvlT0_PKT_PS3_S7_ ; -- Begin function _ZN2at6native12_GLOBAL__N_124RowwiseMomentsCUDAKernelIddLb1EEEvlT0_PKT_PS3_S7_
	.p2align	8
	.type	_ZN2at6native12_GLOBAL__N_124RowwiseMomentsCUDAKernelIddLb1EEEvlT0_PKT_PS3_S7_,@function
_ZN2at6native12_GLOBAL__N_124RowwiseMomentsCUDAKernelIddLb1EEEvlT0_PKT_PS3_S7_: ; @_ZN2at6native12_GLOBAL__N_124RowwiseMomentsCUDAKernelIddLb1EEEvlT0_PKT_PS3_S7_
; %bb.0:
	s_clause 0x1
	s_load_b128 s[4:7], s[0:1], 0x0
	s_load_b64 s[2:3], s[0:1], 0x10
	v_dual_mov_b32 v1, 0 :: v_dual_mov_b32 v6, 0
	v_dual_mov_b32 v7, 0 :: v_dual_mov_b32 v14, 0
	s_delay_alu instid0(VALU_DEP_2) | instskip(NEXT) | instid1(VALU_DEP_2)
	v_dual_mov_b32 v15, 0 :: v_dual_mov_b32 v2, v6
	v_dual_mov_b32 v4, v6 :: v_dual_mov_b32 v3, v7
	v_mov_b32_e32 v5, v7
	s_mov_b32 s8, s15
	s_mov_b32 s9, 0
	s_mov_b32 s12, exec_lo
	s_waitcnt lgkmcnt(0)
	v_cmpx_gt_i64_e64 s[4:5], v[0:1]
	s_cbranch_execz .LBB13_4
; %bb.1:
	s_load_b32 s13, s[0:1], 0x34
	s_mul_i32 s11, s5, s8
	s_mul_hi_u32 s14, s4, s8
	s_mul_i32 s10, s4, s8
	s_add_i32 s11, s14, s11
	v_lshlrev_b32_e32 v4, 3, v0
	v_dual_mov_b32 v2, 0 :: v_dual_mov_b32 v9, v1
	v_mov_b32_e32 v3, 0
	s_lshl_b64 s[10:11], s[10:11], 3
	v_mov_b32_e32 v8, v0
	s_mov_b32 s14, s9
	s_waitcnt lgkmcnt(0)
	s_and_b32 s13, s13, 0xffff
	s_add_u32 s2, s2, s10
	s_addc_u32 s3, s3, s11
	v_add_co_u32 v10, s2, s2, v4
	v_mov_b32_e32 v5, v3
	v_add_co_ci_u32_e64 v11, null, s3, 0, s2
	v_mov_b32_e32 v4, v2
	s_lshl_b32 s3, s13, 3
	s_mov_b64 s[10:11], 0
.LBB13_2:                               ; =>This Inner Loop Header: Depth=1
	global_load_b64 v[12:13], v[10:11], off
	s_add_u32 s10, s10, 1
	s_addc_u32 s11, s11, 0
	v_cvt_f64_u32_e32 v[14:15], s10
	v_cvt_f64_u32_e32 v[6:7], s11
	v_add_co_u32 v10, s2, v10, s3
	s_delay_alu instid0(VALU_DEP_1) | instskip(NEXT) | instid1(VALU_DEP_3)
	v_add_co_ci_u32_e64 v11, s2, 0, v11, s2
	v_ldexp_f64 v[6:7], v[6:7], 32
	s_delay_alu instid0(VALU_DEP_1) | instskip(SKIP_2) | instid1(VALU_DEP_1)
	v_add_f64 v[6:7], v[6:7], v[14:15]
	s_waitcnt vmcnt(0)
	v_add_f64 v[14:15], v[12:13], -v[4:5]
	v_div_scale_f64 v[16:17], null, v[6:7], v[6:7], v[14:15]
	v_div_scale_f64 v[22:23], vcc_lo, v[14:15], v[6:7], v[14:15]
	s_delay_alu instid0(VALU_DEP_2) | instskip(SKIP_2) | instid1(VALU_DEP_1)
	v_rcp_f64_e32 v[18:19], v[16:17]
	s_waitcnt_depctr 0xfff
	v_fma_f64 v[20:21], -v[16:17], v[18:19], 1.0
	v_fma_f64 v[18:19], v[18:19], v[20:21], v[18:19]
	s_delay_alu instid0(VALU_DEP_1) | instskip(NEXT) | instid1(VALU_DEP_1)
	v_fma_f64 v[20:21], -v[16:17], v[18:19], 1.0
	v_fma_f64 v[18:19], v[18:19], v[20:21], v[18:19]
	s_delay_alu instid0(VALU_DEP_1) | instskip(NEXT) | instid1(VALU_DEP_1)
	v_mul_f64 v[20:21], v[22:23], v[18:19]
	v_fma_f64 v[16:17], -v[16:17], v[20:21], v[22:23]
	s_delay_alu instid0(VALU_DEP_1) | instskip(SKIP_2) | instid1(VALU_DEP_1)
	v_div_fmas_f64 v[16:17], v[16:17], v[18:19], v[20:21]
	v_add_co_u32 v8, vcc_lo, v8, s13
	v_add_co_ci_u32_e32 v9, vcc_lo, 0, v9, vcc_lo
	v_cmp_le_i64_e32 vcc_lo, s[4:5], v[8:9]
	s_or_b32 s14, vcc_lo, s14
	s_delay_alu instid0(VALU_DEP_4) | instskip(NEXT) | instid1(VALU_DEP_1)
	v_div_fixup_f64 v[16:17], v[16:17], v[6:7], v[14:15]
	v_add_f64 v[4:5], v[4:5], v[16:17]
	s_delay_alu instid0(VALU_DEP_1) | instskip(NEXT) | instid1(VALU_DEP_1)
	v_add_f64 v[12:13], v[12:13], -v[4:5]
	v_fma_f64 v[2:3], v[14:15], v[12:13], v[2:3]
	v_dual_mov_b32 v15, s11 :: v_dual_mov_b32 v14, s10
	s_and_not1_b32 exec_lo, exec_lo, s14
	s_cbranch_execnz .LBB13_2
; %bb.3:
	s_or_b32 exec_lo, exec_lo, s14
.LBB13_4:
	s_delay_alu instid0(SALU_CYCLE_1) | instskip(SKIP_2) | instid1(VALU_DEP_1)
	s_or_b32 exec_lo, exec_lo, s12
	v_mbcnt_lo_u32_b32 v23, -1, 0
	s_mov_b32 s2, exec_lo
	v_cmp_gt_u32_e32 vcc_lo, 16, v23
	v_cndmask_b32_e64 v1, 0, 1, vcc_lo
	s_delay_alu instid0(VALU_DEP_1) | instskip(NEXT) | instid1(VALU_DEP_1)
	v_lshlrev_b32_e32 v1, 4, v1
	v_add_lshl_u32 v20, v1, v23, 2
	ds_bpermute_b32 v10, v20, v4
	ds_bpermute_b32 v11, v20, v5
	;; [unrolled: 1-line block ×8, first 2 shown]
	v_cmpx_neq_f64_e32 0, v[6:7]
	s_cbranch_execz .LBB13_8
; %bb.5:
	s_mov_b32 s3, exec_lo
	s_waitcnt lgkmcnt(0)
	v_cmpx_neq_f64_e32 0, v[12:13]
	s_cbranch_execz .LBB13_7
; %bb.6:
	v_add_f64 v[16:17], v[6:7], v[12:13]
	v_add_f64 v[10:11], v[10:11], -v[4:5]
	v_add_f64 v[1:2], v[2:3], v[8:9]
	s_delay_alu instid0(VALU_DEP_3) | instskip(SKIP_1) | instid1(VALU_DEP_2)
	v_div_scale_f64 v[14:15], null, v[16:17], v[16:17], v[12:13]
	v_div_scale_f64 v[24:25], vcc_lo, v[12:13], v[16:17], v[12:13]
	v_rcp_f64_e32 v[18:19], v[14:15]
	s_waitcnt_depctr 0xfff
	v_fma_f64 v[21:22], -v[14:15], v[18:19], 1.0
	s_delay_alu instid0(VALU_DEP_1) | instskip(NEXT) | instid1(VALU_DEP_1)
	v_fma_f64 v[18:19], v[18:19], v[21:22], v[18:19]
	v_fma_f64 v[21:22], -v[14:15], v[18:19], 1.0
	s_delay_alu instid0(VALU_DEP_1) | instskip(NEXT) | instid1(VALU_DEP_1)
	v_fma_f64 v[18:19], v[18:19], v[21:22], v[18:19]
	v_mul_f64 v[21:22], v[24:25], v[18:19]
	s_delay_alu instid0(VALU_DEP_1) | instskip(NEXT) | instid1(VALU_DEP_1)
	v_fma_f64 v[14:15], -v[14:15], v[21:22], v[24:25]
	v_div_fmas_f64 v[14:15], v[14:15], v[18:19], v[21:22]
	v_mul_f64 v[18:19], v[10:11], v[10:11]
	s_delay_alu instid0(VALU_DEP_2) | instskip(NEXT) | instid1(VALU_DEP_2)
	v_div_fixup_f64 v[8:9], v[14:15], v[16:17], v[12:13]
	v_mul_f64 v[6:7], v[6:7], v[18:19]
	v_mov_b32_e32 v14, -1
	v_mov_b32_e32 v15, -1
	s_delay_alu instid0(VALU_DEP_4) | instskip(NEXT) | instid1(VALU_DEP_4)
	v_fma_f64 v[4:5], v[10:11], v[8:9], v[4:5]
	v_fma_f64 v[2:3], v[6:7], v[8:9], v[1:2]
	v_dual_mov_b32 v6, v16 :: v_dual_mov_b32 v7, v17
.LBB13_7:
	s_or_b32 exec_lo, exec_lo, s3
	s_delay_alu instid0(VALU_DEP_1) | instskip(SKIP_1) | instid1(VALU_DEP_4)
	v_dual_mov_b32 v13, v7 :: v_dual_mov_b32 v12, v6
	v_dual_mov_b32 v17, v15 :: v_dual_mov_b32 v16, v14
	;; [unrolled: 1-line block ×4, first 2 shown]
.LBB13_8:
	s_or_b32 exec_lo, exec_lo, s2
	v_cmp_gt_u32_e32 vcc_lo, 24, v23
	s_mov_b32 s2, exec_lo
	v_cndmask_b32_e64 v1, 0, 1, vcc_lo
	s_delay_alu instid0(VALU_DEP_1) | instskip(NEXT) | instid1(VALU_DEP_1)
	v_lshlrev_b32_e32 v1, 3, v1
	v_add_lshl_u32 v21, v1, v23, 2
	s_waitcnt lgkmcnt(7)
	ds_bpermute_b32 v5, v21, v10
	s_waitcnt lgkmcnt(7)
	ds_bpermute_b32 v6, v21, v11
	;; [unrolled: 2-line block ×8, first 2 shown]
	v_cmpx_neq_f64_e32 0, v[12:13]
	s_cbranch_execz .LBB13_12
; %bb.9:
	s_mov_b32 s3, exec_lo
	s_waitcnt lgkmcnt(0)
	v_cmpx_neq_f64_e32 0, v[14:15]
	s_cbranch_execz .LBB13_11
; %bb.10:
	v_add_f64 v[3:4], v[12:13], v[14:15]
	v_add_f64 v[5:6], v[5:6], -v[10:11]
	v_add_f64 v[1:2], v[8:9], v[1:2]
	s_delay_alu instid0(VALU_DEP_3) | instskip(SKIP_1) | instid1(VALU_DEP_2)
	v_div_scale_f64 v[16:17], null, v[3:4], v[3:4], v[14:15]
	v_div_scale_f64 v[26:27], vcc_lo, v[14:15], v[3:4], v[14:15]
	v_rcp_f64_e32 v[18:19], v[16:17]
	s_waitcnt_depctr 0xfff
	v_fma_f64 v[24:25], -v[16:17], v[18:19], 1.0
	s_delay_alu instid0(VALU_DEP_1) | instskip(NEXT) | instid1(VALU_DEP_1)
	v_fma_f64 v[18:19], v[18:19], v[24:25], v[18:19]
	v_fma_f64 v[24:25], -v[16:17], v[18:19], 1.0
	s_delay_alu instid0(VALU_DEP_1) | instskip(NEXT) | instid1(VALU_DEP_1)
	v_fma_f64 v[18:19], v[18:19], v[24:25], v[18:19]
	v_mul_f64 v[24:25], v[26:27], v[18:19]
	s_delay_alu instid0(VALU_DEP_1) | instskip(NEXT) | instid1(VALU_DEP_1)
	v_fma_f64 v[16:17], -v[16:17], v[24:25], v[26:27]
	v_div_fmas_f64 v[16:17], v[16:17], v[18:19], v[24:25]
	v_mul_f64 v[18:19], v[5:6], v[5:6]
	s_delay_alu instid0(VALU_DEP_2) | instskip(NEXT) | instid1(VALU_DEP_2)
	v_div_fixup_f64 v[7:8], v[16:17], v[3:4], v[14:15]
	v_mul_f64 v[12:13], v[12:13], v[18:19]
	v_mov_b32_e32 v16, -1
	v_mov_b32_e32 v17, -1
	s_delay_alu instid0(VALU_DEP_4) | instskip(NEXT) | instid1(VALU_DEP_4)
	v_fma_f64 v[10:11], v[5:6], v[7:8], v[10:11]
	v_fma_f64 v[8:9], v[12:13], v[7:8], v[1:2]
	v_dual_mov_b32 v13, v4 :: v_dual_mov_b32 v12, v3
.LBB13_11:
	s_or_b32 exec_lo, exec_lo, s3
	s_delay_alu instid0(VALU_DEP_1) | instskip(SKIP_1) | instid1(VALU_DEP_4)
	v_dual_mov_b32 v15, v13 :: v_dual_mov_b32 v14, v12
	v_dual_mov_b32 v19, v17 :: v_dual_mov_b32 v18, v16
	;; [unrolled: 1-line block ×4, first 2 shown]
.LBB13_12:
	s_or_b32 exec_lo, exec_lo, s2
	v_cmp_gt_u32_e32 vcc_lo, 28, v23
	s_mov_b32 s2, exec_lo
	v_cndmask_b32_e64 v3, 0, 1, vcc_lo
	s_delay_alu instid0(VALU_DEP_1) | instskip(NEXT) | instid1(VALU_DEP_1)
	v_lshlrev_b32_e32 v3, 2, v3
	v_add_lshl_u32 v22, v3, v23, 2
	s_waitcnt lgkmcnt(7)
	ds_bpermute_b32 v7, v22, v5
	s_waitcnt lgkmcnt(7)
	ds_bpermute_b32 v8, v22, v6
	;; [unrolled: 2-line block ×8, first 2 shown]
	v_cmpx_neq_f64_e32 0, v[14:15]
	s_cbranch_execz .LBB13_16
; %bb.13:
	s_mov_b32 s3, exec_lo
	s_waitcnt lgkmcnt(0)
	v_cmpx_neq_f64_e32 0, v[9:10]
	s_cbranch_execz .LBB13_15
; %bb.14:
	v_add_f64 v[11:12], v[14:15], v[9:10]
	v_add_f64 v[7:8], v[7:8], -v[5:6]
	v_add_f64 v[1:2], v[1:2], v[3:4]
	s_delay_alu instid0(VALU_DEP_3) | instskip(SKIP_1) | instid1(VALU_DEP_2)
	v_div_scale_f64 v[16:17], null, v[11:12], v[11:12], v[9:10]
	v_div_scale_f64 v[26:27], vcc_lo, v[9:10], v[11:12], v[9:10]
	v_rcp_f64_e32 v[18:19], v[16:17]
	s_waitcnt_depctr 0xfff
	v_fma_f64 v[24:25], -v[16:17], v[18:19], 1.0
	s_delay_alu instid0(VALU_DEP_1) | instskip(NEXT) | instid1(VALU_DEP_1)
	v_fma_f64 v[18:19], v[18:19], v[24:25], v[18:19]
	v_fma_f64 v[24:25], -v[16:17], v[18:19], 1.0
	s_delay_alu instid0(VALU_DEP_1) | instskip(NEXT) | instid1(VALU_DEP_1)
	v_fma_f64 v[18:19], v[18:19], v[24:25], v[18:19]
	v_mul_f64 v[24:25], v[26:27], v[18:19]
	s_delay_alu instid0(VALU_DEP_1) | instskip(NEXT) | instid1(VALU_DEP_1)
	v_fma_f64 v[16:17], -v[16:17], v[24:25], v[26:27]
	v_div_fmas_f64 v[16:17], v[16:17], v[18:19], v[24:25]
	v_mul_f64 v[18:19], v[7:8], v[7:8]
	s_delay_alu instid0(VALU_DEP_2) | instskip(NEXT) | instid1(VALU_DEP_2)
	v_div_fixup_f64 v[3:4], v[16:17], v[11:12], v[9:10]
	v_mul_f64 v[9:10], v[14:15], v[18:19]
	v_dual_mov_b32 v18, -1 :: v_dual_mov_b32 v15, v12
	v_dual_mov_b32 v19, -1 :: v_dual_mov_b32 v14, v11
	s_delay_alu instid0(VALU_DEP_4) | instskip(NEXT) | instid1(VALU_DEP_4)
	v_fma_f64 v[5:6], v[7:8], v[3:4], v[5:6]
	v_fma_f64 v[1:2], v[9:10], v[3:4], v[1:2]
.LBB13_15:
	s_or_b32 exec_lo, exec_lo, s3
	s_delay_alu instid0(VALU_DEP_3) | instskip(SKIP_1) | instid1(VALU_DEP_3)
	v_dual_mov_b32 v9, v14 :: v_dual_mov_b32 v10, v15
	v_dual_mov_b32 v16, v18 :: v_dual_mov_b32 v17, v19
	;; [unrolled: 1-line block ×4, first 2 shown]
.LBB13_16:
	s_or_b32 exec_lo, exec_lo, s2
	v_cmp_gt_u32_e32 vcc_lo, 30, v23
	s_mov_b32 s2, exec_lo
	v_cndmask_b32_e64 v1, 0, 1, vcc_lo
	s_delay_alu instid0(VALU_DEP_1) | instskip(NEXT) | instid1(VALU_DEP_1)
	v_lshlrev_b32_e32 v1, 1, v1
	v_add_lshl_u32 v18, v1, v23, 2
	s_waitcnt lgkmcnt(7)
	ds_bpermute_b32 v5, v18, v7
	s_waitcnt lgkmcnt(7)
	ds_bpermute_b32 v6, v18, v8
	;; [unrolled: 2-line block ×8, first 2 shown]
	v_cmpx_neq_f64_e32 0, v[9:10]
	s_cbranch_execz .LBB13_20
; %bb.17:
	s_mov_b32 s3, exec_lo
	s_waitcnt lgkmcnt(0)
	v_cmpx_neq_f64_e32 0, v[11:12]
	s_cbranch_execz .LBB13_19
; %bb.18:
	v_add_f64 v[13:14], v[9:10], v[11:12]
	v_add_f64 v[5:6], v[5:6], -v[7:8]
	v_add_f64 v[1:2], v[3:4], v[1:2]
	s_delay_alu instid0(VALU_DEP_3) | instskip(SKIP_1) | instid1(VALU_DEP_2)
	v_div_scale_f64 v[15:16], null, v[13:14], v[13:14], v[11:12]
	v_div_scale_f64 v[28:29], vcc_lo, v[11:12], v[13:14], v[11:12]
	v_rcp_f64_e32 v[24:25], v[15:16]
	s_waitcnt_depctr 0xfff
	v_fma_f64 v[26:27], -v[15:16], v[24:25], 1.0
	s_delay_alu instid0(VALU_DEP_1) | instskip(NEXT) | instid1(VALU_DEP_1)
	v_fma_f64 v[24:25], v[24:25], v[26:27], v[24:25]
	v_fma_f64 v[26:27], -v[15:16], v[24:25], 1.0
	s_delay_alu instid0(VALU_DEP_1) | instskip(NEXT) | instid1(VALU_DEP_1)
	v_fma_f64 v[24:25], v[24:25], v[26:27], v[24:25]
	v_mul_f64 v[26:27], v[28:29], v[24:25]
	s_delay_alu instid0(VALU_DEP_1) | instskip(NEXT) | instid1(VALU_DEP_1)
	v_fma_f64 v[15:16], -v[15:16], v[26:27], v[28:29]
	v_div_fmas_f64 v[15:16], v[15:16], v[24:25], v[26:27]
	v_mul_f64 v[24:25], v[5:6], v[5:6]
	s_delay_alu instid0(VALU_DEP_2) | instskip(NEXT) | instid1(VALU_DEP_2)
	v_div_fixup_f64 v[3:4], v[15:16], v[13:14], v[11:12]
	v_mul_f64 v[9:10], v[9:10], v[24:25]
	v_mov_b32_e32 v16, -1
	v_mov_b32_e32 v17, -1
	s_delay_alu instid0(VALU_DEP_4) | instskip(NEXT) | instid1(VALU_DEP_4)
	v_fma_f64 v[7:8], v[5:6], v[3:4], v[7:8]
	v_fma_f64 v[3:4], v[9:10], v[3:4], v[1:2]
	v_dual_mov_b32 v9, v13 :: v_dual_mov_b32 v10, v14
.LBB13_19:
	s_or_b32 exec_lo, exec_lo, s3
	s_delay_alu instid0(VALU_DEP_1) | instskip(SKIP_1) | instid1(VALU_DEP_4)
	v_dual_mov_b32 v12, v10 :: v_dual_mov_b32 v11, v9
	v_dual_mov_b32 v13, v16 :: v_dual_mov_b32 v14, v17
	;; [unrolled: 1-line block ×4, first 2 shown]
.LBB13_20:
	s_or_b32 exec_lo, exec_lo, s2
	v_cmp_ne_u32_e64 s2, 31, v23
	s_delay_alu instid0(VALU_DEP_1) | instskip(SKIP_1) | instid1(VALU_DEP_1)
	v_add_co_ci_u32_e64 v3, s2, 0, v23, s2
	s_mov_b32 s2, exec_lo
	v_lshlrev_b32_e32 v17, 2, v3
	s_waitcnt lgkmcnt(7)
	ds_bpermute_b32 v9, v17, v5
	s_waitcnt lgkmcnt(7)
	ds_bpermute_b32 v10, v17, v6
	;; [unrolled: 2-line block ×8, first 2 shown]
	v_cmpx_neq_f64_e32 0, v[11:12]
	s_cbranch_execz .LBB13_24
; %bb.21:
	s_mov_b32 s3, exec_lo
	s_waitcnt lgkmcnt(0)
	v_cmpx_neq_f64_e32 0, v[3:4]
	s_cbranch_execz .LBB13_23
; %bb.22:
	v_add_f64 v[15:16], v[11:12], v[3:4]
	v_add_f64 v[9:10], v[9:10], -v[5:6]
	v_add_f64 v[1:2], v[1:2], v[7:8]
	s_delay_alu instid0(VALU_DEP_3) | instskip(SKIP_1) | instid1(VALU_DEP_2)
	v_div_scale_f64 v[13:14], null, v[15:16], v[15:16], v[3:4]
	v_div_scale_f64 v[27:28], vcc_lo, v[3:4], v[15:16], v[3:4]
	v_rcp_f64_e32 v[23:24], v[13:14]
	s_waitcnt_depctr 0xfff
	v_fma_f64 v[25:26], -v[13:14], v[23:24], 1.0
	s_delay_alu instid0(VALU_DEP_1) | instskip(NEXT) | instid1(VALU_DEP_1)
	v_fma_f64 v[23:24], v[23:24], v[25:26], v[23:24]
	v_fma_f64 v[25:26], -v[13:14], v[23:24], 1.0
	s_delay_alu instid0(VALU_DEP_1) | instskip(NEXT) | instid1(VALU_DEP_1)
	v_fma_f64 v[23:24], v[23:24], v[25:26], v[23:24]
	v_mul_f64 v[25:26], v[27:28], v[23:24]
	s_delay_alu instid0(VALU_DEP_1) | instskip(NEXT) | instid1(VALU_DEP_1)
	v_fma_f64 v[13:14], -v[13:14], v[25:26], v[27:28]
	v_div_fmas_f64 v[13:14], v[13:14], v[23:24], v[25:26]
	v_mul_f64 v[23:24], v[9:10], v[9:10]
	s_delay_alu instid0(VALU_DEP_2) | instskip(NEXT) | instid1(VALU_DEP_2)
	v_div_fixup_f64 v[3:4], v[13:14], v[15:16], v[3:4]
	v_mul_f64 v[7:8], v[11:12], v[23:24]
	v_mov_b32_e32 v13, -1
	v_dual_mov_b32 v14, -1 :: v_dual_mov_b32 v11, v15
	v_mov_b32_e32 v12, v16
	v_fma_f64 v[5:6], v[9:10], v[3:4], v[5:6]
	v_fma_f64 v[1:2], v[7:8], v[3:4], v[1:2]
.LBB13_23:
	s_or_b32 exec_lo, exec_lo, s3
	s_delay_alu instid0(VALU_DEP_3) | instskip(SKIP_1) | instid1(VALU_DEP_3)
	v_dual_mov_b32 v3, v11 :: v_dual_mov_b32 v4, v12
	v_dual_mov_b32 v16, v14 :: v_dual_mov_b32 v15, v13
	;; [unrolled: 1-line block ×4, first 2 shown]
.LBB13_24:
	s_or_b32 exec_lo, exec_lo, s2
	v_and_b32_e32 v5, 31, v0
	s_mov_b32 s2, exec_lo
	s_waitcnt lgkmcnt(0)
	s_barrier
	buffer_gl0_inv
	v_cmpx_eq_u32_e32 0, v5
	s_cbranch_execz .LBB13_26
; %bb.25:
	ds_store_2addr_b64 v0, v[9:10], v[7:8] offset1:1
	ds_store_2addr_b64 v0, v[15:16], v[3:4] offset0:2 offset1:3
.LBB13_26:
	s_or_b32 exec_lo, exec_lo, s2
	s_waitcnt lgkmcnt(0)
	s_barrier
	buffer_gl0_inv
	s_load_b32 s2, s[0:1], 0x34
	v_mov_b32_e32 v1, 0
	v_dual_mov_b32 v2, 0 :: v_dual_lshlrev_b32 v7, 5, v5
	s_delay_alu instid0(VALU_DEP_1) | instskip(SKIP_2) | instid1(SALU_CYCLE_1)
	v_dual_mov_b32 v4, v2 :: v_dual_mov_b32 v3, v1
	s_waitcnt lgkmcnt(0)
	s_bfe_u32 s2, s2, 0xb0005
	v_cmp_gt_u32_e32 vcc_lo, s2, v0
	s_and_saveexec_b32 s2, vcc_lo
	s_cbranch_execz .LBB13_28
; %bb.27:
	ds_load_b64 v[3:4], v7
.LBB13_28:
	s_or_b32 exec_lo, exec_lo, s2
	s_and_saveexec_b32 s2, vcc_lo
	s_cbranch_execz .LBB13_30
; %bb.29:
	ds_load_b64 v[1:2], v7 offset:8
.LBB13_30:
	s_or_b32 exec_lo, exec_lo, s2
	v_mov_b32_e32 v5, 0
	v_mov_b32_e32 v6, 0
	s_and_saveexec_b32 s2, vcc_lo
	s_cbranch_execz .LBB13_32
; %bb.31:
	ds_load_b64 v[5:6], v7 offset:24
.LBB13_32:
	s_or_b32 exec_lo, exec_lo, s2
	s_delay_alu instid0(SALU_CYCLE_1)
	s_mov_b32 s2, exec_lo
	v_cmpx_gt_u32_e32 32, v0
	s_cbranch_execz .LBB13_54
; %bb.33:
	s_waitcnt lgkmcnt(0)
	ds_bpermute_b32 v9, v20, v3
	ds_bpermute_b32 v10, v20, v4
	;; [unrolled: 1-line block ×6, first 2 shown]
	s_mov_b32 s3, exec_lo
	v_cmpx_neq_f64_e32 0, v[5:6]
	s_cbranch_execz .LBB13_37
; %bb.34:
	s_mov_b32 s4, exec_lo
	s_waitcnt lgkmcnt(0)
	v_cmpx_neq_f64_e32 0, v[11:12]
	s_cbranch_execz .LBB13_36
; %bb.35:
	v_add_f64 v[13:14], v[5:6], v[11:12]
	v_add_f64 v[9:10], v[9:10], -v[3:4]
	v_add_f64 v[1:2], v[1:2], v[7:8]
	s_delay_alu instid0(VALU_DEP_3) | instskip(SKIP_1) | instid1(VALU_DEP_2)
	v_div_scale_f64 v[15:16], null, v[13:14], v[13:14], v[11:12]
	v_div_scale_f64 v[25:26], vcc_lo, v[11:12], v[13:14], v[11:12]
	v_rcp_f64_e32 v[19:20], v[15:16]
	s_waitcnt_depctr 0xfff
	v_fma_f64 v[23:24], -v[15:16], v[19:20], 1.0
	s_delay_alu instid0(VALU_DEP_1) | instskip(NEXT) | instid1(VALU_DEP_1)
	v_fma_f64 v[19:20], v[19:20], v[23:24], v[19:20]
	v_fma_f64 v[23:24], -v[15:16], v[19:20], 1.0
	s_delay_alu instid0(VALU_DEP_1) | instskip(NEXT) | instid1(VALU_DEP_1)
	v_fma_f64 v[19:20], v[19:20], v[23:24], v[19:20]
	v_mul_f64 v[23:24], v[25:26], v[19:20]
	s_delay_alu instid0(VALU_DEP_1) | instskip(NEXT) | instid1(VALU_DEP_1)
	v_fma_f64 v[15:16], -v[15:16], v[23:24], v[25:26]
	v_div_fmas_f64 v[15:16], v[15:16], v[19:20], v[23:24]
	v_mul_f64 v[19:20], v[9:10], v[9:10]
	s_delay_alu instid0(VALU_DEP_2) | instskip(NEXT) | instid1(VALU_DEP_2)
	v_div_fixup_f64 v[7:8], v[15:16], v[13:14], v[11:12]
	v_mul_f64 v[5:6], v[5:6], v[19:20]
	s_delay_alu instid0(VALU_DEP_2) | instskip(NEXT) | instid1(VALU_DEP_2)
	v_fma_f64 v[3:4], v[9:10], v[7:8], v[3:4]
	v_fma_f64 v[1:2], v[5:6], v[7:8], v[1:2]
	v_dual_mov_b32 v5, v13 :: v_dual_mov_b32 v6, v14
.LBB13_36:
	s_or_b32 exec_lo, exec_lo, s4
	s_delay_alu instid0(VALU_DEP_1) | instskip(NEXT) | instid1(VALU_DEP_3)
	v_dual_mov_b32 v12, v6 :: v_dual_mov_b32 v11, v5
	v_dual_mov_b32 v8, v2 :: v_dual_mov_b32 v7, v1
	;; [unrolled: 1-line block ×3, first 2 shown]
.LBB13_37:
	s_or_b32 exec_lo, exec_lo, s3
	s_waitcnt lgkmcnt(5)
	ds_bpermute_b32 v5, v21, v9
	s_waitcnt lgkmcnt(5)
	ds_bpermute_b32 v6, v21, v10
	;; [unrolled: 2-line block ×6, first 2 shown]
	s_mov_b32 s3, exec_lo
	v_cmpx_neq_f64_e32 0, v[11:12]
	s_cbranch_execz .LBB13_41
; %bb.38:
	s_mov_b32 s4, exec_lo
	s_waitcnt lgkmcnt(0)
	v_cmpx_neq_f64_e32 0, v[13:14]
	s_cbranch_execz .LBB13_40
; %bb.39:
	v_add_f64 v[3:4], v[11:12], v[13:14]
	v_add_f64 v[5:6], v[5:6], -v[9:10]
	v_add_f64 v[1:2], v[7:8], v[1:2]
	s_delay_alu instid0(VALU_DEP_3) | instskip(SKIP_1) | instid1(VALU_DEP_2)
	v_div_scale_f64 v[15:16], null, v[3:4], v[3:4], v[13:14]
	v_div_scale_f64 v[25:26], vcc_lo, v[13:14], v[3:4], v[13:14]
	v_rcp_f64_e32 v[19:20], v[15:16]
	s_waitcnt_depctr 0xfff
	v_fma_f64 v[23:24], -v[15:16], v[19:20], 1.0
	s_delay_alu instid0(VALU_DEP_1) | instskip(NEXT) | instid1(VALU_DEP_1)
	v_fma_f64 v[19:20], v[19:20], v[23:24], v[19:20]
	v_fma_f64 v[23:24], -v[15:16], v[19:20], 1.0
	s_delay_alu instid0(VALU_DEP_1) | instskip(NEXT) | instid1(VALU_DEP_1)
	v_fma_f64 v[19:20], v[19:20], v[23:24], v[19:20]
	v_mul_f64 v[23:24], v[25:26], v[19:20]
	s_delay_alu instid0(VALU_DEP_1) | instskip(NEXT) | instid1(VALU_DEP_1)
	v_fma_f64 v[15:16], -v[15:16], v[23:24], v[25:26]
	v_div_fmas_f64 v[15:16], v[15:16], v[19:20], v[23:24]
	v_mul_f64 v[19:20], v[5:6], v[5:6]
	s_delay_alu instid0(VALU_DEP_2) | instskip(NEXT) | instid1(VALU_DEP_2)
	v_div_fixup_f64 v[7:8], v[15:16], v[3:4], v[13:14]
	v_mul_f64 v[11:12], v[11:12], v[19:20]
	s_delay_alu instid0(VALU_DEP_2) | instskip(NEXT) | instid1(VALU_DEP_2)
	v_fma_f64 v[9:10], v[5:6], v[7:8], v[9:10]
	v_fma_f64 v[7:8], v[11:12], v[7:8], v[1:2]
	v_dual_mov_b32 v12, v4 :: v_dual_mov_b32 v11, v3
.LBB13_40:
	s_or_b32 exec_lo, exec_lo, s4
	s_delay_alu instid0(VALU_DEP_1) | instskip(NEXT) | instid1(VALU_DEP_3)
	v_dual_mov_b32 v14, v12 :: v_dual_mov_b32 v13, v11
	v_dual_mov_b32 v1, v7 :: v_dual_mov_b32 v2, v8
	;; [unrolled: 1-line block ×3, first 2 shown]
.LBB13_41:
	s_or_b32 exec_lo, exec_lo, s3
	s_waitcnt lgkmcnt(5)
	ds_bpermute_b32 v11, v22, v5
	s_waitcnt lgkmcnt(5)
	ds_bpermute_b32 v12, v22, v6
	;; [unrolled: 2-line block ×6, first 2 shown]
	s_mov_b32 s3, exec_lo
	v_cmpx_neq_f64_e32 0, v[13:14]
	s_cbranch_execz .LBB13_45
; %bb.42:
	s_mov_b32 s4, exec_lo
	s_waitcnt lgkmcnt(0)
	v_cmpx_neq_f64_e32 0, v[15:16]
	s_cbranch_execz .LBB13_44
; %bb.43:
	v_add_f64 v[7:8], v[13:14], v[15:16]
	v_add_f64 v[11:12], v[11:12], -v[5:6]
	v_add_f64 v[1:2], v[1:2], v[3:4]
	s_delay_alu instid0(VALU_DEP_3) | instskip(SKIP_1) | instid1(VALU_DEP_2)
	v_div_scale_f64 v[9:10], null, v[7:8], v[7:8], v[15:16]
	v_div_scale_f64 v[23:24], vcc_lo, v[15:16], v[7:8], v[15:16]
	v_rcp_f64_e32 v[19:20], v[9:10]
	s_waitcnt_depctr 0xfff
	v_fma_f64 v[21:22], -v[9:10], v[19:20], 1.0
	s_delay_alu instid0(VALU_DEP_1) | instskip(NEXT) | instid1(VALU_DEP_1)
	v_fma_f64 v[19:20], v[19:20], v[21:22], v[19:20]
	v_fma_f64 v[21:22], -v[9:10], v[19:20], 1.0
	s_delay_alu instid0(VALU_DEP_1) | instskip(NEXT) | instid1(VALU_DEP_1)
	v_fma_f64 v[19:20], v[19:20], v[21:22], v[19:20]
	v_mul_f64 v[21:22], v[23:24], v[19:20]
	s_delay_alu instid0(VALU_DEP_1) | instskip(NEXT) | instid1(VALU_DEP_1)
	v_fma_f64 v[9:10], -v[9:10], v[21:22], v[23:24]
	v_div_fmas_f64 v[9:10], v[9:10], v[19:20], v[21:22]
	v_mul_f64 v[19:20], v[11:12], v[11:12]
	s_delay_alu instid0(VALU_DEP_2) | instskip(NEXT) | instid1(VALU_DEP_2)
	v_div_fixup_f64 v[3:4], v[9:10], v[7:8], v[15:16]
	v_mul_f64 v[9:10], v[13:14], v[19:20]
	v_dual_mov_b32 v14, v8 :: v_dual_mov_b32 v13, v7
	s_delay_alu instid0(VALU_DEP_3) | instskip(NEXT) | instid1(VALU_DEP_3)
	v_fma_f64 v[5:6], v[11:12], v[3:4], v[5:6]
	v_fma_f64 v[1:2], v[9:10], v[3:4], v[1:2]
.LBB13_44:
	s_or_b32 exec_lo, exec_lo, s4
	s_delay_alu instid0(VALU_DEP_3) | instskip(NEXT) | instid1(VALU_DEP_2)
	v_dual_mov_b32 v16, v14 :: v_dual_mov_b32 v15, v13
	v_dual_mov_b32 v4, v2 :: v_dual_mov_b32 v3, v1
	s_delay_alu instid0(VALU_DEP_4)
	v_dual_mov_b32 v12, v6 :: v_dual_mov_b32 v11, v5
.LBB13_45:
	s_or_b32 exec_lo, exec_lo, s3
	s_waitcnt lgkmcnt(5)
	ds_bpermute_b32 v13, v18, v11
	s_waitcnt lgkmcnt(5)
	ds_bpermute_b32 v14, v18, v12
	;; [unrolled: 2-line block ×6, first 2 shown]
	s_mov_b32 s3, exec_lo
	v_cmpx_neq_f64_e32 0, v[15:16]
	s_cbranch_execz .LBB13_49
; %bb.46:
	s_mov_b32 s4, exec_lo
	s_waitcnt lgkmcnt(0)
	v_cmpx_neq_f64_e32 0, v[7:8]
	s_cbranch_execz .LBB13_48
; %bb.47:
	v_add_f64 v[1:2], v[15:16], v[7:8]
	v_add_f64 v[13:14], v[13:14], -v[11:12]
	v_add_f64 v[3:4], v[3:4], v[9:10]
	s_delay_alu instid0(VALU_DEP_3) | instskip(SKIP_1) | instid1(VALU_DEP_2)
	v_div_scale_f64 v[5:6], null, v[1:2], v[1:2], v[7:8]
	v_div_scale_f64 v[22:23], vcc_lo, v[7:8], v[1:2], v[7:8]
	v_rcp_f64_e32 v[18:19], v[5:6]
	s_waitcnt_depctr 0xfff
	v_fma_f64 v[20:21], -v[5:6], v[18:19], 1.0
	s_delay_alu instid0(VALU_DEP_1) | instskip(NEXT) | instid1(VALU_DEP_1)
	v_fma_f64 v[18:19], v[18:19], v[20:21], v[18:19]
	v_fma_f64 v[20:21], -v[5:6], v[18:19], 1.0
	s_delay_alu instid0(VALU_DEP_1) | instskip(NEXT) | instid1(VALU_DEP_1)
	v_fma_f64 v[18:19], v[18:19], v[20:21], v[18:19]
	v_mul_f64 v[20:21], v[22:23], v[18:19]
	s_delay_alu instid0(VALU_DEP_1) | instskip(NEXT) | instid1(VALU_DEP_1)
	v_fma_f64 v[5:6], -v[5:6], v[20:21], v[22:23]
	v_div_fmas_f64 v[5:6], v[5:6], v[18:19], v[20:21]
	v_mul_f64 v[18:19], v[13:14], v[13:14]
	s_delay_alu instid0(VALU_DEP_2) | instskip(NEXT) | instid1(VALU_DEP_2)
	v_div_fixup_f64 v[5:6], v[5:6], v[1:2], v[7:8]
	v_mul_f64 v[7:8], v[15:16], v[18:19]
	v_dual_mov_b32 v16, v2 :: v_dual_mov_b32 v15, v1
	s_delay_alu instid0(VALU_DEP_3) | instskip(NEXT) | instid1(VALU_DEP_3)
	v_fma_f64 v[11:12], v[13:14], v[5:6], v[11:12]
	v_fma_f64 v[3:4], v[7:8], v[5:6], v[3:4]
.LBB13_48:
	s_or_b32 exec_lo, exec_lo, s4
	s_delay_alu instid0(VALU_DEP_3) | instskip(NEXT) | instid1(VALU_DEP_2)
	v_dual_mov_b32 v7, v15 :: v_dual_mov_b32 v8, v16
	v_dual_mov_b32 v10, v4 :: v_dual_mov_b32 v9, v3
	s_delay_alu instid0(VALU_DEP_4)
	v_dual_mov_b32 v14, v12 :: v_dual_mov_b32 v13, v11
.LBB13_49:
	s_or_b32 exec_lo, exec_lo, s3
	s_waitcnt lgkmcnt(5)
	ds_bpermute_b32 v3, v17, v13
	s_waitcnt lgkmcnt(5)
	ds_bpermute_b32 v4, v17, v14
	;; [unrolled: 2-line block ×6, first 2 shown]
	s_mov_b32 s3, exec_lo
	v_cmpx_neq_f64_e32 0, v[7:8]
	s_cbranch_execz .LBB13_53
; %bb.50:
	s_mov_b32 s4, exec_lo
	s_waitcnt lgkmcnt(0)
	v_cmpx_neq_f64_e32 0, v[5:6]
	s_cbranch_execz .LBB13_52
; %bb.51:
	v_add_f64 v[11:12], v[7:8], v[5:6]
	v_add_f64 v[3:4], v[3:4], -v[13:14]
	v_add_f64 v[1:2], v[9:10], v[1:2]
	s_delay_alu instid0(VALU_DEP_3) | instskip(SKIP_1) | instid1(VALU_DEP_2)
	v_div_scale_f64 v[15:16], null, v[11:12], v[11:12], v[5:6]
	v_div_scale_f64 v[21:22], vcc_lo, v[5:6], v[11:12], v[5:6]
	v_rcp_f64_e32 v[17:18], v[15:16]
	s_waitcnt_depctr 0xfff
	v_fma_f64 v[19:20], -v[15:16], v[17:18], 1.0
	s_delay_alu instid0(VALU_DEP_1) | instskip(NEXT) | instid1(VALU_DEP_1)
	v_fma_f64 v[17:18], v[17:18], v[19:20], v[17:18]
	v_fma_f64 v[19:20], -v[15:16], v[17:18], 1.0
	s_delay_alu instid0(VALU_DEP_1) | instskip(NEXT) | instid1(VALU_DEP_1)
	v_fma_f64 v[17:18], v[17:18], v[19:20], v[17:18]
	v_mul_f64 v[19:20], v[21:22], v[17:18]
	s_delay_alu instid0(VALU_DEP_1) | instskip(NEXT) | instid1(VALU_DEP_1)
	v_fma_f64 v[15:16], -v[15:16], v[19:20], v[21:22]
	v_div_fmas_f64 v[15:16], v[15:16], v[17:18], v[19:20]
	v_mul_f64 v[17:18], v[3:4], v[3:4]
	s_delay_alu instid0(VALU_DEP_2) | instskip(NEXT) | instid1(VALU_DEP_2)
	v_div_fixup_f64 v[5:6], v[15:16], v[11:12], v[5:6]
	v_mul_f64 v[7:8], v[7:8], v[17:18]
	s_delay_alu instid0(VALU_DEP_2) | instskip(NEXT) | instid1(VALU_DEP_2)
	v_fma_f64 v[13:14], v[3:4], v[5:6], v[13:14]
	v_fma_f64 v[9:10], v[7:8], v[5:6], v[1:2]
	v_dual_mov_b32 v7, v11 :: v_dual_mov_b32 v8, v12
.LBB13_52:
	s_or_b32 exec_lo, exec_lo, s4
	s_delay_alu instid0(VALU_DEP_1) | instskip(NEXT) | instid1(VALU_DEP_3)
	v_dual_mov_b32 v5, v7 :: v_dual_mov_b32 v6, v8
	v_dual_mov_b32 v1, v9 :: v_dual_mov_b32 v2, v10
	;; [unrolled: 1-line block ×3, first 2 shown]
.LBB13_53:
	s_or_b32 exec_lo, exec_lo, s3
.LBB13_54:
	s_delay_alu instid0(SALU_CYCLE_1) | instskip(NEXT) | instid1(SALU_CYCLE_1)
	s_or_b32 exec_lo, exec_lo, s2
	s_mov_b32 s2, exec_lo
	v_cmpx_eq_u32_e32 0, v0
	s_cbranch_execz .LBB13_56
; %bb.55:
	s_waitcnt lgkmcnt(0)
	v_max_f64 v[5:6], v[5:6], v[5:6]
	s_load_b64 s[0:1], s[0:1], 0x20
	s_lshl_b64 s[2:3], s[8:9], 3
	s_waitcnt lgkmcnt(0)
	s_add_u32 s0, s0, s2
	s_addc_u32 s1, s1, s3
	s_delay_alu instid0(VALU_DEP_1) | instskip(NEXT) | instid1(VALU_DEP_1)
	v_max_f64 v[5:6], v[5:6], 0
	v_div_scale_f64 v[7:8], null, v[5:6], v[5:6], v[1:2]
	v_div_scale_f64 v[13:14], vcc_lo, v[1:2], v[5:6], v[1:2]
	s_delay_alu instid0(VALU_DEP_2) | instskip(SKIP_2) | instid1(VALU_DEP_1)
	v_rcp_f64_e32 v[9:10], v[7:8]
	s_waitcnt_depctr 0xfff
	v_fma_f64 v[11:12], -v[7:8], v[9:10], 1.0
	v_fma_f64 v[9:10], v[9:10], v[11:12], v[9:10]
	s_delay_alu instid0(VALU_DEP_1) | instskip(NEXT) | instid1(VALU_DEP_1)
	v_fma_f64 v[11:12], -v[7:8], v[9:10], 1.0
	v_fma_f64 v[9:10], v[9:10], v[11:12], v[9:10]
	s_delay_alu instid0(VALU_DEP_1) | instskip(NEXT) | instid1(VALU_DEP_1)
	v_mul_f64 v[11:12], v[13:14], v[9:10]
	v_fma_f64 v[7:8], -v[7:8], v[11:12], v[13:14]
	s_delay_alu instid0(VALU_DEP_1) | instskip(NEXT) | instid1(VALU_DEP_1)
	v_div_fmas_f64 v[7:8], v[7:8], v[9:10], v[11:12]
	v_div_fixup_f64 v[0:1], v[7:8], v[5:6], v[1:2]
	s_delay_alu instid0(VALU_DEP_1) | instskip(NEXT) | instid1(VALU_DEP_1)
	v_fma_f64 v[0:1], v[3:4], v[3:4], v[0:1]
	v_add_f64 v[0:1], v[0:1], s[6:7]
	s_delay_alu instid0(VALU_DEP_1) | instskip(SKIP_3) | instid1(VALU_DEP_2)
	v_rsq_f64_e32 v[2:3], v[0:1]
	s_waitcnt_depctr 0xfff
	v_mul_f64 v[0:1], v[2:3], -v[0:1]
	v_cmp_class_f64_e64 vcc_lo, v[2:3], 0x180
	v_fma_f64 v[0:1], v[0:1], v[2:3], 1.0
	s_delay_alu instid0(VALU_DEP_1) | instskip(SKIP_1) | instid1(VALU_DEP_1)
	v_mul_f64 v[4:5], v[2:3], v[0:1]
	v_fma_f64 v[0:1], 0x3fd80000, v[0:1], 0.5
	v_fma_f64 v[0:1], v[4:5], v[0:1], v[2:3]
	s_delay_alu instid0(VALU_DEP_1)
	v_dual_cndmask_b32 v1, v3, v1 :: v_dual_cndmask_b32 v0, v2, v0
	v_mov_b32_e32 v2, 0
	global_store_b64 v2, v[0:1], s[0:1]
.LBB13_56:
	s_nop 0
	s_sendmsg sendmsg(MSG_DEALLOC_VGPRS)
	s_endpgm
	.section	.rodata,"a",@progbits
	.p2align	6, 0x0
	.amdhsa_kernel _ZN2at6native12_GLOBAL__N_124RowwiseMomentsCUDAKernelIddLb1EEEvlT0_PKT_PS3_S7_
		.amdhsa_group_segment_fixed_size 1024
		.amdhsa_private_segment_fixed_size 0
		.amdhsa_kernarg_size 296
		.amdhsa_user_sgpr_count 15
		.amdhsa_user_sgpr_dispatch_ptr 0
		.amdhsa_user_sgpr_queue_ptr 0
		.amdhsa_user_sgpr_kernarg_segment_ptr 1
		.amdhsa_user_sgpr_dispatch_id 0
		.amdhsa_user_sgpr_private_segment_size 0
		.amdhsa_wavefront_size32 1
		.amdhsa_uses_dynamic_stack 0
		.amdhsa_enable_private_segment 0
		.amdhsa_system_sgpr_workgroup_id_x 1
		.amdhsa_system_sgpr_workgroup_id_y 0
		.amdhsa_system_sgpr_workgroup_id_z 0
		.amdhsa_system_sgpr_workgroup_info 0
		.amdhsa_system_vgpr_workitem_id 0
		.amdhsa_next_free_vgpr 30
		.amdhsa_next_free_sgpr 16
		.amdhsa_reserve_vcc 1
		.amdhsa_float_round_mode_32 0
		.amdhsa_float_round_mode_16_64 0
		.amdhsa_float_denorm_mode_32 3
		.amdhsa_float_denorm_mode_16_64 3
		.amdhsa_dx10_clamp 1
		.amdhsa_ieee_mode 1
		.amdhsa_fp16_overflow 0
		.amdhsa_workgroup_processor_mode 1
		.amdhsa_memory_ordered 1
		.amdhsa_forward_progress 0
		.amdhsa_shared_vgpr_count 0
		.amdhsa_exception_fp_ieee_invalid_op 0
		.amdhsa_exception_fp_denorm_src 0
		.amdhsa_exception_fp_ieee_div_zero 0
		.amdhsa_exception_fp_ieee_overflow 0
		.amdhsa_exception_fp_ieee_underflow 0
		.amdhsa_exception_fp_ieee_inexact 0
		.amdhsa_exception_int_div_zero 0
	.end_amdhsa_kernel
	.section	.text._ZN2at6native12_GLOBAL__N_124RowwiseMomentsCUDAKernelIddLb1EEEvlT0_PKT_PS3_S7_,"axG",@progbits,_ZN2at6native12_GLOBAL__N_124RowwiseMomentsCUDAKernelIddLb1EEEvlT0_PKT_PS3_S7_,comdat
.Lfunc_end13:
	.size	_ZN2at6native12_GLOBAL__N_124RowwiseMomentsCUDAKernelIddLb1EEEvlT0_PKT_PS3_S7_, .Lfunc_end13-_ZN2at6native12_GLOBAL__N_124RowwiseMomentsCUDAKernelIddLb1EEEvlT0_PKT_PS3_S7_
                                        ; -- End function
	.section	.AMDGPU.csdata,"",@progbits
; Kernel info:
; codeLenInByte = 4368
; NumSgprs: 18
; NumVgprs: 30
; ScratchSize: 0
; MemoryBound: 0
; FloatMode: 240
; IeeeMode: 1
; LDSByteSize: 1024 bytes/workgroup (compile time only)
; SGPRBlocks: 2
; VGPRBlocks: 3
; NumSGPRsForWavesPerEU: 18
; NumVGPRsForWavesPerEU: 30
; Occupancy: 16
; WaveLimiterHint : 0
; COMPUTE_PGM_RSRC2:SCRATCH_EN: 0
; COMPUTE_PGM_RSRC2:USER_SGPR: 15
; COMPUTE_PGM_RSRC2:TRAP_HANDLER: 0
; COMPUTE_PGM_RSRC2:TGID_X_EN: 1
; COMPUTE_PGM_RSRC2:TGID_Y_EN: 0
; COMPUTE_PGM_RSRC2:TGID_Z_EN: 0
; COMPUTE_PGM_RSRC2:TIDIG_COMP_CNT: 0
	.section	.text._ZN2at6native12_GLOBAL__N_126LayerNormForwardCUDAKernelIddLb1EEEvlPKT_PKT0_S8_S5_S5_PS3_,"axG",@progbits,_ZN2at6native12_GLOBAL__N_126LayerNormForwardCUDAKernelIddLb1EEEvlPKT_PKT0_S8_S5_S5_PS3_,comdat
	.globl	_ZN2at6native12_GLOBAL__N_126LayerNormForwardCUDAKernelIddLb1EEEvlPKT_PKT0_S8_S5_S5_PS3_ ; -- Begin function _ZN2at6native12_GLOBAL__N_126LayerNormForwardCUDAKernelIddLb1EEEvlPKT_PKT0_S8_S5_S5_PS3_
	.p2align	8
	.type	_ZN2at6native12_GLOBAL__N_126LayerNormForwardCUDAKernelIddLb1EEEvlPKT_PKT0_S8_S5_S5_PS3_,@function
_ZN2at6native12_GLOBAL__N_126LayerNormForwardCUDAKernelIddLb1EEEvlPKT_PKT0_S8_S5_S5_PS3_: ; @_ZN2at6native12_GLOBAL__N_126LayerNormForwardCUDAKernelIddLb1EEEvlPKT_PKT0_S8_S5_S5_PS3_
; %bb.0:
	s_load_b128 s[4:7], s[0:1], 0x0
	v_mov_b32_e32 v1, 0
	s_mov_b32 s3, exec_lo
	s_waitcnt lgkmcnt(0)
	s_delay_alu instid0(VALU_DEP_1)
	v_cmpx_gt_i64_e64 s[4:5], v[0:1]
	s_cbranch_execz .LBB14_6
; %bb.1:
	s_mov_b32 s2, s15
	s_clause 0x2
	s_load_b128 s[8:11], s[0:1], 0x18
	s_load_b32 s18, s[0:1], 0x44
	s_load_b64 s[14:15], s[0:1], 0x30
	s_mov_b32 s3, 0
	s_mul_i32 s0, s5, s2
	s_mul_hi_u32 s13, s4, s2
	s_mul_i32 s12, s4, s2
	v_dual_mov_b32 v7, v1 :: v_dual_lshlrev_b32 v6, 3, v0
	v_dual_mov_b32 v3, v1 :: v_dual_mov_b32 v2, v0
	s_waitcnt lgkmcnt(0)
	s_cmp_lg_u64 s[10:11], 0
	s_cselect_b32 s1, -1, 0
	s_lshl_b64 s[16:17], s[2:3], 3
	s_delay_alu instid0(SALU_CYCLE_1) | instskip(SKIP_4) | instid1(SALU_CYCLE_1)
	s_add_u32 s8, s8, s16
	s_addc_u32 s9, s9, s17
	s_add_i32 s13, s13, s0
	s_and_b32 s2, s18, 0xffff
	s_lshl_b64 s[16:17], s[12:13], 3
	s_add_u32 s6, s6, s16
	s_addc_u32 s7, s7, s17
	s_lshl_b32 s12, s2, 3
	s_add_u32 s13, s14, s16
	s_addc_u32 s14, s15, s17
	s_set_inst_prefetch_distance 0x1
	s_branch .LBB14_4
	.p2align	6
.LBB14_2:                               ;   in Loop: Header=BB14_4 Depth=1
	v_add_co_u32 v4, vcc_lo, s10, v6
	v_add_co_ci_u32_e32 v5, vcc_lo, s11, v7, vcc_lo
	global_load_b64 v[4:5], v[4:5], off
.LBB14_3:                               ;   in Loop: Header=BB14_4 Depth=1
	v_add_co_u32 v8, vcc_lo, s6, v6
	v_add_co_ci_u32_e32 v9, vcc_lo, s7, v7, vcc_lo
	v_add_co_u32 v2, vcc_lo, v2, s2
	v_add_co_ci_u32_e32 v3, vcc_lo, 0, v3, vcc_lo
	global_load_b64 v[8:9], v[8:9], off
	global_load_b64 v[10:11], v1, s[8:9]
	s_waitcnt vmcnt(0)
	v_mul_f64 v[8:9], v[8:9], v[10:11]
	s_delay_alu instid0(VALU_DEP_1) | instskip(SKIP_4) | instid1(VALU_DEP_1)
	v_mul_f64 v[4:5], v[4:5], v[8:9]
	v_add_co_u32 v8, vcc_lo, s13, v6
	v_add_co_ci_u32_e32 v9, vcc_lo, s14, v7, vcc_lo
	v_cmp_le_i64_e32 vcc_lo, s[4:5], v[2:3]
	v_add_co_u32 v6, s0, v6, s12
	v_add_co_ci_u32_e64 v7, s0, 0, v7, s0
	s_or_b32 s3, vcc_lo, s3
	global_store_b64 v[8:9], v[4:5], off
	s_and_not1_b32 exec_lo, exec_lo, s3
	s_cbranch_execz .LBB14_6
.LBB14_4:                               ; =>This Inner Loop Header: Depth=1
	s_and_not1_b32 vcc_lo, exec_lo, s1
	s_cbranch_vccz .LBB14_2
; %bb.5:                                ;   in Loop: Header=BB14_4 Depth=1
	v_mov_b32_e32 v4, 0
	v_mov_b32_e32 v5, 0x3ff00000
	s_branch .LBB14_3
.LBB14_6:
	s_set_inst_prefetch_distance 0x2
	s_nop 0
	s_sendmsg sendmsg(MSG_DEALLOC_VGPRS)
	s_endpgm
	.section	.rodata,"a",@progbits
	.p2align	6, 0x0
	.amdhsa_kernel _ZN2at6native12_GLOBAL__N_126LayerNormForwardCUDAKernelIddLb1EEEvlPKT_PKT0_S8_S5_S5_PS3_
		.amdhsa_group_segment_fixed_size 0
		.amdhsa_private_segment_fixed_size 0
		.amdhsa_kernarg_size 312
		.amdhsa_user_sgpr_count 15
		.amdhsa_user_sgpr_dispatch_ptr 0
		.amdhsa_user_sgpr_queue_ptr 0
		.amdhsa_user_sgpr_kernarg_segment_ptr 1
		.amdhsa_user_sgpr_dispatch_id 0
		.amdhsa_user_sgpr_private_segment_size 0
		.amdhsa_wavefront_size32 1
		.amdhsa_uses_dynamic_stack 0
		.amdhsa_enable_private_segment 0
		.amdhsa_system_sgpr_workgroup_id_x 1
		.amdhsa_system_sgpr_workgroup_id_y 0
		.amdhsa_system_sgpr_workgroup_id_z 0
		.amdhsa_system_sgpr_workgroup_info 0
		.amdhsa_system_vgpr_workitem_id 0
		.amdhsa_next_free_vgpr 12
		.amdhsa_next_free_sgpr 19
		.amdhsa_reserve_vcc 1
		.amdhsa_float_round_mode_32 0
		.amdhsa_float_round_mode_16_64 0
		.amdhsa_float_denorm_mode_32 3
		.amdhsa_float_denorm_mode_16_64 3
		.amdhsa_dx10_clamp 1
		.amdhsa_ieee_mode 1
		.amdhsa_fp16_overflow 0
		.amdhsa_workgroup_processor_mode 1
		.amdhsa_memory_ordered 1
		.amdhsa_forward_progress 0
		.amdhsa_shared_vgpr_count 0
		.amdhsa_exception_fp_ieee_invalid_op 0
		.amdhsa_exception_fp_denorm_src 0
		.amdhsa_exception_fp_ieee_div_zero 0
		.amdhsa_exception_fp_ieee_overflow 0
		.amdhsa_exception_fp_ieee_underflow 0
		.amdhsa_exception_fp_ieee_inexact 0
		.amdhsa_exception_int_div_zero 0
	.end_amdhsa_kernel
	.section	.text._ZN2at6native12_GLOBAL__N_126LayerNormForwardCUDAKernelIddLb1EEEvlPKT_PKT0_S8_S5_S5_PS3_,"axG",@progbits,_ZN2at6native12_GLOBAL__N_126LayerNormForwardCUDAKernelIddLb1EEEvlPKT_PKT0_S8_S5_S5_PS3_,comdat
.Lfunc_end14:
	.size	_ZN2at6native12_GLOBAL__N_126LayerNormForwardCUDAKernelIddLb1EEEvlPKT_PKT0_S8_S5_S5_PS3_, .Lfunc_end14-_ZN2at6native12_GLOBAL__N_126LayerNormForwardCUDAKernelIddLb1EEEvlPKT_PKT0_S8_S5_S5_PS3_
                                        ; -- End function
	.section	.AMDGPU.csdata,"",@progbits
; Kernel info:
; codeLenInByte = 348
; NumSgprs: 21
; NumVgprs: 12
; ScratchSize: 0
; MemoryBound: 0
; FloatMode: 240
; IeeeMode: 1
; LDSByteSize: 0 bytes/workgroup (compile time only)
; SGPRBlocks: 2
; VGPRBlocks: 1
; NumSGPRsForWavesPerEU: 21
; NumVGPRsForWavesPerEU: 12
; Occupancy: 16
; WaveLimiterHint : 0
; COMPUTE_PGM_RSRC2:SCRATCH_EN: 0
; COMPUTE_PGM_RSRC2:USER_SGPR: 15
; COMPUTE_PGM_RSRC2:TRAP_HANDLER: 0
; COMPUTE_PGM_RSRC2:TGID_X_EN: 1
; COMPUTE_PGM_RSRC2:TGID_Y_EN: 0
; COMPUTE_PGM_RSRC2:TGID_Z_EN: 0
; COMPUTE_PGM_RSRC2:TIDIG_COMP_CNT: 0
	.section	.text._ZN2at6native12_GLOBAL__N_128vectorized_layer_norm_kernelIffLb1EEEviT0_PKT_S6_S6_PS3_S7_PS4_,"axG",@progbits,_ZN2at6native12_GLOBAL__N_128vectorized_layer_norm_kernelIffLb1EEEviT0_PKT_S6_S6_PS3_S7_PS4_,comdat
	.globl	_ZN2at6native12_GLOBAL__N_128vectorized_layer_norm_kernelIffLb1EEEviT0_PKT_S6_S6_PS3_S7_PS4_ ; -- Begin function _ZN2at6native12_GLOBAL__N_128vectorized_layer_norm_kernelIffLb1EEEviT0_PKT_S6_S6_PS3_S7_PS4_
	.p2align	8
	.type	_ZN2at6native12_GLOBAL__N_128vectorized_layer_norm_kernelIffLb1EEEviT0_PKT_S6_S6_PS3_S7_PS4_,@function
_ZN2at6native12_GLOBAL__N_128vectorized_layer_norm_kernelIffLb1EEEviT0_PKT_S6_S6_PS3_S7_PS4_: ; @_ZN2at6native12_GLOBAL__N_128vectorized_layer_norm_kernelIffLb1EEEviT0_PKT_S6_S6_PS3_S7_PS4_
; %bb.0:
	s_clause 0x1
	s_load_b128 s[8:11], s[0:1], 0x0
	s_load_b32 s3, s[0:1], 0x44
	v_dual_mov_b32 v4, 0 :: v_dual_and_b32 v3, 0x3ff, v0
	v_bfe_u32 v2, v0, 10, 10
	s_mov_b32 s12, s15
	s_mov_b32 s13, 0
	s_waitcnt lgkmcnt(0)
	s_ashr_i32 s2, s8, 31
	s_and_b32 s4, s3, 0xffff
	s_lshr_b32 s6, s2, 30
	v_mul_u32_u24_e32 v0, s4, v2
	v_mad_u32_u24 v10, v2, s4, v3
	s_add_i32 s6, s8, s6
	s_mul_hi_u32 s5, s8, s15
	s_mul_i32 s2, s2, s15
	s_ashr_i32 s18, s6, 2
	s_add_i32 s17, s5, s2
	v_cmp_gt_i32_e64 s2, s18, v10
	v_add_lshl_u32 v11, v0, v3, 4
	s_lshr_b32 s6, s3, 16
	s_mul_i32 s16, s8, s15
	s_mul_i32 s14, s6, s4
	s_and_saveexec_b32 s7, s2
	s_cbranch_execz .LBB15_4
; %bb.1:
	s_lshl_b64 s[4:5], s[16:17], 2
	v_dual_mov_b32 v4, 0 :: v_dual_mov_b32 v5, v10
	s_add_u32 s3, s10, s4
	s_addc_u32 s4, s11, s5
	v_add_co_u32 v0, s3, s3, v11
	s_delay_alu instid0(VALU_DEP_1) | instskip(SKIP_1) | instid1(VALU_DEP_2)
	v_add_co_ci_u32_e64 v1, null, s4, 0, s3
	s_ashr_i32 s15, s14, 31
	v_add_co_u32 v0, vcc_lo, v0, 8
	s_delay_alu instid0(VALU_DEP_2)
	v_add_co_ci_u32_e32 v1, vcc_lo, 0, v1, vcc_lo
	s_lshl_b64 s[4:5], s[14:15], 4
	s_mov_b32 s15, s13
.LBB15_2:                               ; =>This Inner Loop Header: Depth=1
	global_load_b128 v[6:9], v[0:1], off offset:-8
	v_add_co_u32 v0, vcc_lo, v0, s4
	v_add_co_ci_u32_e32 v1, vcc_lo, s5, v1, vcc_lo
	v_add_nc_u32_e32 v5, s14, v5
	s_delay_alu instid0(VALU_DEP_1) | instskip(NEXT) | instid1(VALU_DEP_1)
	v_cmp_le_i32_e64 s3, s18, v5
	s_or_b32 s15, s3, s15
	s_waitcnt vmcnt(0)
	v_fmac_f32_e32 v4, v6, v6
	s_delay_alu instid0(VALU_DEP_1) | instskip(NEXT) | instid1(VALU_DEP_1)
	v_fmac_f32_e32 v4, v7, v7
	v_fmac_f32_e32 v4, v8, v8
	s_delay_alu instid0(VALU_DEP_1)
	v_fmac_f32_e32 v4, v9, v9
	s_and_not1_b32 exec_lo, exec_lo, s15
	s_cbranch_execnz .LBB15_2
; %bb.3:
	s_or_b32 exec_lo, exec_lo, s15
.LBB15_4:
	s_delay_alu instid0(SALU_CYCLE_1) | instskip(SKIP_3) | instid1(VALU_DEP_1)
	s_or_b32 exec_lo, exec_lo, s7
	v_mbcnt_lo_u32_b32 v0, -1, 0
	s_cmp_lt_u32 s6, 2
	s_mov_b32 s3, -1
	v_cmp_gt_u32_e32 vcc_lo, 16, v0
	v_cndmask_b32_e64 v1, 0, 1, vcc_lo
	v_cmp_gt_u32_e32 vcc_lo, 24, v0
	s_delay_alu instid0(VALU_DEP_2) | instskip(SKIP_2) | instid1(VALU_DEP_3)
	v_lshlrev_b32_e32 v1, 4, v1
	v_cndmask_b32_e64 v5, 0, 1, vcc_lo
	v_cmp_gt_u32_e32 vcc_lo, 28, v0
	v_add_lshl_u32 v1, v1, v0, 2
	s_delay_alu instid0(VALU_DEP_3)
	v_lshlrev_b32_e32 v5, 3, v5
	ds_bpermute_b32 v1, v1, v4
	v_add_lshl_u32 v5, v5, v0, 2
	s_waitcnt lgkmcnt(0)
	v_add_f32_e32 v1, v4, v1
	ds_bpermute_b32 v4, v5, v1
	v_cndmask_b32_e64 v5, 0, 1, vcc_lo
	v_cmp_gt_u32_e32 vcc_lo, 30, v0
	s_delay_alu instid0(VALU_DEP_2) | instskip(NEXT) | instid1(VALU_DEP_1)
	v_lshlrev_b32_e32 v5, 2, v5
	v_add_lshl_u32 v5, v5, v0, 2
	s_waitcnt lgkmcnt(0)
	v_add_f32_e32 v1, v1, v4
	ds_bpermute_b32 v4, v5, v1
	v_cndmask_b32_e64 v5, 0, 1, vcc_lo
	v_cmp_ne_u32_e32 vcc_lo, 31, v0
	s_delay_alu instid0(VALU_DEP_2) | instskip(NEXT) | instid1(VALU_DEP_1)
	v_lshlrev_b32_e32 v5, 1, v5
	v_add_lshl_u32 v5, v5, v0, 2
	v_add_co_ci_u32_e32 v0, vcc_lo, 0, v0, vcc_lo
	s_delay_alu instid0(VALU_DEP_1)
	v_lshlrev_b32_e32 v0, 2, v0
	s_waitcnt lgkmcnt(0)
	v_add_f32_e32 v1, v1, v4
	ds_bpermute_b32 v4, v5, v1
	s_waitcnt lgkmcnt(0)
	v_add_f32_e32 v1, v1, v4
	ds_bpermute_b32 v0, v0, v1
	s_waitcnt lgkmcnt(0)
	v_add_f32_e32 v0, v1, v0
	s_cbranch_scc0 .LBB15_6
; %bb.5:
	v_mov_b32_e32 v1, 0
	v_cvt_f32_i32_e32 v5, s8
	ds_bpermute_b32 v4, v1, v0
	s_waitcnt lgkmcnt(0)
	v_div_scale_f32 v6, null, v5, v5, v4
	v_div_scale_f32 v9, vcc_lo, v4, v5, v4
	s_delay_alu instid0(VALU_DEP_2) | instskip(SKIP_2) | instid1(VALU_DEP_1)
	v_rcp_f32_e32 v7, v6
	s_waitcnt_depctr 0xfff
	v_fma_f32 v8, -v6, v7, 1.0
	v_fmac_f32_e32 v7, v8, v7
	s_delay_alu instid0(VALU_DEP_1) | instskip(SKIP_2) | instid1(VALU_DEP_1)
	v_mul_f32_e32 v12, v9, v7
	ds_bpermute_b32 v8, v1, v1
	v_fma_f32 v13, -v6, v12, v9
	v_fmac_f32_e32 v12, v13, v7
	s_delay_alu instid0(VALU_DEP_1) | instskip(NEXT) | instid1(VALU_DEP_1)
	v_fma_f32 v1, -v6, v12, v9
	v_div_fmas_f32 v1, v1, v7, v12
	s_delay_alu instid0(VALU_DEP_1)
	v_div_fixup_f32 v9, v1, v5, v4
	s_cbranch_execz .LBB15_7
	s_branch .LBB15_17
.LBB15_6:
                                        ; implicit-def: $vgpr9
	s_and_not1_b32 vcc_lo, exec_lo, s3
	s_cbranch_vccnz .LBB15_17
.LBB15_7:
	v_cmp_eq_u32_e32 vcc_lo, 0, v3
	v_lshl_add_u32 v1, v2, 3, 0
	v_mov_b32_e32 v4, 0
	s_lshl_b32 s3, s6, 2
	s_delay_alu instid0(SALU_CYCLE_1)
	s_add_i32 s5, s3, 0
	s_set_inst_prefetch_distance 0x1
	.p2align	6
.LBB15_8:                               ; =>This Inner Loop Header: Depth=1
	s_lshr_b32 s7, s6, 1
	s_and_b32 s4, s6, 0xfffe
	v_cmp_le_u32_e64 s3, s7, v2
	v_cmp_gt_u32_e64 s4, s4, v2
	s_delay_alu instid0(VALU_DEP_1) | instskip(NEXT) | instid1(SALU_CYCLE_1)
	s_and_b32 s3, s3, s4
	s_and_b32 s4, vcc_lo, s3
	s_delay_alu instid0(SALU_CYCLE_1)
	s_and_saveexec_b32 s3, s4
	s_cbranch_execz .LBB15_10
; %bb.9:                                ;   in Loop: Header=BB15_8 Depth=1
	v_subrev_nc_u32_e32 v5, s7, v2
	s_delay_alu instid0(VALU_DEP_1)
	v_lshl_add_u32 v6, v5, 3, 0
	v_lshl_add_u32 v5, v5, 2, s5
	ds_store_2addr_b32 v6, v4, v0 offset1:1
	ds_store_b32 v5, v4
.LBB15_10:                              ;   in Loop: Header=BB15_8 Depth=1
	s_or_b32 exec_lo, exec_lo, s3
	v_cmp_gt_u32_e64 s3, s7, v2
	s_waitcnt lgkmcnt(0)
	s_barrier
	buffer_gl0_inv
	s_and_b32 s4, vcc_lo, s3
	s_delay_alu instid0(SALU_CYCLE_1)
	s_and_saveexec_b32 s3, s4
	s_cbranch_execz .LBB15_12
; %bb.11:                               ;   in Loop: Header=BB15_8 Depth=1
	ds_load_b32 v5, v1 offset:4
	s_waitcnt lgkmcnt(0)
	v_add_f32_e32 v0, v0, v5
.LBB15_12:                              ;   in Loop: Header=BB15_8 Depth=1
	s_or_b32 exec_lo, exec_lo, s3
	s_cmp_lt_u32 s6, 4
	s_barrier
	buffer_gl0_inv
	s_cbranch_scc1 .LBB15_14
; %bb.13:                               ;   in Loop: Header=BB15_8 Depth=1
	s_mov_b32 s6, s7
	s_branch .LBB15_8
.LBB15_14:
	s_set_inst_prefetch_distance 0x2
	v_or_b32_e32 v1, v3, v2
	s_mov_b32 s3, exec_lo
	s_delay_alu instid0(VALU_DEP_1)
	v_cmpx_eq_u32_e32 0, v1
	s_cbranch_execz .LBB15_16
; %bb.15:
	v_cvt_f32_i32_e32 v1, s8
	s_delay_alu instid0(VALU_DEP_1) | instskip(SKIP_1) | instid1(VALU_DEP_2)
	v_div_scale_f32 v2, null, v1, v1, v0
	v_div_scale_f32 v5, vcc_lo, v0, v1, v0
	v_rcp_f32_e32 v3, v2
	s_waitcnt_depctr 0xfff
	v_fma_f32 v4, -v2, v3, 1.0
	s_delay_alu instid0(VALU_DEP_1) | instskip(NEXT) | instid1(VALU_DEP_1)
	v_fmac_f32_e32 v3, v4, v3
	v_mul_f32_e32 v4, v5, v3
	s_delay_alu instid0(VALU_DEP_1) | instskip(NEXT) | instid1(VALU_DEP_1)
	v_fma_f32 v6, -v2, v4, v5
	v_fmac_f32_e32 v4, v6, v3
	s_delay_alu instid0(VALU_DEP_1) | instskip(NEXT) | instid1(VALU_DEP_1)
	v_fma_f32 v2, -v2, v4, v5
	v_div_fmas_f32 v2, v2, v3, v4
	s_delay_alu instid0(VALU_DEP_1)
	v_div_fixup_f32 v0, v2, v1, v0
	v_mov_b32_e32 v1, 0
	ds_store_2addr_b32 v1, v1, v0 offset1:1
.LBB15_16:
	s_or_b32 exec_lo, exec_lo, s3
	v_mov_b32_e32 v0, 0
	s_waitcnt lgkmcnt(0)
	s_barrier
	buffer_gl0_inv
	ds_load_2addr_b32 v[8:9], v0 offset1:1
.LBB15_17:
	s_waitcnt lgkmcnt(0)
	s_delay_alu instid0(VALU_DEP_1) | instskip(SKIP_1) | instid1(VALU_DEP_1)
	v_add_f32_e32 v0, s9, v9
	s_load_b128 s[4:7], s[0:1], 0x28
	v_mul_f32_e32 v1, 0x4b800000, v0
	v_cmp_gt_f32_e32 vcc_lo, 0x800000, v0
	s_delay_alu instid0(VALU_DEP_2) | instskip(NEXT) | instid1(VALU_DEP_1)
	v_cndmask_b32_e32 v0, v0, v1, vcc_lo
	v_rsq_f32_e32 v0, v0
	s_waitcnt_depctr 0xfff
	v_mul_f32_e32 v1, 0x45800000, v0
	s_delay_alu instid0(VALU_DEP_1)
	v_cndmask_b32_e32 v9, v0, v1, vcc_lo
	s_and_saveexec_b32 s8, s2
	s_cbranch_execz .LBB15_32
; %bb.18:
	s_load_b128 s[0:3], s[0:1], 0x10
	v_mov_b32_e32 v12, v10
	s_waitcnt lgkmcnt(0)
	s_cmp_eq_u64 s[0:1], 0
	s_cselect_b32 s9, -1, 0
	s_cmp_eq_u64 s[2:3], 0
	s_cselect_b32 s19, -1, 0
	s_lshl_b64 s[20:21], s[16:17], 2
	v_cndmask_b32_e64 v13, 0, 1, s19
	s_add_u32 s16, s6, s20
	s_addc_u32 s17, s7, s21
	s_add_u32 s10, s10, s20
	s_addc_u32 s11, s11, s21
	s_ashr_i32 s15, s14, 31
	s_or_b32 s19, s9, s19
	s_lshl_b64 s[6:7], s[14:15], 4
	s_mov_b32 s15, 0
	s_branch .LBB15_20
.LBB15_19:                              ;   in Loop: Header=BB15_20 Depth=1
	v_add_nc_u32_e32 v12, s14, v12
	s_waitcnt vmcnt(0)
	v_add_co_u32 v0, s20, s16, v11
	s_add_u32 s16, s16, s6
	v_add_co_ci_u32_e64 v1, null, s17, 0, s20
	s_addc_u32 s17, s17, s7
	s_add_u32 s10, s10, s6
	s_addc_u32 s11, s11, s7
	v_cmp_le_i32_e32 vcc_lo, s18, v12
	s_add_u32 s2, s2, s6
	s_addc_u32 s3, s3, s7
	s_add_u32 s0, s0, s6
	s_addc_u32 s1, s1, s7
	s_or_b32 s15, vcc_lo, s15
	global_store_b128 v[0:1], v[4:7], off
	s_and_not1_b32 exec_lo, exec_lo, s15
	s_cbranch_execz .LBB15_32
.LBB15_20:                              ; =>This Inner Loop Header: Depth=1
	v_add_co_u32 v0, s20, s10, v11
	s_delay_alu instid0(VALU_DEP_1)
	v_add_co_ci_u32_e64 v1, null, s11, 0, s20
	s_and_b32 vcc_lo, exec_lo, s19
	global_load_b128 v[0:3], v[0:1], off
	s_cbranch_vccz .LBB15_24
; %bb.21:                               ;   in Loop: Header=BB15_20 Depth=1
	s_and_b32 vcc_lo, exec_lo, s9
	s_cbranch_vccz .LBB15_25
; %bb.22:                               ;   in Loop: Header=BB15_20 Depth=1
	v_cmp_ne_u32_e32 vcc_lo, 1, v13
	s_cbranch_vccnz .LBB15_26
; %bb.23:                               ;   in Loop: Header=BB15_20 Depth=1
	s_waitcnt vmcnt(0)
	v_mul_f32_e32 v4, v9, v0
	v_mul_f32_e32 v5, v9, v1
	;; [unrolled: 1-line block ×4, first 2 shown]
	s_cbranch_execz .LBB15_27
	s_branch .LBB15_28
.LBB15_24:                              ;   in Loop: Header=BB15_20 Depth=1
                                        ; implicit-def: $vgpr4
	s_branch .LBB15_31
.LBB15_25:                              ;   in Loop: Header=BB15_20 Depth=1
                                        ; implicit-def: $vgpr4
	s_branch .LBB15_29
.LBB15_26:                              ;   in Loop: Header=BB15_20 Depth=1
                                        ; implicit-def: $vgpr4
.LBB15_27:                              ;   in Loop: Header=BB15_20 Depth=1
	v_add_co_u32 v4, s20, s2, v11
	s_delay_alu instid0(VALU_DEP_1)
	v_add_co_ci_u32_e64 v5, null, s3, 0, s20
	s_waitcnt vmcnt(0)
	v_sub_f32_e32 v15, v1, v8
	v_sub_f32_e32 v16, v2, v8
	;; [unrolled: 1-line block ×3, first 2 shown]
	global_load_b128 v[4:7], v[4:5], off
	s_waitcnt vmcnt(0)
	v_dual_sub_f32 v14, v0, v8 :: v_dual_fmac_f32 v7, v9, v17
	s_delay_alu instid0(VALU_DEP_1)
	v_fma_f32 v4, v9, v14, v4
	v_fma_f32 v5, v9, v15, v5
	;; [unrolled: 1-line block ×3, first 2 shown]
.LBB15_28:                              ;   in Loop: Header=BB15_20 Depth=1
	s_cbranch_execnz .LBB15_30
.LBB15_29:                              ;   in Loop: Header=BB15_20 Depth=1
	v_add_co_u32 v4, s20, s0, v11
	s_delay_alu instid0(VALU_DEP_1)
	v_add_co_ci_u32_e64 v5, null, s1, 0, s20
	s_waitcnt vmcnt(0)
	v_mul_f32_e32 v16, v9, v2
	global_load_b128 v[4:7], v[4:5], off
	v_mul_f32_e32 v15, v9, v1
	v_mul_f32_e32 v14, v9, v0
	s_waitcnt vmcnt(0)
	v_dual_mul_f32 v17, v9, v3 :: v_dual_mul_f32 v6, v16, v6
	s_delay_alu instid0(VALU_DEP_2) | instskip(NEXT) | instid1(VALU_DEP_2)
	v_dual_mul_f32 v5, v15, v5 :: v_dual_mul_f32 v4, v14, v4
	v_mul_f32_e32 v7, v17, v7
.LBB15_30:                              ;   in Loop: Header=BB15_20 Depth=1
	s_cbranch_execnz .LBB15_19
.LBB15_31:                              ;   in Loop: Header=BB15_20 Depth=1
	v_add_co_u32 v4, s20, s0, v11
	s_delay_alu instid0(VALU_DEP_1)
	v_add_co_ci_u32_e64 v5, null, s1, 0, s20
	s_waitcnt vmcnt(0)
	v_mul_f32_e32 v2, v9, v2
	global_load_b128 v[4:7], v[4:5], off
	s_waitcnt vmcnt(0)
	v_dual_mul_f32 v3, v9, v3 :: v_dual_mul_f32 v6, v2, v6
	s_delay_alu instid0(VALU_DEP_1) | instskip(NEXT) | instid1(VALU_DEP_1)
	v_dual_mul_f32 v0, v9, v0 :: v_dual_mul_f32 v7, v3, v7
	v_dual_mul_f32 v1, v9, v1 :: v_dual_mul_f32 v4, v0, v4
	s_delay_alu instid0(VALU_DEP_1)
	v_mul_f32_e32 v5, v1, v5
	s_branch .LBB15_19
.LBB15_32:
	s_or_b32 exec_lo, exec_lo, s8
	s_delay_alu instid0(SALU_CYCLE_1)
	s_mov_b32 s0, exec_lo
	v_cmpx_eq_u32_e32 0, v10
	s_cbranch_execz .LBB15_34
; %bb.33:
	s_lshl_b64 s[0:1], s[12:13], 2
	v_mov_b32_e32 v0, 0
	s_waitcnt lgkmcnt(0)
	s_add_u32 s0, s4, s0
	s_addc_u32 s1, s5, s1
	global_store_b32 v0, v9, s[0:1]
.LBB15_34:
	s_nop 0
	s_sendmsg sendmsg(MSG_DEALLOC_VGPRS)
	s_endpgm
	.section	.rodata,"a",@progbits
	.p2align	6, 0x0
	.amdhsa_kernel _ZN2at6native12_GLOBAL__N_128vectorized_layer_norm_kernelIffLb1EEEviT0_PKT_S6_S6_PS3_S7_PS4_
		.amdhsa_group_segment_fixed_size 0
		.amdhsa_private_segment_fixed_size 0
		.amdhsa_kernarg_size 312
		.amdhsa_user_sgpr_count 15
		.amdhsa_user_sgpr_dispatch_ptr 0
		.amdhsa_user_sgpr_queue_ptr 0
		.amdhsa_user_sgpr_kernarg_segment_ptr 1
		.amdhsa_user_sgpr_dispatch_id 0
		.amdhsa_user_sgpr_private_segment_size 0
		.amdhsa_wavefront_size32 1
		.amdhsa_uses_dynamic_stack 0
		.amdhsa_enable_private_segment 0
		.amdhsa_system_sgpr_workgroup_id_x 1
		.amdhsa_system_sgpr_workgroup_id_y 0
		.amdhsa_system_sgpr_workgroup_id_z 0
		.amdhsa_system_sgpr_workgroup_info 0
		.amdhsa_system_vgpr_workitem_id 1
		.amdhsa_next_free_vgpr 18
		.amdhsa_next_free_sgpr 22
		.amdhsa_reserve_vcc 1
		.amdhsa_float_round_mode_32 0
		.amdhsa_float_round_mode_16_64 0
		.amdhsa_float_denorm_mode_32 3
		.amdhsa_float_denorm_mode_16_64 3
		.amdhsa_dx10_clamp 1
		.amdhsa_ieee_mode 1
		.amdhsa_fp16_overflow 0
		.amdhsa_workgroup_processor_mode 1
		.amdhsa_memory_ordered 1
		.amdhsa_forward_progress 0
		.amdhsa_shared_vgpr_count 0
		.amdhsa_exception_fp_ieee_invalid_op 0
		.amdhsa_exception_fp_denorm_src 0
		.amdhsa_exception_fp_ieee_div_zero 0
		.amdhsa_exception_fp_ieee_overflow 0
		.amdhsa_exception_fp_ieee_underflow 0
		.amdhsa_exception_fp_ieee_inexact 0
		.amdhsa_exception_int_div_zero 0
	.end_amdhsa_kernel
	.section	.text._ZN2at6native12_GLOBAL__N_128vectorized_layer_norm_kernelIffLb1EEEviT0_PKT_S6_S6_PS3_S7_PS4_,"axG",@progbits,_ZN2at6native12_GLOBAL__N_128vectorized_layer_norm_kernelIffLb1EEEviT0_PKT_S6_S6_PS3_S7_PS4_,comdat
.Lfunc_end15:
	.size	_ZN2at6native12_GLOBAL__N_128vectorized_layer_norm_kernelIffLb1EEEviT0_PKT_S6_S6_PS3_S7_PS4_, .Lfunc_end15-_ZN2at6native12_GLOBAL__N_128vectorized_layer_norm_kernelIffLb1EEEviT0_PKT_S6_S6_PS3_S7_PS4_
                                        ; -- End function
	.section	.AMDGPU.csdata,"",@progbits
; Kernel info:
; codeLenInByte = 1668
; NumSgprs: 24
; NumVgprs: 18
; ScratchSize: 0
; MemoryBound: 0
; FloatMode: 240
; IeeeMode: 1
; LDSByteSize: 0 bytes/workgroup (compile time only)
; SGPRBlocks: 2
; VGPRBlocks: 2
; NumSGPRsForWavesPerEU: 24
; NumVGPRsForWavesPerEU: 18
; Occupancy: 16
; WaveLimiterHint : 0
; COMPUTE_PGM_RSRC2:SCRATCH_EN: 0
; COMPUTE_PGM_RSRC2:USER_SGPR: 15
; COMPUTE_PGM_RSRC2:TRAP_HANDLER: 0
; COMPUTE_PGM_RSRC2:TGID_X_EN: 1
; COMPUTE_PGM_RSRC2:TGID_Y_EN: 0
; COMPUTE_PGM_RSRC2:TGID_Z_EN: 0
; COMPUTE_PGM_RSRC2:TIDIG_COMP_CNT: 1
	.section	.text._ZN2at6native12_GLOBAL__N_124RowwiseMomentsCUDAKernelIffLb1EEEvlT0_PKT_PS3_S7_,"axG",@progbits,_ZN2at6native12_GLOBAL__N_124RowwiseMomentsCUDAKernelIffLb1EEEvlT0_PKT_PS3_S7_,comdat
	.globl	_ZN2at6native12_GLOBAL__N_124RowwiseMomentsCUDAKernelIffLb1EEEvlT0_PKT_PS3_S7_ ; -- Begin function _ZN2at6native12_GLOBAL__N_124RowwiseMomentsCUDAKernelIffLb1EEEvlT0_PKT_PS3_S7_
	.p2align	8
	.type	_ZN2at6native12_GLOBAL__N_124RowwiseMomentsCUDAKernelIffLb1EEEvlT0_PKT_PS3_S7_,@function
_ZN2at6native12_GLOBAL__N_124RowwiseMomentsCUDAKernelIffLb1EEEvlT0_PKT_PS3_S7_: ; @_ZN2at6native12_GLOBAL__N_124RowwiseMomentsCUDAKernelIffLb1EEEvlT0_PKT_PS3_S7_
; %bb.0:
	s_load_b64 s[6:7], s[0:1], 0x0
	v_dual_mov_b32 v1, 0 :: v_dual_mov_b32 v4, 0
	v_mov_b32_e32 v5, 0
	s_mov_b32 s4, s15
	s_mov_b32 s5, 0
	s_delay_alu instid0(VALU_DEP_2)
	v_mov_b32_e32 v2, v1
	v_mov_b32_e32 v3, v1
	s_mov_b32 s3, exec_lo
	s_waitcnt lgkmcnt(0)
	v_cmpx_gt_i64_e64 s[6:7], v[0:1]
	s_cbranch_execz .LBB16_4
; %bb.1:
	s_clause 0x1
	s_load_b32 s2, s[0:1], 0x34
	s_load_b64 s[8:9], s[0:1], 0x10
	s_mul_i32 s11, s7, s4
	s_mul_hi_u32 s12, s6, s4
	s_mul_i32 s10, s6, s4
	s_add_i32 s11, s12, s11
	v_dual_mov_b32 v3, 0 :: v_dual_lshlrev_b32 v2, 2, v0
	s_lshl_b64 s[12:13], s[10:11], 2
	v_dual_mov_b32 v7, v1 :: v_dual_mov_b32 v6, v0
	s_waitcnt lgkmcnt(0)
	s_and_b32 s10, s2, 0xffff
	s_add_u32 s2, s8, s12
	s_addc_u32 s8, s9, s13
	v_add_co_u32 v8, s2, s2, v2
	s_delay_alu instid0(VALU_DEP_1)
	v_add_co_ci_u32_e64 v9, null, s8, 0, s2
	v_mov_b32_e32 v2, 0
	s_lshl_b32 s11, s10, 2
	s_mov_b64 s[8:9], 0
	s_mov_b32 s12, s5
	s_set_inst_prefetch_distance 0x1
	.p2align	6
.LBB16_2:                               ; =>This Inner Loop Header: Depth=1
	global_load_b32 v4, v[8:9], off
	s_add_u32 s8, s8, 1
	s_addc_u32 s9, s9, 0
	s_delay_alu instid0(SALU_CYCLE_1) | instskip(NEXT) | instid1(SALU_CYCLE_1)
	s_clz_i32_u32 s2, s9
	s_min_u32 s2, s2, 32
	s_delay_alu instid0(SALU_CYCLE_1) | instskip(SKIP_2) | instid1(SALU_CYCLE_1)
	s_lshl_b64 s[14:15], s[8:9], s2
	s_sub_i32 s2, 32, s2
	s_min_u32 s13, s14, 1
	s_or_b32 s13, s15, s13
	s_delay_alu instid0(SALU_CYCLE_1) | instskip(NEXT) | instid1(VALU_DEP_1)
	v_cvt_f32_u32_e32 v1, s13
	v_ldexp_f32 v1, v1, s2
	s_waitcnt vmcnt(0)
	v_sub_f32_e32 v10, v4, v2
	s_delay_alu instid0(VALU_DEP_1) | instskip(SKIP_1) | instid1(VALU_DEP_2)
	v_div_scale_f32 v5, null, v1, v1, v10
	v_div_scale_f32 v13, vcc_lo, v10, v1, v10
	v_rcp_f32_e32 v11, v5
	s_waitcnt_depctr 0xfff
	v_fma_f32 v12, -v5, v11, 1.0
	s_delay_alu instid0(VALU_DEP_1) | instskip(NEXT) | instid1(VALU_DEP_1)
	v_fmac_f32_e32 v11, v12, v11
	v_mul_f32_e32 v12, v13, v11
	s_delay_alu instid0(VALU_DEP_1) | instskip(NEXT) | instid1(VALU_DEP_1)
	v_fma_f32 v14, -v5, v12, v13
	v_fmac_f32_e32 v12, v14, v11
	s_delay_alu instid0(VALU_DEP_1) | instskip(NEXT) | instid1(VALU_DEP_1)
	v_fma_f32 v5, -v5, v12, v13
	v_div_fmas_f32 v5, v5, v11, v12
	v_add_co_u32 v6, vcc_lo, v6, s10
	v_add_co_ci_u32_e32 v7, vcc_lo, 0, v7, vcc_lo
	s_delay_alu instid0(VALU_DEP_3) | instskip(SKIP_1) | instid1(VALU_DEP_3)
	v_div_fixup_f32 v5, v5, v1, v10
	v_add_co_u32 v8, vcc_lo, v8, s11
	v_cmp_le_i64_e64 s2, s[6:7], v[6:7]
	v_add_co_ci_u32_e32 v9, vcc_lo, 0, v9, vcc_lo
	s_delay_alu instid0(VALU_DEP_4) | instskip(NEXT) | instid1(VALU_DEP_3)
	v_add_f32_e32 v2, v2, v5
	s_or_b32 s12, s2, s12
	s_delay_alu instid0(VALU_DEP_1) | instskip(SKIP_1) | instid1(VALU_DEP_2)
	v_dual_sub_f32 v11, v4, v2 :: v_dual_mov_b32 v4, s8
	v_mov_b32_e32 v5, s9
	v_fmac_f32_e32 v3, v10, v11
	s_and_not1_b32 exec_lo, exec_lo, s12
	s_cbranch_execnz .LBB16_2
; %bb.3:
	s_set_inst_prefetch_distance 0x2
	s_or_b32 exec_lo, exec_lo, s12
.LBB16_4:
	s_delay_alu instid0(SALU_CYCLE_1) | instskip(SKIP_2) | instid1(VALU_DEP_1)
	s_or_b32 exec_lo, exec_lo, s3
	v_mbcnt_lo_u32_b32 v12, -1, 0
	s_mov_b32 s2, exec_lo
	v_cmp_gt_u32_e32 vcc_lo, 16, v12
	v_cndmask_b32_e64 v6, 0, 1, vcc_lo
	s_delay_alu instid0(VALU_DEP_1) | instskip(NEXT) | instid1(VALU_DEP_1)
	v_lshlrev_b32_e32 v6, 4, v6
	v_add_lshl_u32 v8, v6, v12, 2
	ds_bpermute_b32 v11, v8, v2
	ds_bpermute_b32 v9, v8, v3
	;; [unrolled: 1-line block ×5, first 2 shown]
	v_cmpx_neq_f32_e32 0, v1
	s_xor_b32 s2, exec_lo, s2
	s_cbranch_execz .LBB16_8
; %bb.5:
	s_mov_b32 s3, exec_lo
	s_waitcnt lgkmcnt(0)
	v_cmpx_neq_f32_e32 0, v10
	s_cbranch_execz .LBB16_7
; %bb.6:
	v_add_f32_e32 v6, v1, v10
	v_sub_f32_e32 v11, v11, v2
	v_add_f32_e32 v3, v3, v9
	s_delay_alu instid0(VALU_DEP_3) | instskip(NEXT) | instid1(VALU_DEP_1)
	v_div_scale_f32 v4, null, v6, v6, v10
	v_rcp_f32_e32 v5, v4
	s_waitcnt_depctr 0xfff
	v_fma_f32 v7, -v4, v5, 1.0
	s_delay_alu instid0(VALU_DEP_1) | instskip(SKIP_1) | instid1(VALU_DEP_1)
	v_fmac_f32_e32 v5, v7, v5
	v_div_scale_f32 v13, vcc_lo, v10, v6, v10
	v_mul_f32_e32 v7, v13, v5
	s_delay_alu instid0(VALU_DEP_1) | instskip(NEXT) | instid1(VALU_DEP_1)
	v_fma_f32 v14, -v4, v7, v13
	v_fmac_f32_e32 v7, v14, v5
	s_delay_alu instid0(VALU_DEP_1) | instskip(NEXT) | instid1(VALU_DEP_1)
	v_fma_f32 v4, -v4, v7, v13
	v_div_fmas_f32 v4, v4, v5, v7
	v_mul_f32_e32 v5, v11, v11
	s_delay_alu instid0(VALU_DEP_2) | instskip(NEXT) | instid1(VALU_DEP_2)
	v_div_fixup_f32 v7, v4, v6, v10
	v_dual_mul_f32 v1, v1, v5 :: v_dual_mov_b32 v4, -1
	s_delay_alu instid0(VALU_DEP_2) | instskip(NEXT) | instid1(VALU_DEP_2)
	v_dual_mov_b32 v5, -1 :: v_dual_fmac_f32 v2, v11, v7
	v_fmac_f32_e32 v3, v1, v7
	v_mov_b32_e32 v1, v6
.LBB16_7:
	s_or_b32 exec_lo, exec_lo, s3
                                        ; implicit-def: $vgpr6
                                        ; implicit-def: $vgpr10
                                        ; implicit-def: $vgpr9
                                        ; implicit-def: $vgpr11
.LBB16_8:
	s_and_not1_saveexec_b32 s2, s2
	s_cbranch_execz .LBB16_10
; %bb.9:
	s_waitcnt lgkmcnt(0)
	v_dual_mov_b32 v1, v10 :: v_dual_mov_b32 v2, v11
	v_dual_mov_b32 v4, v6 :: v_dual_mov_b32 v5, v7
	v_mov_b32_e32 v3, v9
.LBB16_10:
	s_or_b32 exec_lo, exec_lo, s2
	v_cmp_gt_u32_e32 vcc_lo, 24, v12
	s_mov_b32 s2, exec_lo
	s_waitcnt lgkmcnt(2)
	v_cndmask_b32_e64 v6, 0, 1, vcc_lo
	s_delay_alu instid0(VALU_DEP_1) | instskip(NEXT) | instid1(VALU_DEP_1)
	v_lshlrev_b32_e32 v6, 3, v6
	v_add_lshl_u32 v9, v6, v12, 2
	ds_bpermute_b32 v13, v9, v2
	s_waitcnt lgkmcnt(1)
	ds_bpermute_b32 v10, v9, v3
	ds_bpermute_b32 v6, v9, v4
	;; [unrolled: 1-line block ×4, first 2 shown]
	v_cmpx_neq_f32_e32 0, v1
	s_xor_b32 s2, exec_lo, s2
	s_cbranch_execz .LBB16_14
; %bb.11:
	s_mov_b32 s3, exec_lo
	s_waitcnt lgkmcnt(0)
	v_cmpx_neq_f32_e32 0, v11
	s_cbranch_execz .LBB16_13
; %bb.12:
	v_add_f32_e32 v6, v1, v11
	v_sub_f32_e32 v13, v13, v2
	s_delay_alu instid0(VALU_DEP_2) | instskip(NEXT) | instid1(VALU_DEP_1)
	v_div_scale_f32 v4, null, v6, v6, v11
	v_rcp_f32_e32 v5, v4
	s_waitcnt_depctr 0xfff
	v_fma_f32 v7, -v4, v5, 1.0
	s_delay_alu instid0(VALU_DEP_1) | instskip(SKIP_1) | instid1(VALU_DEP_1)
	v_fmac_f32_e32 v5, v7, v5
	v_div_scale_f32 v14, vcc_lo, v11, v6, v11
	v_mul_f32_e32 v7, v14, v5
	s_delay_alu instid0(VALU_DEP_1) | instskip(NEXT) | instid1(VALU_DEP_1)
	v_fma_f32 v15, -v4, v7, v14
	v_fmac_f32_e32 v7, v15, v5
	s_delay_alu instid0(VALU_DEP_1) | instskip(NEXT) | instid1(VALU_DEP_1)
	v_fma_f32 v4, -v4, v7, v14
	v_div_fmas_f32 v4, v4, v5, v7
	v_mul_f32_e32 v5, v13, v13
	s_delay_alu instid0(VALU_DEP_2) | instskip(SKIP_1) | instid1(VALU_DEP_3)
	v_div_fixup_f32 v7, v4, v6, v11
	v_add_f32_e32 v3, v3, v10
	v_dual_mul_f32 v1, v1, v5 :: v_dual_mov_b32 v4, -1
	s_delay_alu instid0(VALU_DEP_3) | instskip(NEXT) | instid1(VALU_DEP_2)
	v_dual_mov_b32 v5, -1 :: v_dual_fmac_f32 v2, v13, v7
	v_fmac_f32_e32 v3, v1, v7
	v_mov_b32_e32 v1, v6
.LBB16_13:
	s_or_b32 exec_lo, exec_lo, s3
                                        ; implicit-def: $vgpr6
                                        ; implicit-def: $vgpr11
                                        ; implicit-def: $vgpr10
                                        ; implicit-def: $vgpr13
.LBB16_14:
	s_and_not1_saveexec_b32 s2, s2
	s_cbranch_execz .LBB16_16
; %bb.15:
	s_waitcnt lgkmcnt(0)
	v_dual_mov_b32 v1, v11 :: v_dual_mov_b32 v4, v6
	v_dual_mov_b32 v5, v7 :: v_dual_mov_b32 v2, v13
	v_mov_b32_e32 v3, v10
.LBB16_16:
	s_or_b32 exec_lo, exec_lo, s2
	v_cmp_gt_u32_e32 vcc_lo, 28, v12
	s_mov_b32 s2, exec_lo
	s_waitcnt lgkmcnt(2)
	v_cndmask_b32_e64 v6, 0, 1, vcc_lo
	s_delay_alu instid0(VALU_DEP_1) | instskip(NEXT) | instid1(VALU_DEP_1)
	v_lshlrev_b32_e32 v6, 2, v6
	v_add_lshl_u32 v10, v6, v12, 2
	ds_bpermute_b32 v14, v10, v2
	s_waitcnt lgkmcnt(1)
	ds_bpermute_b32 v11, v10, v3
	ds_bpermute_b32 v6, v10, v4
	;; [unrolled: 1-line block ×4, first 2 shown]
	v_cmpx_neq_f32_e32 0, v1
	s_xor_b32 s2, exec_lo, s2
	s_cbranch_execz .LBB16_20
; %bb.17:
	s_mov_b32 s3, exec_lo
	s_waitcnt lgkmcnt(0)
	v_cmpx_neq_f32_e32 0, v13
	s_cbranch_execz .LBB16_19
; %bb.18:
	v_dual_sub_f32 v14, v14, v2 :: v_dual_add_f32 v3, v3, v11
	v_add_f32_e32 v6, v1, v13
	s_delay_alu instid0(VALU_DEP_1) | instskip(SKIP_1) | instid1(VALU_DEP_2)
	v_div_scale_f32 v4, null, v6, v6, v13
	v_div_scale_f32 v15, vcc_lo, v13, v6, v13
	v_rcp_f32_e32 v5, v4
	s_waitcnt_depctr 0xfff
	v_fma_f32 v7, -v4, v5, 1.0
	s_delay_alu instid0(VALU_DEP_1) | instskip(NEXT) | instid1(VALU_DEP_1)
	v_fmac_f32_e32 v5, v7, v5
	v_mul_f32_e32 v7, v15, v5
	s_delay_alu instid0(VALU_DEP_1) | instskip(NEXT) | instid1(VALU_DEP_1)
	v_fma_f32 v16, -v4, v7, v15
	v_fmac_f32_e32 v7, v16, v5
	s_delay_alu instid0(VALU_DEP_1) | instskip(NEXT) | instid1(VALU_DEP_1)
	v_fma_f32 v4, -v4, v7, v15
	v_div_fmas_f32 v4, v4, v5, v7
	v_mul_f32_e32 v5, v14, v14
	s_delay_alu instid0(VALU_DEP_2) | instskip(NEXT) | instid1(VALU_DEP_2)
	v_div_fixup_f32 v7, v4, v6, v13
	v_dual_mul_f32 v1, v1, v5 :: v_dual_mov_b32 v4, -1
	s_delay_alu instid0(VALU_DEP_2) | instskip(NEXT) | instid1(VALU_DEP_2)
	v_dual_mov_b32 v5, -1 :: v_dual_fmac_f32 v2, v14, v7
	v_fmac_f32_e32 v3, v1, v7
	v_mov_b32_e32 v1, v6
.LBB16_19:
	s_or_b32 exec_lo, exec_lo, s3
                                        ; implicit-def: $vgpr6
                                        ; implicit-def: $vgpr13
                                        ; implicit-def: $vgpr11
                                        ; implicit-def: $vgpr14
.LBB16_20:
	s_and_not1_saveexec_b32 s2, s2
	s_cbranch_execz .LBB16_22
; %bb.21:
	s_waitcnt lgkmcnt(0)
	v_dual_mov_b32 v1, v13 :: v_dual_mov_b32 v4, v6
	v_dual_mov_b32 v5, v7 :: v_dual_mov_b32 v2, v14
	v_mov_b32_e32 v3, v11
.LBB16_22:
	s_or_b32 exec_lo, exec_lo, s2
	v_cmp_gt_u32_e32 vcc_lo, 30, v12
	s_mov_b32 s2, exec_lo
	s_waitcnt lgkmcnt(2)
	v_cndmask_b32_e64 v6, 0, 1, vcc_lo
	s_delay_alu instid0(VALU_DEP_1) | instskip(NEXT) | instid1(VALU_DEP_1)
	v_lshlrev_b32_e32 v6, 1, v6
	v_add_lshl_u32 v11, v6, v12, 2
	ds_bpermute_b32 v15, v11, v2
	s_waitcnt lgkmcnt(1)
	ds_bpermute_b32 v13, v11, v3
	ds_bpermute_b32 v6, v11, v4
	ds_bpermute_b32 v7, v11, v5
	ds_bpermute_b32 v14, v11, v1
	v_cmpx_neq_f32_e32 0, v1
	s_xor_b32 s2, exec_lo, s2
	s_cbranch_execz .LBB16_26
; %bb.23:
	s_mov_b32 s3, exec_lo
	s_waitcnt lgkmcnt(0)
	v_cmpx_neq_f32_e32 0, v14
	s_cbranch_execz .LBB16_25
; %bb.24:
	v_add_f32_e32 v6, v1, v14
	v_sub_f32_e32 v15, v15, v2
	v_add_f32_e32 v3, v3, v13
	s_delay_alu instid0(VALU_DEP_3) | instskip(NEXT) | instid1(VALU_DEP_1)
	v_div_scale_f32 v4, null, v6, v6, v14
	v_rcp_f32_e32 v5, v4
	s_waitcnt_depctr 0xfff
	v_fma_f32 v7, -v4, v5, 1.0
	s_delay_alu instid0(VALU_DEP_1) | instskip(SKIP_1) | instid1(VALU_DEP_1)
	v_fmac_f32_e32 v5, v7, v5
	v_div_scale_f32 v16, vcc_lo, v14, v6, v14
	v_mul_f32_e32 v7, v16, v5
	s_delay_alu instid0(VALU_DEP_1) | instskip(NEXT) | instid1(VALU_DEP_1)
	v_fma_f32 v17, -v4, v7, v16
	v_fmac_f32_e32 v7, v17, v5
	s_delay_alu instid0(VALU_DEP_1) | instskip(NEXT) | instid1(VALU_DEP_1)
	v_fma_f32 v4, -v4, v7, v16
	v_div_fmas_f32 v4, v4, v5, v7
	v_mul_f32_e32 v5, v15, v15
	s_delay_alu instid0(VALU_DEP_2) | instskip(NEXT) | instid1(VALU_DEP_2)
	v_div_fixup_f32 v7, v4, v6, v14
	v_dual_mul_f32 v1, v1, v5 :: v_dual_mov_b32 v4, -1
	s_delay_alu instid0(VALU_DEP_2) | instskip(NEXT) | instid1(VALU_DEP_2)
	v_dual_mov_b32 v5, -1 :: v_dual_fmac_f32 v2, v15, v7
	v_fmac_f32_e32 v3, v1, v7
	v_mov_b32_e32 v1, v6
.LBB16_25:
	s_or_b32 exec_lo, exec_lo, s3
                                        ; implicit-def: $vgpr6
                                        ; implicit-def: $vgpr14
                                        ; implicit-def: $vgpr13
                                        ; implicit-def: $vgpr15
.LBB16_26:
	s_and_not1_saveexec_b32 s2, s2
	s_cbranch_execz .LBB16_28
; %bb.27:
	s_waitcnt lgkmcnt(0)
	v_dual_mov_b32 v1, v14 :: v_dual_mov_b32 v2, v15
	v_dual_mov_b32 v4, v6 :: v_dual_mov_b32 v5, v7
	v_mov_b32_e32 v3, v13
.LBB16_28:
	s_or_b32 exec_lo, exec_lo, s2
	v_cmp_ne_u32_e32 vcc_lo, 31, v12
	s_mov_b32 s2, exec_lo
	s_waitcnt lgkmcnt(2)
	v_add_co_ci_u32_e32 v6, vcc_lo, 0, v12, vcc_lo
	s_delay_alu instid0(VALU_DEP_1)
	v_lshlrev_b32_e32 v12, 2, v6
	ds_bpermute_b32 v15, v12, v2
	ds_bpermute_b32 v13, v12, v3
	;; [unrolled: 1-line block ×3, first 2 shown]
	s_waitcnt lgkmcnt(4)
	ds_bpermute_b32 v7, v12, v5
	s_waitcnt lgkmcnt(4)
	ds_bpermute_b32 v14, v12, v1
	v_cmpx_neq_f32_e32 0, v1
	s_xor_b32 s2, exec_lo, s2
	s_cbranch_execz .LBB16_32
; %bb.29:
	s_mov_b32 s3, exec_lo
	s_waitcnt lgkmcnt(0)
	v_cmpx_neq_f32_e32 0, v14
	s_cbranch_execz .LBB16_31
; %bb.30:
	v_add_f32_e32 v6, v1, v14
	v_sub_f32_e32 v15, v15, v2
	v_add_f32_e32 v3, v3, v13
	s_delay_alu instid0(VALU_DEP_3) | instskip(NEXT) | instid1(VALU_DEP_1)
	v_div_scale_f32 v4, null, v6, v6, v14
	v_rcp_f32_e32 v5, v4
	s_waitcnt_depctr 0xfff
	v_fma_f32 v7, -v4, v5, 1.0
	s_delay_alu instid0(VALU_DEP_1) | instskip(SKIP_1) | instid1(VALU_DEP_1)
	v_fmac_f32_e32 v5, v7, v5
	v_div_scale_f32 v16, vcc_lo, v14, v6, v14
	v_mul_f32_e32 v7, v16, v5
	s_delay_alu instid0(VALU_DEP_1) | instskip(NEXT) | instid1(VALU_DEP_1)
	v_fma_f32 v17, -v4, v7, v16
	v_fmac_f32_e32 v7, v17, v5
	s_delay_alu instid0(VALU_DEP_1) | instskip(NEXT) | instid1(VALU_DEP_1)
	v_fma_f32 v4, -v4, v7, v16
	v_div_fmas_f32 v4, v4, v5, v7
	v_mul_f32_e32 v5, v15, v15
	s_delay_alu instid0(VALU_DEP_2) | instskip(NEXT) | instid1(VALU_DEP_2)
	v_div_fixup_f32 v7, v4, v6, v14
	v_dual_mul_f32 v1, v1, v5 :: v_dual_mov_b32 v4, -1
	s_delay_alu instid0(VALU_DEP_2) | instskip(NEXT) | instid1(VALU_DEP_2)
	v_dual_mov_b32 v5, -1 :: v_dual_fmac_f32 v2, v15, v7
	v_fmac_f32_e32 v3, v1, v7
	v_mov_b32_e32 v1, v6
.LBB16_31:
	s_or_b32 exec_lo, exec_lo, s3
                                        ; implicit-def: $vgpr6
                                        ; implicit-def: $vgpr14
                                        ; implicit-def: $vgpr13
                                        ; implicit-def: $vgpr15
.LBB16_32:
	s_and_not1_saveexec_b32 s2, s2
	s_cbranch_execz .LBB16_34
; %bb.33:
	s_waitcnt lgkmcnt(0)
	v_dual_mov_b32 v1, v14 :: v_dual_mov_b32 v2, v15
	v_dual_mov_b32 v4, v6 :: v_dual_mov_b32 v5, v7
	v_mov_b32_e32 v3, v13
.LBB16_34:
	s_or_b32 exec_lo, exec_lo, s2
	s_waitcnt lgkmcnt(2)
	v_and_b32_e32 v6, 31, v0
	s_mov_b32 s2, exec_lo
	s_waitcnt lgkmcnt(0)
	s_barrier
	buffer_gl0_inv
	v_cmpx_eq_u32_e32 0, v6
	s_cbranch_execz .LBB16_36
; %bb.35:
	v_lshrrev_b32_e32 v7, 5, v0
	s_delay_alu instid0(VALU_DEP_1)
	v_mul_u32_u24_e32 v7, 24, v7
	ds_store_2addr_b64 v7, v[2:3], v[4:5] offset1:1
	ds_store_b32 v7, v1 offset:16
.LBB16_36:
	s_or_b32 exec_lo, exec_lo, s2
	s_waitcnt lgkmcnt(0)
	s_barrier
	buffer_gl0_inv
	s_load_b32 s2, s[0:1], 0x34
	v_mul_u32_u24_e32 v4, 24, v6
	v_dual_mov_b32 v1, 0 :: v_dual_mov_b32 v2, 0
	s_waitcnt lgkmcnt(0)
	s_bfe_u32 s2, s2, 0xb0005
	s_delay_alu instid0(SALU_CYCLE_1)
	v_cmp_gt_u32_e32 vcc_lo, s2, v0
	s_and_saveexec_b32 s2, vcc_lo
	s_cbranch_execnz .LBB16_65
; %bb.37:
	s_or_b32 exec_lo, exec_lo, s2
	s_and_saveexec_b32 s2, vcc_lo
	s_cbranch_execnz .LBB16_66
.LBB16_38:
	s_or_b32 exec_lo, exec_lo, s2
	v_mov_b32_e32 v3, 0
	s_and_saveexec_b32 s2, vcc_lo
	s_cbranch_execz .LBB16_40
.LBB16_39:
	ds_load_b32 v3, v4 offset:16
.LBB16_40:
	s_or_b32 exec_lo, exec_lo, s2
	s_delay_alu instid0(SALU_CYCLE_1)
	s_mov_b32 s2, exec_lo
	v_cmpx_gt_u32_e32 32, v0
	s_cbranch_execz .LBB16_62
; %bb.41:
	s_waitcnt lgkmcnt(0)
	ds_bpermute_b32 v6, v8, v2
	ds_bpermute_b32 v4, v8, v1
	;; [unrolled: 1-line block ×3, first 2 shown]
	s_mov_b32 s3, exec_lo
	v_cmpx_neq_f32_e32 0, v3
	s_cbranch_execz .LBB16_45
; %bb.42:
	s_mov_b32 s6, exec_lo
	s_waitcnt lgkmcnt(0)
	v_cmpx_neq_f32_e32 0, v5
	s_cbranch_execz .LBB16_44
; %bb.43:
	v_dual_add_f32 v7, v3, v5 :: v_dual_sub_f32 v6, v6, v2
	v_add_f32_e32 v1, v1, v4
	s_delay_alu instid0(VALU_DEP_2) | instskip(SKIP_1) | instid1(VALU_DEP_2)
	v_div_scale_f32 v8, null, v7, v7, v5
	v_div_scale_f32 v15, vcc_lo, v5, v7, v5
	v_rcp_f32_e32 v13, v8
	s_waitcnt_depctr 0xfff
	v_fma_f32 v14, -v8, v13, 1.0
	s_delay_alu instid0(VALU_DEP_1) | instskip(NEXT) | instid1(VALU_DEP_1)
	v_fmac_f32_e32 v13, v14, v13
	v_mul_f32_e32 v14, v15, v13
	s_delay_alu instid0(VALU_DEP_1) | instskip(NEXT) | instid1(VALU_DEP_1)
	v_fma_f32 v16, -v8, v14, v15
	v_fmac_f32_e32 v14, v16, v13
	s_delay_alu instid0(VALU_DEP_1) | instskip(NEXT) | instid1(VALU_DEP_1)
	v_fma_f32 v8, -v8, v14, v15
	v_div_fmas_f32 v8, v8, v13, v14
	v_mul_f32_e32 v13, v6, v6
	s_delay_alu instid0(VALU_DEP_2) | instskip(NEXT) | instid1(VALU_DEP_1)
	v_div_fixup_f32 v4, v8, v7, v5
	v_dual_mul_f32 v3, v3, v13 :: v_dual_fmac_f32 v2, v6, v4
	s_delay_alu instid0(VALU_DEP_1)
	v_fmac_f32_e32 v1, v3, v4
	v_mov_b32_e32 v3, v7
.LBB16_44:
	s_or_b32 exec_lo, exec_lo, s6
	s_delay_alu instid0(VALU_DEP_1)
	v_dual_mov_b32 v5, v3 :: v_dual_mov_b32 v4, v1
	v_mov_b32_e32 v6, v2
.LBB16_45:
	s_or_b32 exec_lo, exec_lo, s3
	s_waitcnt lgkmcnt(2)
	ds_bpermute_b32 v7, v9, v6
	s_waitcnt lgkmcnt(2)
	ds_bpermute_b32 v1, v9, v4
	;; [unrolled: 2-line block ×3, first 2 shown]
	s_mov_b32 s3, exec_lo
	v_cmpx_neq_f32_e32 0, v5
	s_cbranch_execz .LBB16_49
; %bb.46:
	s_mov_b32 s6, exec_lo
	s_waitcnt lgkmcnt(0)
	v_cmpx_neq_f32_e32 0, v3
	s_cbranch_execz .LBB16_48
; %bb.47:
	v_dual_add_f32 v2, v5, v3 :: v_dual_sub_f32 v7, v7, v6
	v_add_f32_e32 v4, v4, v1
	s_delay_alu instid0(VALU_DEP_2) | instskip(SKIP_1) | instid1(VALU_DEP_2)
	v_div_scale_f32 v8, null, v2, v2, v3
	v_div_scale_f32 v14, vcc_lo, v3, v2, v3
	v_rcp_f32_e32 v9, v8
	s_waitcnt_depctr 0xfff
	v_fma_f32 v13, -v8, v9, 1.0
	s_delay_alu instid0(VALU_DEP_1) | instskip(NEXT) | instid1(VALU_DEP_1)
	v_fmac_f32_e32 v9, v13, v9
	v_mul_f32_e32 v13, v14, v9
	s_delay_alu instid0(VALU_DEP_1) | instskip(NEXT) | instid1(VALU_DEP_1)
	v_fma_f32 v15, -v8, v13, v14
	v_fmac_f32_e32 v13, v15, v9
	s_delay_alu instid0(VALU_DEP_1) | instskip(NEXT) | instid1(VALU_DEP_1)
	v_fma_f32 v8, -v8, v13, v14
	v_div_fmas_f32 v8, v8, v9, v13
	v_mul_f32_e32 v9, v7, v7
	s_delay_alu instid0(VALU_DEP_2) | instskip(NEXT) | instid1(VALU_DEP_2)
	v_div_fixup_f32 v1, v8, v2, v3
	v_mul_f32_e32 v3, v5, v9
	s_delay_alu instid0(VALU_DEP_2) | instskip(NEXT) | instid1(VALU_DEP_2)
	v_dual_mov_b32 v5, v2 :: v_dual_fmac_f32 v6, v7, v1
	v_fmac_f32_e32 v4, v3, v1
.LBB16_48:
	s_or_b32 exec_lo, exec_lo, s6
	s_delay_alu instid0(VALU_DEP_2) | instskip(NEXT) | instid1(VALU_DEP_2)
	v_mov_b32_e32 v3, v5
	v_mov_b32_e32 v1, v4
	;; [unrolled: 1-line block ×3, first 2 shown]
.LBB16_49:
	s_or_b32 exec_lo, exec_lo, s3
	s_waitcnt lgkmcnt(2)
	ds_bpermute_b32 v8, v10, v7
	s_waitcnt lgkmcnt(2)
	ds_bpermute_b32 v2, v10, v1
	;; [unrolled: 2-line block ×3, first 2 shown]
	s_mov_b32 s3, exec_lo
	v_cmpx_neq_f32_e32 0, v3
	s_cbranch_execz .LBB16_53
; %bb.50:
	s_mov_b32 s6, exec_lo
	s_waitcnt lgkmcnt(0)
	v_cmpx_neq_f32_e32 0, v6
	s_cbranch_execz .LBB16_52
; %bb.51:
	v_add_f32_e32 v4, v3, v6
	v_dual_sub_f32 v8, v8, v7 :: v_dual_add_f32 v1, v1, v2
	s_delay_alu instid0(VALU_DEP_2) | instskip(NEXT) | instid1(VALU_DEP_1)
	v_div_scale_f32 v5, null, v4, v4, v6
	v_rcp_f32_e32 v9, v5
	s_waitcnt_depctr 0xfff
	v_fma_f32 v10, -v5, v9, 1.0
	s_delay_alu instid0(VALU_DEP_1) | instskip(SKIP_1) | instid1(VALU_DEP_1)
	v_fmac_f32_e32 v9, v10, v9
	v_div_scale_f32 v13, vcc_lo, v6, v4, v6
	v_mul_f32_e32 v10, v13, v9
	s_delay_alu instid0(VALU_DEP_1) | instskip(NEXT) | instid1(VALU_DEP_1)
	v_fma_f32 v14, -v5, v10, v13
	v_fmac_f32_e32 v10, v14, v9
	s_delay_alu instid0(VALU_DEP_1) | instskip(NEXT) | instid1(VALU_DEP_1)
	v_fma_f32 v5, -v5, v10, v13
	v_div_fmas_f32 v5, v5, v9, v10
	v_mul_f32_e32 v9, v8, v8
	s_delay_alu instid0(VALU_DEP_2) | instskip(NEXT) | instid1(VALU_DEP_2)
	v_div_fixup_f32 v2, v5, v4, v6
	v_mul_f32_e32 v3, v3, v9
	s_delay_alu instid0(VALU_DEP_2) | instskip(NEXT) | instid1(VALU_DEP_2)
	v_fmac_f32_e32 v7, v8, v2
	v_fmac_f32_e32 v1, v3, v2
	v_mov_b32_e32 v3, v4
.LBB16_52:
	s_or_b32 exec_lo, exec_lo, s6
	s_delay_alu instid0(VALU_DEP_1) | instskip(NEXT) | instid1(VALU_DEP_3)
	v_mov_b32_e32 v6, v3
	v_mov_b32_e32 v2, v1
	;; [unrolled: 1-line block ×3, first 2 shown]
.LBB16_53:
	s_or_b32 exec_lo, exec_lo, s3
	s_waitcnt lgkmcnt(2)
	ds_bpermute_b32 v7, v11, v8
	s_waitcnt lgkmcnt(2)
	ds_bpermute_b32 v4, v11, v2
	;; [unrolled: 2-line block ×3, first 2 shown]
	s_mov_b32 s3, exec_lo
	v_cmpx_neq_f32_e32 0, v6
	s_cbranch_execz .LBB16_57
; %bb.54:
	s_mov_b32 s6, exec_lo
	s_waitcnt lgkmcnt(0)
	v_cmpx_neq_f32_e32 0, v5
	s_cbranch_execz .LBB16_56
; %bb.55:
	v_sub_f32_e32 v7, v7, v8
	v_add_f32_e32 v1, v6, v5
	v_add_f32_e32 v2, v2, v4
	s_delay_alu instid0(VALU_DEP_2) | instskip(SKIP_1) | instid1(VALU_DEP_2)
	v_div_scale_f32 v3, null, v1, v1, v5
	v_div_scale_f32 v11, vcc_lo, v5, v1, v5
	v_rcp_f32_e32 v9, v3
	s_waitcnt_depctr 0xfff
	v_fma_f32 v10, -v3, v9, 1.0
	s_delay_alu instid0(VALU_DEP_1) | instskip(NEXT) | instid1(VALU_DEP_1)
	v_fmac_f32_e32 v9, v10, v9
	v_mul_f32_e32 v10, v11, v9
	s_delay_alu instid0(VALU_DEP_1) | instskip(NEXT) | instid1(VALU_DEP_1)
	v_fma_f32 v13, -v3, v10, v11
	v_fmac_f32_e32 v10, v13, v9
	s_delay_alu instid0(VALU_DEP_1) | instskip(NEXT) | instid1(VALU_DEP_1)
	v_fma_f32 v3, -v3, v10, v11
	v_div_fmas_f32 v3, v3, v9, v10
	v_mul_f32_e32 v9, v7, v7
	s_delay_alu instid0(VALU_DEP_2) | instskip(NEXT) | instid1(VALU_DEP_2)
	v_div_fixup_f32 v3, v3, v1, v5
	v_mul_f32_e32 v4, v6, v9
	s_delay_alu instid0(VALU_DEP_2) | instskip(NEXT) | instid1(VALU_DEP_2)
	v_fmac_f32_e32 v8, v7, v3
	v_fmac_f32_e32 v2, v4, v3
	v_mov_b32_e32 v6, v1
.LBB16_56:
	s_or_b32 exec_lo, exec_lo, s6
	s_delay_alu instid0(VALU_DEP_1) | instskip(NEXT) | instid1(VALU_DEP_3)
	v_mov_b32_e32 v5, v6
	v_dual_mov_b32 v4, v2 :: v_dual_mov_b32 v7, v8
.LBB16_57:
	s_or_b32 exec_lo, exec_lo, s3
	s_waitcnt lgkmcnt(2)
	ds_bpermute_b32 v2, v12, v7
	s_waitcnt lgkmcnt(2)
	ds_bpermute_b32 v1, v12, v4
	;; [unrolled: 2-line block ×3, first 2 shown]
	s_mov_b32 s3, exec_lo
	v_cmpx_neq_f32_e32 0, v5
	s_cbranch_execz .LBB16_61
; %bb.58:
	s_mov_b32 s6, exec_lo
	s_waitcnt lgkmcnt(0)
	v_cmpx_neq_f32_e32 0, v3
	s_cbranch_execz .LBB16_60
; %bb.59:
	v_add_f32_e32 v6, v5, v3
	v_sub_f32_e32 v2, v2, v7
	v_add_f32_e32 v4, v4, v1
	s_delay_alu instid0(VALU_DEP_3) | instskip(NEXT) | instid1(VALU_DEP_1)
	v_div_scale_f32 v8, null, v6, v6, v3
	v_rcp_f32_e32 v9, v8
	s_waitcnt_depctr 0xfff
	v_fma_f32 v10, -v8, v9, 1.0
	s_delay_alu instid0(VALU_DEP_1) | instskip(SKIP_1) | instid1(VALU_DEP_1)
	v_fmac_f32_e32 v9, v10, v9
	v_div_scale_f32 v11, vcc_lo, v3, v6, v3
	v_mul_f32_e32 v10, v11, v9
	s_delay_alu instid0(VALU_DEP_1) | instskip(NEXT) | instid1(VALU_DEP_1)
	v_fma_f32 v12, -v8, v10, v11
	v_fmac_f32_e32 v10, v12, v9
	s_delay_alu instid0(VALU_DEP_1) | instskip(NEXT) | instid1(VALU_DEP_1)
	v_fma_f32 v8, -v8, v10, v11
	v_div_fmas_f32 v8, v8, v9, v10
	v_mul_f32_e32 v9, v2, v2
	s_delay_alu instid0(VALU_DEP_2) | instskip(NEXT) | instid1(VALU_DEP_2)
	v_div_fixup_f32 v1, v8, v6, v3
	v_mul_f32_e32 v3, v5, v9
	v_mov_b32_e32 v5, v6
	s_delay_alu instid0(VALU_DEP_3) | instskip(NEXT) | instid1(VALU_DEP_3)
	v_fmac_f32_e32 v7, v2, v1
	v_fmac_f32_e32 v4, v3, v1
.LBB16_60:
	s_or_b32 exec_lo, exec_lo, s6
	s_delay_alu instid0(VALU_DEP_2) | instskip(NEXT) | instid1(VALU_DEP_2)
	v_dual_mov_b32 v3, v5 :: v_dual_mov_b32 v2, v7
	v_mov_b32_e32 v1, v4
.LBB16_61:
	s_or_b32 exec_lo, exec_lo, s3
.LBB16_62:
	s_delay_alu instid0(SALU_CYCLE_1) | instskip(NEXT) | instid1(SALU_CYCLE_1)
	s_or_b32 exec_lo, exec_lo, s2
	s_mov_b32 s2, exec_lo
	v_cmpx_eq_u32_e32 0, v0
	s_cbranch_execz .LBB16_64
; %bb.63:
	s_waitcnt lgkmcnt(0)
	v_max_f32_e32 v0, v3, v3
	s_clause 0x1
	s_load_b32 s2, s[0:1], 0x8
	s_load_b64 s[0:1], s[0:1], 0x20
	s_delay_alu instid0(VALU_DEP_1) | instskip(NEXT) | instid1(VALU_DEP_1)
	v_max_f32_e32 v0, 0, v0
	v_div_scale_f32 v3, null, v0, v0, v1
	v_div_scale_f32 v6, vcc_lo, v1, v0, v1
	s_delay_alu instid0(VALU_DEP_2) | instskip(SKIP_2) | instid1(VALU_DEP_1)
	v_rcp_f32_e32 v4, v3
	s_waitcnt_depctr 0xfff
	v_fma_f32 v5, -v3, v4, 1.0
	v_fmac_f32_e32 v4, v5, v4
	s_delay_alu instid0(VALU_DEP_1) | instskip(NEXT) | instid1(VALU_DEP_1)
	v_mul_f32_e32 v5, v6, v4
	v_fma_f32 v7, -v3, v5, v6
	s_delay_alu instid0(VALU_DEP_1) | instskip(NEXT) | instid1(VALU_DEP_1)
	v_fmac_f32_e32 v5, v7, v4
	v_fma_f32 v3, -v3, v5, v6
	s_delay_alu instid0(VALU_DEP_1) | instskip(NEXT) | instid1(VALU_DEP_1)
	v_div_fmas_f32 v3, v3, v4, v5
	v_div_fixup_f32 v0, v3, v0, v1
	s_delay_alu instid0(VALU_DEP_1) | instskip(SKIP_1) | instid1(VALU_DEP_1)
	v_fmac_f32_e32 v0, v2, v2
	s_waitcnt lgkmcnt(0)
	v_add_f32_e32 v0, s2, v0
	s_lshl_b64 s[2:3], s[4:5], 2
	s_delay_alu instid0(SALU_CYCLE_1) | instskip(SKIP_1) | instid1(VALU_DEP_1)
	s_add_u32 s0, s0, s2
	s_addc_u32 s1, s1, s3
	v_mul_f32_e32 v1, 0x4b800000, v0
	v_cmp_gt_f32_e32 vcc_lo, 0x800000, v0
	s_delay_alu instid0(VALU_DEP_2) | instskip(NEXT) | instid1(VALU_DEP_1)
	v_cndmask_b32_e32 v0, v0, v1, vcc_lo
	v_rsq_f32_e32 v0, v0
	s_waitcnt_depctr 0xfff
	v_mul_f32_e32 v1, 0x45800000, v0
	s_delay_alu instid0(VALU_DEP_1)
	v_dual_cndmask_b32 v0, v0, v1 :: v_dual_mov_b32 v1, 0
	global_store_b32 v1, v0, s[0:1]
.LBB16_64:
	s_nop 0
	s_sendmsg sendmsg(MSG_DEALLOC_VGPRS)
	s_endpgm
.LBB16_65:
	ds_load_b32 v2, v4
	s_or_b32 exec_lo, exec_lo, s2
	s_and_saveexec_b32 s2, vcc_lo
	s_cbranch_execz .LBB16_38
.LBB16_66:
	ds_load_b32 v1, v4 offset:4
	s_or_b32 exec_lo, exec_lo, s2
	v_mov_b32_e32 v3, 0
	s_and_saveexec_b32 s2, vcc_lo
	s_cbranch_execnz .LBB16_39
	s_branch .LBB16_40
	.section	.rodata,"a",@progbits
	.p2align	6, 0x0
	.amdhsa_kernel _ZN2at6native12_GLOBAL__N_124RowwiseMomentsCUDAKernelIffLb1EEEvlT0_PKT_PS3_S7_
		.amdhsa_group_segment_fixed_size 768
		.amdhsa_private_segment_fixed_size 0
		.amdhsa_kernarg_size 296
		.amdhsa_user_sgpr_count 15
		.amdhsa_user_sgpr_dispatch_ptr 0
		.amdhsa_user_sgpr_queue_ptr 0
		.amdhsa_user_sgpr_kernarg_segment_ptr 1
		.amdhsa_user_sgpr_dispatch_id 0
		.amdhsa_user_sgpr_private_segment_size 0
		.amdhsa_wavefront_size32 1
		.amdhsa_uses_dynamic_stack 0
		.amdhsa_enable_private_segment 0
		.amdhsa_system_sgpr_workgroup_id_x 1
		.amdhsa_system_sgpr_workgroup_id_y 0
		.amdhsa_system_sgpr_workgroup_id_z 0
		.amdhsa_system_sgpr_workgroup_info 0
		.amdhsa_system_vgpr_workitem_id 0
		.amdhsa_next_free_vgpr 18
		.amdhsa_next_free_sgpr 16
		.amdhsa_reserve_vcc 1
		.amdhsa_float_round_mode_32 0
		.amdhsa_float_round_mode_16_64 0
		.amdhsa_float_denorm_mode_32 3
		.amdhsa_float_denorm_mode_16_64 3
		.amdhsa_dx10_clamp 1
		.amdhsa_ieee_mode 1
		.amdhsa_fp16_overflow 0
		.amdhsa_workgroup_processor_mode 1
		.amdhsa_memory_ordered 1
		.amdhsa_forward_progress 0
		.amdhsa_shared_vgpr_count 0
		.amdhsa_exception_fp_ieee_invalid_op 0
		.amdhsa_exception_fp_denorm_src 0
		.amdhsa_exception_fp_ieee_div_zero 0
		.amdhsa_exception_fp_ieee_overflow 0
		.amdhsa_exception_fp_ieee_underflow 0
		.amdhsa_exception_fp_ieee_inexact 0
		.amdhsa_exception_int_div_zero 0
	.end_amdhsa_kernel
	.section	.text._ZN2at6native12_GLOBAL__N_124RowwiseMomentsCUDAKernelIffLb1EEEvlT0_PKT_PS3_S7_,"axG",@progbits,_ZN2at6native12_GLOBAL__N_124RowwiseMomentsCUDAKernelIffLb1EEEvlT0_PKT_PS3_S7_,comdat
.Lfunc_end16:
	.size	_ZN2at6native12_GLOBAL__N_124RowwiseMomentsCUDAKernelIffLb1EEEvlT0_PKT_PS3_S7_, .Lfunc_end16-_ZN2at6native12_GLOBAL__N_124RowwiseMomentsCUDAKernelIffLb1EEEvlT0_PKT_PS3_S7_
                                        ; -- End function
	.section	.AMDGPU.csdata,"",@progbits
; Kernel info:
; codeLenInByte = 3444
; NumSgprs: 18
; NumVgprs: 18
; ScratchSize: 0
; MemoryBound: 0
; FloatMode: 240
; IeeeMode: 1
; LDSByteSize: 768 bytes/workgroup (compile time only)
; SGPRBlocks: 2
; VGPRBlocks: 2
; NumSGPRsForWavesPerEU: 18
; NumVGPRsForWavesPerEU: 18
; Occupancy: 16
; WaveLimiterHint : 0
; COMPUTE_PGM_RSRC2:SCRATCH_EN: 0
; COMPUTE_PGM_RSRC2:USER_SGPR: 15
; COMPUTE_PGM_RSRC2:TRAP_HANDLER: 0
; COMPUTE_PGM_RSRC2:TGID_X_EN: 1
; COMPUTE_PGM_RSRC2:TGID_Y_EN: 0
; COMPUTE_PGM_RSRC2:TGID_Z_EN: 0
; COMPUTE_PGM_RSRC2:TIDIG_COMP_CNT: 0
	.section	.text._ZN2at6native12_GLOBAL__N_126LayerNormForwardCUDAKernelIffLb1EEEvlPKT_PKT0_S8_S5_S5_PS3_,"axG",@progbits,_ZN2at6native12_GLOBAL__N_126LayerNormForwardCUDAKernelIffLb1EEEvlPKT_PKT0_S8_S5_S5_PS3_,comdat
	.globl	_ZN2at6native12_GLOBAL__N_126LayerNormForwardCUDAKernelIffLb1EEEvlPKT_PKT0_S8_S5_S5_PS3_ ; -- Begin function _ZN2at6native12_GLOBAL__N_126LayerNormForwardCUDAKernelIffLb1EEEvlPKT_PKT0_S8_S5_S5_PS3_
	.p2align	8
	.type	_ZN2at6native12_GLOBAL__N_126LayerNormForwardCUDAKernelIffLb1EEEvlPKT_PKT0_S8_S5_S5_PS3_,@function
_ZN2at6native12_GLOBAL__N_126LayerNormForwardCUDAKernelIffLb1EEEvlPKT_PKT0_S8_S5_S5_PS3_: ; @_ZN2at6native12_GLOBAL__N_126LayerNormForwardCUDAKernelIffLb1EEEvlPKT_PKT0_S8_S5_S5_PS3_
; %bb.0:
	s_load_b128 s[4:7], s[0:1], 0x0
	v_mov_b32_e32 v1, 0
	s_mov_b32 s3, exec_lo
	s_waitcnt lgkmcnt(0)
	s_delay_alu instid0(VALU_DEP_1)
	v_cmpx_gt_i64_e64 s[4:5], v[0:1]
	s_cbranch_execz .LBB17_6
; %bb.1:
	s_mov_b32 s2, s15
	s_clause 0x2
	s_load_b128 s[8:11], s[0:1], 0x18
	s_load_b32 s18, s[0:1], 0x44
	s_load_b64 s[14:15], s[0:1], 0x30
	s_mov_b32 s3, 0
	s_mul_i32 s0, s5, s2
	s_mul_hi_u32 s13, s4, s2
	s_mul_i32 s12, s4, s2
	v_dual_mov_b32 v5, v1 :: v_dual_lshlrev_b32 v4, 2, v0
	v_dual_mov_b32 v3, v1 :: v_dual_mov_b32 v2, v0
	s_waitcnt lgkmcnt(0)
	s_cmp_lg_u64 s[10:11], 0
	s_cselect_b32 s1, -1, 0
	s_lshl_b64 s[16:17], s[2:3], 2
	s_delay_alu instid0(SALU_CYCLE_1) | instskip(SKIP_4) | instid1(SALU_CYCLE_1)
	s_add_u32 s8, s8, s16
	s_addc_u32 s9, s9, s17
	s_add_i32 s13, s13, s0
	s_and_b32 s2, s18, 0xffff
	s_lshl_b64 s[16:17], s[12:13], 2
	s_add_u32 s6, s6, s16
	s_addc_u32 s7, s7, s17
	s_lshl_b32 s12, s2, 2
	s_add_u32 s13, s14, s16
	s_addc_u32 s14, s15, s17
	s_set_inst_prefetch_distance 0x1
	s_branch .LBB17_4
	.p2align	6
.LBB17_2:                               ;   in Loop: Header=BB17_4 Depth=1
	v_add_co_u32 v6, vcc_lo, s10, v4
	v_add_co_ci_u32_e32 v7, vcc_lo, s11, v5, vcc_lo
	global_load_b32 v0, v[6:7], off
.LBB17_3:                               ;   in Loop: Header=BB17_4 Depth=1
	v_add_co_u32 v6, vcc_lo, s6, v4
	v_add_co_ci_u32_e32 v7, vcc_lo, s7, v5, vcc_lo
	v_add_co_u32 v2, vcc_lo, v2, s2
	global_load_b32 v8, v1, s[8:9]
	global_load_b32 v6, v[6:7], off
	v_add_co_ci_u32_e32 v3, vcc_lo, 0, v3, vcc_lo
	s_waitcnt vmcnt(0)
	v_mul_f32_e32 v8, v6, v8
	v_add_co_u32 v6, vcc_lo, s13, v4
	v_add_co_ci_u32_e32 v7, vcc_lo, s14, v5, vcc_lo
	v_cmp_le_i64_e32 vcc_lo, s[4:5], v[2:3]
	v_add_co_u32 v4, s0, v4, s12
	v_mul_f32_e32 v0, v0, v8
	v_add_co_ci_u32_e64 v5, s0, 0, v5, s0
	s_or_b32 s3, vcc_lo, s3
	global_store_b32 v[6:7], v0, off
	s_and_not1_b32 exec_lo, exec_lo, s3
	s_cbranch_execz .LBB17_6
.LBB17_4:                               ; =>This Inner Loop Header: Depth=1
	s_and_not1_b32 vcc_lo, exec_lo, s1
	s_cbranch_vccz .LBB17_2
; %bb.5:                                ;   in Loop: Header=BB17_4 Depth=1
	v_mov_b32_e32 v0, 1.0
	s_branch .LBB17_3
.LBB17_6:
	s_set_inst_prefetch_distance 0x2
	s_nop 0
	s_sendmsg sendmsg(MSG_DEALLOC_VGPRS)
	s_endpgm
	.section	.rodata,"a",@progbits
	.p2align	6, 0x0
	.amdhsa_kernel _ZN2at6native12_GLOBAL__N_126LayerNormForwardCUDAKernelIffLb1EEEvlPKT_PKT0_S8_S5_S5_PS3_
		.amdhsa_group_segment_fixed_size 0
		.amdhsa_private_segment_fixed_size 0
		.amdhsa_kernarg_size 312
		.amdhsa_user_sgpr_count 15
		.amdhsa_user_sgpr_dispatch_ptr 0
		.amdhsa_user_sgpr_queue_ptr 0
		.amdhsa_user_sgpr_kernarg_segment_ptr 1
		.amdhsa_user_sgpr_dispatch_id 0
		.amdhsa_user_sgpr_private_segment_size 0
		.amdhsa_wavefront_size32 1
		.amdhsa_uses_dynamic_stack 0
		.amdhsa_enable_private_segment 0
		.amdhsa_system_sgpr_workgroup_id_x 1
		.amdhsa_system_sgpr_workgroup_id_y 0
		.amdhsa_system_sgpr_workgroup_id_z 0
		.amdhsa_system_sgpr_workgroup_info 0
		.amdhsa_system_vgpr_workitem_id 0
		.amdhsa_next_free_vgpr 9
		.amdhsa_next_free_sgpr 19
		.amdhsa_reserve_vcc 1
		.amdhsa_float_round_mode_32 0
		.amdhsa_float_round_mode_16_64 0
		.amdhsa_float_denorm_mode_32 3
		.amdhsa_float_denorm_mode_16_64 3
		.amdhsa_dx10_clamp 1
		.amdhsa_ieee_mode 1
		.amdhsa_fp16_overflow 0
		.amdhsa_workgroup_processor_mode 1
		.amdhsa_memory_ordered 1
		.amdhsa_forward_progress 0
		.amdhsa_shared_vgpr_count 0
		.amdhsa_exception_fp_ieee_invalid_op 0
		.amdhsa_exception_fp_denorm_src 0
		.amdhsa_exception_fp_ieee_div_zero 0
		.amdhsa_exception_fp_ieee_overflow 0
		.amdhsa_exception_fp_ieee_underflow 0
		.amdhsa_exception_fp_ieee_inexact 0
		.amdhsa_exception_int_div_zero 0
	.end_amdhsa_kernel
	.section	.text._ZN2at6native12_GLOBAL__N_126LayerNormForwardCUDAKernelIffLb1EEEvlPKT_PKT0_S8_S5_S5_PS3_,"axG",@progbits,_ZN2at6native12_GLOBAL__N_126LayerNormForwardCUDAKernelIffLb1EEEvlPKT_PKT0_S8_S5_S5_PS3_,comdat
.Lfunc_end17:
	.size	_ZN2at6native12_GLOBAL__N_126LayerNormForwardCUDAKernelIffLb1EEEvlPKT_PKT0_S8_S5_S5_PS3_, .Lfunc_end17-_ZN2at6native12_GLOBAL__N_126LayerNormForwardCUDAKernelIffLb1EEEvlPKT_PKT0_S8_S5_S5_PS3_
                                        ; -- End function
	.section	.AMDGPU.csdata,"",@progbits
; Kernel info:
; codeLenInByte = 328
; NumSgprs: 21
; NumVgprs: 9
; ScratchSize: 0
; MemoryBound: 0
; FloatMode: 240
; IeeeMode: 1
; LDSByteSize: 0 bytes/workgroup (compile time only)
; SGPRBlocks: 2
; VGPRBlocks: 1
; NumSGPRsForWavesPerEU: 21
; NumVGPRsForWavesPerEU: 9
; Occupancy: 16
; WaveLimiterHint : 0
; COMPUTE_PGM_RSRC2:SCRATCH_EN: 0
; COMPUTE_PGM_RSRC2:USER_SGPR: 15
; COMPUTE_PGM_RSRC2:TRAP_HANDLER: 0
; COMPUTE_PGM_RSRC2:TGID_X_EN: 1
; COMPUTE_PGM_RSRC2:TGID_Y_EN: 0
; COMPUTE_PGM_RSRC2:TGID_Z_EN: 0
; COMPUTE_PGM_RSRC2:TIDIG_COMP_CNT: 0
	.section	.text._ZN2at6native12_GLOBAL__N_128vectorized_layer_norm_kernelIN3c104HalfEfLb1EEEviT0_PKT_S8_S8_PS5_S9_PS6_,"axG",@progbits,_ZN2at6native12_GLOBAL__N_128vectorized_layer_norm_kernelIN3c104HalfEfLb1EEEviT0_PKT_S8_S8_PS5_S9_PS6_,comdat
	.globl	_ZN2at6native12_GLOBAL__N_128vectorized_layer_norm_kernelIN3c104HalfEfLb1EEEviT0_PKT_S8_S8_PS5_S9_PS6_ ; -- Begin function _ZN2at6native12_GLOBAL__N_128vectorized_layer_norm_kernelIN3c104HalfEfLb1EEEviT0_PKT_S8_S8_PS5_S9_PS6_
	.p2align	8
	.type	_ZN2at6native12_GLOBAL__N_128vectorized_layer_norm_kernelIN3c104HalfEfLb1EEEviT0_PKT_S8_S8_PS5_S9_PS6_,@function
_ZN2at6native12_GLOBAL__N_128vectorized_layer_norm_kernelIN3c104HalfEfLb1EEEviT0_PKT_S8_S8_PS5_S9_PS6_: ; @_ZN2at6native12_GLOBAL__N_128vectorized_layer_norm_kernelIN3c104HalfEfLb1EEEviT0_PKT_S8_S8_PS5_S9_PS6_
; %bb.0:
	s_clause 0x1
	s_load_b128 s[8:11], s[0:1], 0x0
	s_load_b32 s3, s[0:1], 0x44
	v_dual_mov_b32 v4, 0 :: v_dual_and_b32 v3, 0x3ff, v0
	v_bfe_u32 v2, v0, 10, 10
	s_mov_b32 s12, s15
	s_mov_b32 s13, 0
	s_waitcnt lgkmcnt(0)
	s_ashr_i32 s2, s8, 31
	s_and_b32 s4, s3, 0xffff
	s_lshr_b32 s6, s2, 30
	v_mul_u32_u24_e32 v0, s4, v2
	v_mad_u32_u24 v7, v2, s4, v3
	s_add_i32 s6, s8, s6
	s_mul_hi_u32 s5, s8, s15
	s_mul_i32 s2, s2, s15
	s_ashr_i32 s18, s6, 2
	s_add_i32 s17, s5, s2
	v_cmp_gt_i32_e64 s2, s18, v7
	v_add_lshl_u32 v8, v0, v3, 3
	s_lshr_b32 s6, s3, 16
	s_mul_i32 s16, s8, s15
	s_mul_i32 s14, s6, s4
	s_and_saveexec_b32 s7, s2
	s_cbranch_execz .LBB18_4
; %bb.1:
	s_lshl_b64 s[4:5], s[16:17], 1
	v_dual_mov_b32 v4, 0 :: v_dual_mov_b32 v5, v7
	s_add_u32 s3, s10, s4
	s_addc_u32 s4, s11, s5
	v_add_co_u32 v0, s3, s3, v8
	s_delay_alu instid0(VALU_DEP_1) | instskip(SKIP_1) | instid1(VALU_DEP_2)
	v_add_co_ci_u32_e64 v1, null, s4, 0, s3
	s_ashr_i32 s15, s14, 31
	v_add_co_u32 v0, vcc_lo, v0, 4
	s_delay_alu instid0(VALU_DEP_2)
	v_add_co_ci_u32_e32 v1, vcc_lo, 0, v1, vcc_lo
	s_lshl_b64 s[4:5], s[14:15], 3
	s_mov_b32 s15, s13
	.p2align	6
.LBB18_2:                               ; =>This Inner Loop Header: Depth=1
	global_load_b64 v[9:10], v[0:1], off offset:-4
	v_add_nc_u32_e32 v5, s14, v5
	v_add_co_u32 v0, vcc_lo, v0, s4
	v_add_co_ci_u32_e32 v1, vcc_lo, s5, v1, vcc_lo
	s_delay_alu instid0(VALU_DEP_3) | instskip(NEXT) | instid1(VALU_DEP_1)
	v_cmp_le_i32_e64 s3, s18, v5
	s_or_b32 s15, s3, s15
	s_waitcnt vmcnt(0)
	v_fma_mix_f32 v4, v9, v9, v4 op_sel_hi:[1,1,0]
	s_delay_alu instid0(VALU_DEP_1) | instskip(NEXT) | instid1(VALU_DEP_1)
	v_fma_mix_f32 v4, v9, v9, v4 op_sel:[1,1,0] op_sel_hi:[1,1,0]
	v_fma_mix_f32 v4, v10, v10, v4 op_sel_hi:[1,1,0]
	s_delay_alu instid0(VALU_DEP_1)
	v_fma_mix_f32 v4, v10, v10, v4 op_sel:[1,1,0] op_sel_hi:[1,1,0]
	s_and_not1_b32 exec_lo, exec_lo, s15
	s_cbranch_execnz .LBB18_2
; %bb.3:
	s_or_b32 exec_lo, exec_lo, s15
.LBB18_4:
	s_delay_alu instid0(SALU_CYCLE_1) | instskip(SKIP_3) | instid1(VALU_DEP_1)
	s_or_b32 exec_lo, exec_lo, s7
	v_mbcnt_lo_u32_b32 v0, -1, 0
	s_cmp_lt_u32 s6, 2
	s_mov_b32 s3, -1
	v_cmp_gt_u32_e32 vcc_lo, 16, v0
	v_cndmask_b32_e64 v1, 0, 1, vcc_lo
	v_cmp_gt_u32_e32 vcc_lo, 24, v0
	s_delay_alu instid0(VALU_DEP_2) | instskip(SKIP_2) | instid1(VALU_DEP_3)
	v_lshlrev_b32_e32 v1, 4, v1
	v_cndmask_b32_e64 v5, 0, 1, vcc_lo
	v_cmp_gt_u32_e32 vcc_lo, 28, v0
	v_add_lshl_u32 v1, v1, v0, 2
	s_delay_alu instid0(VALU_DEP_3)
	v_lshlrev_b32_e32 v5, 3, v5
	ds_bpermute_b32 v1, v1, v4
	v_add_lshl_u32 v5, v5, v0, 2
	s_waitcnt lgkmcnt(0)
	v_add_f32_e32 v1, v4, v1
	ds_bpermute_b32 v4, v5, v1
	v_cndmask_b32_e64 v5, 0, 1, vcc_lo
	v_cmp_gt_u32_e32 vcc_lo, 30, v0
	s_delay_alu instid0(VALU_DEP_2) | instskip(NEXT) | instid1(VALU_DEP_1)
	v_lshlrev_b32_e32 v5, 2, v5
	v_add_lshl_u32 v5, v5, v0, 2
	s_waitcnt lgkmcnt(0)
	v_add_f32_e32 v1, v1, v4
	ds_bpermute_b32 v4, v5, v1
	v_cndmask_b32_e64 v5, 0, 1, vcc_lo
	v_cmp_ne_u32_e32 vcc_lo, 31, v0
	s_delay_alu instid0(VALU_DEP_2) | instskip(NEXT) | instid1(VALU_DEP_1)
	v_lshlrev_b32_e32 v5, 1, v5
	v_add_lshl_u32 v5, v5, v0, 2
	v_add_co_ci_u32_e32 v0, vcc_lo, 0, v0, vcc_lo
	s_delay_alu instid0(VALU_DEP_1)
	v_lshlrev_b32_e32 v0, 2, v0
	s_waitcnt lgkmcnt(0)
	v_add_f32_e32 v1, v1, v4
	ds_bpermute_b32 v4, v5, v1
	s_waitcnt lgkmcnt(0)
	v_add_f32_e32 v1, v1, v4
	ds_bpermute_b32 v0, v0, v1
	s_waitcnt lgkmcnt(0)
	v_add_f32_e32 v4, v1, v0
	s_cbranch_scc0 .LBB18_6
; %bb.5:
	v_mov_b32_e32 v0, 0
	v_cvt_f32_i32_e32 v5, s8
	ds_bpermute_b32 v1, v0, v4
	s_waitcnt lgkmcnt(0)
	v_div_scale_f32 v6, null, v5, v5, v1
	s_delay_alu instid0(VALU_DEP_1) | instskip(SKIP_2) | instid1(VALU_DEP_1)
	v_rcp_f32_e32 v9, v6
	s_waitcnt_depctr 0xfff
	v_fma_f32 v10, -v6, v9, 1.0
	v_fmac_f32_e32 v9, v10, v9
	v_div_scale_f32 v10, vcc_lo, v1, v5, v1
	ds_bpermute_b32 v0, v0, v0
	v_mul_f32_e32 v11, v10, v9
	s_delay_alu instid0(VALU_DEP_1) | instskip(NEXT) | instid1(VALU_DEP_1)
	v_fma_f32 v12, -v6, v11, v10
	v_fmac_f32_e32 v11, v12, v9
	s_delay_alu instid0(VALU_DEP_1) | instskip(NEXT) | instid1(VALU_DEP_1)
	v_fma_f32 v6, -v6, v11, v10
	v_div_fmas_f32 v6, v6, v9, v11
	s_delay_alu instid0(VALU_DEP_1)
	v_div_fixup_f32 v1, v6, v5, v1
	s_cbranch_execz .LBB18_7
	s_branch .LBB18_17
.LBB18_6:
                                        ; implicit-def: $vgpr1
	s_and_not1_b32 vcc_lo, exec_lo, s3
	s_cbranch_vccnz .LBB18_17
.LBB18_7:
	v_cmp_eq_u32_e32 vcc_lo, 0, v3
	s_waitcnt lgkmcnt(0)
	v_lshl_add_u32 v0, v2, 3, 0
	v_mov_b32_e32 v1, 0
	s_lshl_b32 s3, s6, 2
	s_delay_alu instid0(SALU_CYCLE_1)
	s_add_i32 s5, s3, 0
	s_set_inst_prefetch_distance 0x1
	.p2align	6
.LBB18_8:                               ; =>This Inner Loop Header: Depth=1
	s_lshr_b32 s7, s6, 1
	s_and_b32 s4, s6, 0xfffe
	v_cmp_le_u32_e64 s3, s7, v2
	v_cmp_gt_u32_e64 s4, s4, v2
	s_delay_alu instid0(VALU_DEP_1) | instskip(NEXT) | instid1(SALU_CYCLE_1)
	s_and_b32 s3, s3, s4
	s_and_b32 s4, vcc_lo, s3
	s_delay_alu instid0(SALU_CYCLE_1)
	s_and_saveexec_b32 s3, s4
	s_cbranch_execz .LBB18_10
; %bb.9:                                ;   in Loop: Header=BB18_8 Depth=1
	v_subrev_nc_u32_e32 v5, s7, v2
	s_delay_alu instid0(VALU_DEP_1)
	v_lshl_add_u32 v6, v5, 3, 0
	v_lshl_add_u32 v5, v5, 2, s5
	ds_store_2addr_b32 v6, v1, v4 offset1:1
	ds_store_b32 v5, v1
.LBB18_10:                              ;   in Loop: Header=BB18_8 Depth=1
	s_or_b32 exec_lo, exec_lo, s3
	v_cmp_gt_u32_e64 s3, s7, v2
	s_waitcnt lgkmcnt(0)
	s_barrier
	buffer_gl0_inv
	s_and_b32 s4, vcc_lo, s3
	s_delay_alu instid0(SALU_CYCLE_1)
	s_and_saveexec_b32 s3, s4
	s_cbranch_execz .LBB18_12
; %bb.11:                               ;   in Loop: Header=BB18_8 Depth=1
	ds_load_b32 v5, v0 offset:4
	s_waitcnt lgkmcnt(0)
	v_add_f32_e32 v4, v4, v5
.LBB18_12:                              ;   in Loop: Header=BB18_8 Depth=1
	s_or_b32 exec_lo, exec_lo, s3
	s_cmp_lt_u32 s6, 4
	s_barrier
	buffer_gl0_inv
	s_cbranch_scc1 .LBB18_14
; %bb.13:                               ;   in Loop: Header=BB18_8 Depth=1
	s_mov_b32 s6, s7
	s_branch .LBB18_8
.LBB18_14:
	s_set_inst_prefetch_distance 0x2
	v_or_b32_e32 v0, v3, v2
	s_mov_b32 s3, exec_lo
	s_delay_alu instid0(VALU_DEP_1)
	v_cmpx_eq_u32_e32 0, v0
	s_cbranch_execz .LBB18_16
; %bb.15:
	v_cvt_f32_i32_e32 v0, s8
	s_delay_alu instid0(VALU_DEP_1) | instskip(SKIP_1) | instid1(VALU_DEP_2)
	v_div_scale_f32 v1, null, v0, v0, v4
	v_div_scale_f32 v5, vcc_lo, v4, v0, v4
	v_rcp_f32_e32 v2, v1
	s_waitcnt_depctr 0xfff
	v_fma_f32 v3, -v1, v2, 1.0
	s_delay_alu instid0(VALU_DEP_1) | instskip(NEXT) | instid1(VALU_DEP_1)
	v_fmac_f32_e32 v2, v3, v2
	v_mul_f32_e32 v3, v5, v2
	s_delay_alu instid0(VALU_DEP_1) | instskip(NEXT) | instid1(VALU_DEP_1)
	v_fma_f32 v6, -v1, v3, v5
	v_fmac_f32_e32 v3, v6, v2
	s_delay_alu instid0(VALU_DEP_1) | instskip(NEXT) | instid1(VALU_DEP_1)
	v_fma_f32 v1, -v1, v3, v5
	v_div_fmas_f32 v1, v1, v2, v3
	s_delay_alu instid0(VALU_DEP_1)
	v_div_fixup_f32 v0, v1, v0, v4
	v_mov_b32_e32 v1, 0
	ds_store_2addr_b32 v1, v1, v0 offset1:1
.LBB18_16:
	s_or_b32 exec_lo, exec_lo, s3
	v_mov_b32_e32 v0, 0
	s_waitcnt lgkmcnt(0)
	s_barrier
	buffer_gl0_inv
	ds_load_2addr_b32 v[0:1], v0 offset1:1
.LBB18_17:
	s_waitcnt lgkmcnt(0)
	s_delay_alu instid0(VALU_DEP_1) | instskip(SKIP_1) | instid1(VALU_DEP_1)
	v_add_f32_e32 v1, s9, v1
	s_load_b128 s[4:7], s[0:1], 0x28
	v_mul_f32_e32 v2, 0x4b800000, v1
	v_cmp_gt_f32_e32 vcc_lo, 0x800000, v1
	s_delay_alu instid0(VALU_DEP_2) | instskip(NEXT) | instid1(VALU_DEP_1)
	v_cndmask_b32_e32 v1, v1, v2, vcc_lo
	v_rsq_f32_e32 v1, v1
	s_waitcnt_depctr 0xfff
	v_mul_f32_e32 v2, 0x45800000, v1
	s_delay_alu instid0(VALU_DEP_1)
	v_cndmask_b32_e32 v9, v1, v2, vcc_lo
	s_and_saveexec_b32 s8, s2
	s_cbranch_execz .LBB18_32
; %bb.18:
	s_load_b128 s[0:3], s[0:1], 0x10
	s_delay_alu instid0(VALU_DEP_1)
	v_dual_mov_b32 v10, v9 :: v_dual_mov_b32 v11, v0
	v_dual_mov_b32 v12, 0 :: v_dual_mov_b32 v13, v7
	s_waitcnt lgkmcnt(0)
	s_cmp_eq_u64 s[0:1], 0
	s_cselect_b32 s9, -1, 0
	s_cmp_eq_u64 s[2:3], 0
	s_cselect_b32 s19, -1, 0
	s_lshl_b64 s[20:21], s[16:17], 1
	v_cndmask_b32_e64 v14, 0, 1, s19
	s_add_u32 s16, s6, s20
	s_addc_u32 s17, s7, s21
	s_ashr_i32 s15, s14, 31
	s_or_b32 s19, s9, s19
	s_lshl_b64 s[6:7], s[14:15], 3
	s_add_u32 s10, s20, s10
	s_addc_u32 s11, s21, s11
	s_add_u32 s10, s10, 4
	s_addc_u32 s11, s11, 0
	;; [unrolled: 2-line block ×3, first 2 shown]
	s_mov_b32 s20, 0
	s_branch .LBB18_20
.LBB18_19:                              ;   in Loop: Header=BB18_20 Depth=1
	v_add_nc_u32_e32 v13, s14, v13
	s_delay_alu instid0(VALU_DEP_3)
	v_cvt_f16_f32_e32 v6, v6
	v_cvt_f16_f32_e32 v5, v5
	;; [unrolled: 1-line block ×4, first 2 shown]
	s_waitcnt vmcnt(0)
	v_add_co_u32 v1, vcc_lo, s16, v8
	v_add_co_ci_u32_e32 v2, vcc_lo, s17, v12, vcc_lo
	v_cmp_le_i32_e32 vcc_lo, s18, v13
	v_add_co_u32 v8, s0, v8, s6
	v_pack_b32_f16 v4, v3, v4
	v_pack_b32_f16 v3, v5, v6
	v_add_co_ci_u32_e64 v12, s0, s7, v12, s0
	s_or_b32 s20, vcc_lo, s20
	global_store_b64 v[1:2], v[3:4], off
	s_and_not1_b32 exec_lo, exec_lo, s20
	s_cbranch_execz .LBB18_32
.LBB18_20:                              ; =>This Inner Loop Header: Depth=1
	v_add_co_u32 v1, vcc_lo, s10, v8
	v_add_co_ci_u32_e32 v2, vcc_lo, s11, v12, vcc_lo
	s_and_b32 vcc_lo, exec_lo, s19
	global_load_b64 v[1:2], v[1:2], off offset:-4
	s_cbranch_vccz .LBB18_24
; %bb.21:                               ;   in Loop: Header=BB18_20 Depth=1
	s_and_b32 vcc_lo, exec_lo, s9
	s_cbranch_vccz .LBB18_25
; %bb.22:                               ;   in Loop: Header=BB18_20 Depth=1
	v_cmp_ne_u32_e32 vcc_lo, 1, v14
	s_cbranch_vccnz .LBB18_26
; %bb.23:                               ;   in Loop: Header=BB18_20 Depth=1
	s_waitcnt vmcnt(0)
	v_lshrrev_b32_e32 v3, 16, v1
	v_lshrrev_b32_e32 v4, 16, v2
	v_cvt_f32_f16_e32 v5, v1
	v_cvt_f32_f16_e32 v6, v2
	s_delay_alu instid0(VALU_DEP_4) | instskip(NEXT) | instid1(VALU_DEP_4)
	v_cvt_f32_f16_e32 v15, v3
	v_cvt_f32_f16_e32 v4, v4
	s_delay_alu instid0(VALU_DEP_4) | instskip(NEXT) | instid1(VALU_DEP_3)
	v_mul_f32_e32 v5, v9, v5
	v_dual_mul_f32 v3, v9, v6 :: v_dual_mul_f32 v6, v10, v15
	s_delay_alu instid0(VALU_DEP_3)
	v_mul_f32_e32 v4, v10, v4
	s_cbranch_execz .LBB18_27
	s_branch .LBB18_28
.LBB18_24:                              ;   in Loop: Header=BB18_20 Depth=1
                                        ; implicit-def: $vgpr3_vgpr4
                                        ; implicit-def: $vgpr5_vgpr6
	s_branch .LBB18_31
.LBB18_25:                              ;   in Loop: Header=BB18_20 Depth=1
                                        ; implicit-def: $vgpr3_vgpr4
                                        ; implicit-def: $vgpr5_vgpr6
	s_branch .LBB18_29
.LBB18_26:                              ;   in Loop: Header=BB18_20 Depth=1
                                        ; implicit-def: $vgpr3_vgpr4
                                        ; implicit-def: $vgpr5_vgpr6
.LBB18_27:                              ;   in Loop: Header=BB18_20 Depth=1
	v_add_co_u32 v3, vcc_lo, s2, v8
	v_add_co_ci_u32_e32 v4, vcc_lo, s3, v12, vcc_lo
	s_waitcnt vmcnt(0)
	v_cvt_f32_f16_e32 v5, v1
	v_cvt_f32_f16_e32 v6, v2
	global_load_b64 v[15:16], v[3:4], off
	v_lshrrev_b32_e32 v3, 16, v1
	v_lshrrev_b32_e32 v4, 16, v2
	v_sub_f32_e32 v17, v6, v0
	s_delay_alu instid0(VALU_DEP_3) | instskip(NEXT) | instid1(VALU_DEP_3)
	v_cvt_f32_f16_e32 v3, v3
	v_cvt_f32_f16_e32 v4, v4
	v_sub_f32_e32 v5, v5, v0
	s_delay_alu instid0(VALU_DEP_3) | instskip(NEXT) | instid1(VALU_DEP_3)
	v_sub_f32_e32 v3, v3, v11
	v_sub_f32_e32 v4, v4, v11
	s_waitcnt vmcnt(0)
	s_delay_alu instid0(VALU_DEP_2) | instskip(SKIP_1) | instid1(VALU_DEP_3)
	v_fma_mix_f32 v6, v10, v3, v15 op_sel:[0,0,1] op_sel_hi:[0,0,1]
	v_fma_mix_f32 v5, v9, v5, v15 op_sel_hi:[0,0,1]
	v_fma_mix_f32 v4, v10, v4, v16 op_sel:[0,0,1] op_sel_hi:[0,0,1]
	v_fma_mix_f32 v3, v9, v17, v16 op_sel_hi:[0,0,1]
.LBB18_28:                              ;   in Loop: Header=BB18_20 Depth=1
	s_cbranch_execnz .LBB18_30
.LBB18_29:                              ;   in Loop: Header=BB18_20 Depth=1
	v_add_co_u32 v3, vcc_lo, s15, v8
	v_add_co_ci_u32_e32 v4, vcc_lo, s1, v12, vcc_lo
	s_waitcnt vmcnt(0)
	v_lshrrev_b32_e32 v5, 16, v1
	v_cvt_f32_f16_e32 v6, v1
	v_lshrrev_b32_e32 v15, 16, v2
	global_load_b64 v[3:4], v[3:4], off offset:-4
	v_cvt_f32_f16_e32 v16, v2
	v_cvt_f32_f16_e32 v5, v5
	v_mul_f32_e32 v6, v9, v6
	v_cvt_f32_f16_e32 v15, v15
	s_delay_alu instid0(VALU_DEP_3) | instskip(NEXT) | instid1(VALU_DEP_2)
	v_dual_mul_f32 v16, v9, v16 :: v_dual_mul_f32 v17, v10, v5
	v_mul_f32_e32 v15, v10, v15
	s_waitcnt vmcnt(0)
	v_lshrrev_b32_e32 v5, 16, v3
	v_lshrrev_b32_e32 v18, 16, v4
	v_cvt_f32_f16_e32 v3, v3
	v_cvt_f32_f16_e32 v4, v4
	s_delay_alu instid0(VALU_DEP_4) | instskip(NEXT) | instid1(VALU_DEP_4)
	v_cvt_f32_f16_e32 v19, v5
	v_cvt_f32_f16_e32 v18, v18
	s_delay_alu instid0(VALU_DEP_4) | instskip(NEXT) | instid1(VALU_DEP_3)
	v_mul_f32_e32 v5, v6, v3
	v_dual_mul_f32 v3, v16, v4 :: v_dual_mul_f32 v6, v17, v19
	s_delay_alu instid0(VALU_DEP_3)
	v_mul_f32_e32 v4, v15, v18
.LBB18_30:                              ;   in Loop: Header=BB18_20 Depth=1
	s_cbranch_execnz .LBB18_19
.LBB18_31:                              ;   in Loop: Header=BB18_20 Depth=1
	v_add_co_u32 v3, vcc_lo, s15, v8
	v_add_co_ci_u32_e32 v4, vcc_lo, s1, v12, vcc_lo
	s_waitcnt vmcnt(0)
	v_lshrrev_b32_e32 v5, 16, v1
	v_lshrrev_b32_e32 v6, 16, v2
	v_cvt_f32_f16_e32 v2, v2
	global_load_b64 v[3:4], v[3:4], off offset:-4
	v_cvt_f32_f16_e32 v1, v1
	v_cvt_f32_f16_e32 v5, v5
	;; [unrolled: 1-line block ×3, first 2 shown]
	s_delay_alu instid0(VALU_DEP_2) | instskip(NEXT) | instid1(VALU_DEP_2)
	v_dual_mul_f32 v2, v9, v2 :: v_dual_mul_f32 v15, v10, v5
	v_mul_f32_e32 v17, v10, v6
	s_waitcnt vmcnt(0)
	v_lshrrev_b32_e32 v5, 16, v3
	v_lshrrev_b32_e32 v16, 16, v4
	v_cvt_f32_f16_e32 v3, v3
	v_cvt_f32_f16_e32 v4, v4
	s_delay_alu instid0(VALU_DEP_4) | instskip(SKIP_2) | instid1(VALU_DEP_2)
	v_cvt_f32_f16_e32 v6, v5
	v_mul_f32_e32 v1, v9, v1
	v_cvt_f32_f16_e32 v16, v16
	v_dual_mul_f32 v6, v15, v6 :: v_dual_mul_f32 v5, v1, v3
	v_mul_f32_e32 v3, v2, v4
	s_delay_alu instid0(VALU_DEP_3)
	v_mul_f32_e32 v4, v17, v16
	s_branch .LBB18_19
.LBB18_32:
	s_or_b32 exec_lo, exec_lo, s8
	s_delay_alu instid0(SALU_CYCLE_1)
	s_mov_b32 s0, exec_lo
	v_cmpx_eq_u32_e32 0, v7
	s_cbranch_execz .LBB18_34
; %bb.33:
	s_lshl_b64 s[0:1], s[12:13], 2
	v_mov_b32_e32 v0, 0
	s_waitcnt lgkmcnt(0)
	s_add_u32 s0, s4, s0
	s_addc_u32 s1, s5, s1
	global_store_b32 v0, v9, s[0:1]
.LBB18_34:
	s_nop 0
	s_sendmsg sendmsg(MSG_DEALLOC_VGPRS)
	s_endpgm
	.section	.rodata,"a",@progbits
	.p2align	6, 0x0
	.amdhsa_kernel _ZN2at6native12_GLOBAL__N_128vectorized_layer_norm_kernelIN3c104HalfEfLb1EEEviT0_PKT_S8_S8_PS5_S9_PS6_
		.amdhsa_group_segment_fixed_size 0
		.amdhsa_private_segment_fixed_size 0
		.amdhsa_kernarg_size 312
		.amdhsa_user_sgpr_count 15
		.amdhsa_user_sgpr_dispatch_ptr 0
		.amdhsa_user_sgpr_queue_ptr 0
		.amdhsa_user_sgpr_kernarg_segment_ptr 1
		.amdhsa_user_sgpr_dispatch_id 0
		.amdhsa_user_sgpr_private_segment_size 0
		.amdhsa_wavefront_size32 1
		.amdhsa_uses_dynamic_stack 0
		.amdhsa_enable_private_segment 0
		.amdhsa_system_sgpr_workgroup_id_x 1
		.amdhsa_system_sgpr_workgroup_id_y 0
		.amdhsa_system_sgpr_workgroup_id_z 0
		.amdhsa_system_sgpr_workgroup_info 0
		.amdhsa_system_vgpr_workitem_id 1
		.amdhsa_next_free_vgpr 20
		.amdhsa_next_free_sgpr 22
		.amdhsa_reserve_vcc 1
		.amdhsa_float_round_mode_32 0
		.amdhsa_float_round_mode_16_64 0
		.amdhsa_float_denorm_mode_32 3
		.amdhsa_float_denorm_mode_16_64 3
		.amdhsa_dx10_clamp 1
		.amdhsa_ieee_mode 1
		.amdhsa_fp16_overflow 0
		.amdhsa_workgroup_processor_mode 1
		.amdhsa_memory_ordered 1
		.amdhsa_forward_progress 0
		.amdhsa_shared_vgpr_count 0
		.amdhsa_exception_fp_ieee_invalid_op 0
		.amdhsa_exception_fp_denorm_src 0
		.amdhsa_exception_fp_ieee_div_zero 0
		.amdhsa_exception_fp_ieee_overflow 0
		.amdhsa_exception_fp_ieee_underflow 0
		.amdhsa_exception_fp_ieee_inexact 0
		.amdhsa_exception_int_div_zero 0
	.end_amdhsa_kernel
	.section	.text._ZN2at6native12_GLOBAL__N_128vectorized_layer_norm_kernelIN3c104HalfEfLb1EEEviT0_PKT_S8_S8_PS5_S9_PS6_,"axG",@progbits,_ZN2at6native12_GLOBAL__N_128vectorized_layer_norm_kernelIN3c104HalfEfLb1EEEviT0_PKT_S8_S8_PS5_S9_PS6_,comdat
.Lfunc_end18:
	.size	_ZN2at6native12_GLOBAL__N_128vectorized_layer_norm_kernelIN3c104HalfEfLb1EEEviT0_PKT_S8_S8_PS5_S9_PS6_, .Lfunc_end18-_ZN2at6native12_GLOBAL__N_128vectorized_layer_norm_kernelIN3c104HalfEfLb1EEEviT0_PKT_S8_S8_PS5_S9_PS6_
                                        ; -- End function
	.section	.AMDGPU.csdata,"",@progbits
; Kernel info:
; codeLenInByte = 1888
; NumSgprs: 24
; NumVgprs: 20
; ScratchSize: 0
; MemoryBound: 0
; FloatMode: 240
; IeeeMode: 1
; LDSByteSize: 0 bytes/workgroup (compile time only)
; SGPRBlocks: 2
; VGPRBlocks: 2
; NumSGPRsForWavesPerEU: 24
; NumVGPRsForWavesPerEU: 20
; Occupancy: 16
; WaveLimiterHint : 0
; COMPUTE_PGM_RSRC2:SCRATCH_EN: 0
; COMPUTE_PGM_RSRC2:USER_SGPR: 15
; COMPUTE_PGM_RSRC2:TRAP_HANDLER: 0
; COMPUTE_PGM_RSRC2:TGID_X_EN: 1
; COMPUTE_PGM_RSRC2:TGID_Y_EN: 0
; COMPUTE_PGM_RSRC2:TGID_Z_EN: 0
; COMPUTE_PGM_RSRC2:TIDIG_COMP_CNT: 1
	.section	.text._ZN2at6native12_GLOBAL__N_124RowwiseMomentsCUDAKernelIN3c104HalfEfLb1EEEvlT0_PKT_PS5_S9_,"axG",@progbits,_ZN2at6native12_GLOBAL__N_124RowwiseMomentsCUDAKernelIN3c104HalfEfLb1EEEvlT0_PKT_PS5_S9_,comdat
	.globl	_ZN2at6native12_GLOBAL__N_124RowwiseMomentsCUDAKernelIN3c104HalfEfLb1EEEvlT0_PKT_PS5_S9_ ; -- Begin function _ZN2at6native12_GLOBAL__N_124RowwiseMomentsCUDAKernelIN3c104HalfEfLb1EEEvlT0_PKT_PS5_S9_
	.p2align	8
	.type	_ZN2at6native12_GLOBAL__N_124RowwiseMomentsCUDAKernelIN3c104HalfEfLb1EEEvlT0_PKT_PS5_S9_,@function
_ZN2at6native12_GLOBAL__N_124RowwiseMomentsCUDAKernelIN3c104HalfEfLb1EEEvlT0_PKT_PS5_S9_: ; @_ZN2at6native12_GLOBAL__N_124RowwiseMomentsCUDAKernelIN3c104HalfEfLb1EEEvlT0_PKT_PS5_S9_
; %bb.0:
	s_load_b64 s[6:7], s[0:1], 0x0
	v_dual_mov_b32 v1, 0 :: v_dual_mov_b32 v4, 0
	v_mov_b32_e32 v5, 0
	s_mov_b32 s4, s15
	s_mov_b32 s5, 0
	s_delay_alu instid0(VALU_DEP_2)
	v_mov_b32_e32 v2, v1
	v_mov_b32_e32 v3, v1
	s_mov_b32 s3, exec_lo
	s_waitcnt lgkmcnt(0)
	v_cmpx_gt_i64_e64 s[6:7], v[0:1]
	s_cbranch_execz .LBB19_4
; %bb.1:
	s_clause 0x1
	s_load_b32 s2, s[0:1], 0x34
	s_load_b64 s[8:9], s[0:1], 0x10
	s_mul_i32 s11, s7, s4
	s_mul_hi_u32 s12, s6, s4
	s_mul_i32 s10, s6, s4
	s_add_i32 s11, s12, s11
	v_dual_mov_b32 v3, 0 :: v_dual_lshlrev_b32 v2, 1, v0
	s_lshl_b64 s[12:13], s[10:11], 1
	v_dual_mov_b32 v7, v1 :: v_dual_mov_b32 v6, v0
	s_waitcnt lgkmcnt(0)
	s_and_b32 s10, s2, 0xffff
	s_add_u32 s2, s8, s12
	s_addc_u32 s8, s9, s13
	v_add_co_u32 v8, s2, s2, v2
	s_delay_alu instid0(VALU_DEP_1)
	v_add_co_ci_u32_e64 v9, null, s8, 0, s2
	v_mov_b32_e32 v2, 0
	s_lshl_b32 s11, s10, 1
	s_mov_b64 s[8:9], 0
	s_mov_b32 s12, s5
.LBB19_2:                               ; =>This Inner Loop Header: Depth=1
	global_load_u16 v1, v[8:9], off
	s_add_u32 s8, s8, 1
	s_addc_u32 s9, s9, 0
	s_delay_alu instid0(SALU_CYCLE_1) | instskip(NEXT) | instid1(SALU_CYCLE_1)
	s_clz_i32_u32 s2, s9
	s_min_u32 s2, s2, 32
	s_delay_alu instid0(SALU_CYCLE_1) | instskip(SKIP_2) | instid1(SALU_CYCLE_1)
	s_lshl_b64 s[14:15], s[8:9], s2
	s_sub_i32 s2, 32, s2
	s_min_u32 s13, s14, 1
	s_or_b32 s13, s15, s13
	s_delay_alu instid0(SALU_CYCLE_1) | instskip(SKIP_2) | instid1(VALU_DEP_2)
	v_cvt_f32_u32_e32 v4, s13
	s_waitcnt vmcnt(0)
	v_cvt_f32_f16_e32 v5, v1
	v_ldexp_f32 v1, v4, s2
	s_delay_alu instid0(VALU_DEP_2) | instskip(NEXT) | instid1(VALU_DEP_1)
	v_sub_f32_e32 v10, v5, v2
	v_div_scale_f32 v4, null, v1, v1, v10
	s_delay_alu instid0(VALU_DEP_1) | instskip(SKIP_2) | instid1(VALU_DEP_1)
	v_rcp_f32_e32 v11, v4
	s_waitcnt_depctr 0xfff
	v_fma_f32 v12, -v4, v11, 1.0
	v_fmac_f32_e32 v11, v12, v11
	v_div_scale_f32 v13, vcc_lo, v10, v1, v10
	s_delay_alu instid0(VALU_DEP_1) | instskip(NEXT) | instid1(VALU_DEP_1)
	v_mul_f32_e32 v12, v13, v11
	v_fma_f32 v14, -v4, v12, v13
	s_delay_alu instid0(VALU_DEP_1) | instskip(NEXT) | instid1(VALU_DEP_1)
	v_fmac_f32_e32 v12, v14, v11
	v_fma_f32 v4, -v4, v12, v13
	s_delay_alu instid0(VALU_DEP_1) | instskip(SKIP_2) | instid1(VALU_DEP_3)
	v_div_fmas_f32 v4, v4, v11, v12
	v_add_co_u32 v6, vcc_lo, v6, s10
	v_add_co_ci_u32_e32 v7, vcc_lo, 0, v7, vcc_lo
	v_div_fixup_f32 v4, v4, v1, v10
	v_add_co_u32 v8, vcc_lo, v8, s11
	s_delay_alu instid0(VALU_DEP_3) | instskip(SKIP_1) | instid1(VALU_DEP_4)
	v_cmp_le_i64_e64 s2, s[6:7], v[6:7]
	v_add_co_ci_u32_e32 v9, vcc_lo, 0, v9, vcc_lo
	v_add_f32_e32 v2, v2, v4
	s_delay_alu instid0(VALU_DEP_3) | instskip(NEXT) | instid1(VALU_DEP_1)
	s_or_b32 s12, s2, s12
	v_dual_sub_f32 v11, v5, v2 :: v_dual_mov_b32 v4, s8
	v_mov_b32_e32 v5, s9
	s_delay_alu instid0(VALU_DEP_2)
	v_fmac_f32_e32 v3, v10, v11
	s_and_not1_b32 exec_lo, exec_lo, s12
	s_cbranch_execnz .LBB19_2
; %bb.3:
	s_or_b32 exec_lo, exec_lo, s12
.LBB19_4:
	s_delay_alu instid0(SALU_CYCLE_1) | instskip(SKIP_2) | instid1(VALU_DEP_1)
	s_or_b32 exec_lo, exec_lo, s3
	v_mbcnt_lo_u32_b32 v12, -1, 0
	s_mov_b32 s2, exec_lo
	v_cmp_gt_u32_e32 vcc_lo, 16, v12
	v_cndmask_b32_e64 v6, 0, 1, vcc_lo
	s_delay_alu instid0(VALU_DEP_1) | instskip(NEXT) | instid1(VALU_DEP_1)
	v_lshlrev_b32_e32 v6, 4, v6
	v_add_lshl_u32 v8, v6, v12, 2
	ds_bpermute_b32 v11, v8, v2
	ds_bpermute_b32 v9, v8, v3
	;; [unrolled: 1-line block ×5, first 2 shown]
	v_cmpx_neq_f32_e32 0, v1
	s_xor_b32 s2, exec_lo, s2
	s_cbranch_execz .LBB19_8
; %bb.5:
	s_mov_b32 s3, exec_lo
	s_waitcnt lgkmcnt(0)
	v_cmpx_neq_f32_e32 0, v10
	s_cbranch_execz .LBB19_7
; %bb.6:
	v_add_f32_e32 v6, v1, v10
	v_sub_f32_e32 v11, v11, v2
	v_add_f32_e32 v3, v3, v9
	s_delay_alu instid0(VALU_DEP_3) | instskip(NEXT) | instid1(VALU_DEP_1)
	v_div_scale_f32 v4, null, v6, v6, v10
	v_rcp_f32_e32 v5, v4
	s_waitcnt_depctr 0xfff
	v_fma_f32 v7, -v4, v5, 1.0
	s_delay_alu instid0(VALU_DEP_1) | instskip(SKIP_1) | instid1(VALU_DEP_1)
	v_fmac_f32_e32 v5, v7, v5
	v_div_scale_f32 v13, vcc_lo, v10, v6, v10
	v_mul_f32_e32 v7, v13, v5
	s_delay_alu instid0(VALU_DEP_1) | instskip(NEXT) | instid1(VALU_DEP_1)
	v_fma_f32 v14, -v4, v7, v13
	v_fmac_f32_e32 v7, v14, v5
	s_delay_alu instid0(VALU_DEP_1) | instskip(NEXT) | instid1(VALU_DEP_1)
	v_fma_f32 v4, -v4, v7, v13
	v_div_fmas_f32 v4, v4, v5, v7
	v_mul_f32_e32 v5, v11, v11
	s_delay_alu instid0(VALU_DEP_2) | instskip(NEXT) | instid1(VALU_DEP_2)
	v_div_fixup_f32 v7, v4, v6, v10
	v_dual_mul_f32 v1, v1, v5 :: v_dual_mov_b32 v4, -1
	s_delay_alu instid0(VALU_DEP_2) | instskip(NEXT) | instid1(VALU_DEP_2)
	v_dual_mov_b32 v5, -1 :: v_dual_fmac_f32 v2, v11, v7
	v_fmac_f32_e32 v3, v1, v7
	v_mov_b32_e32 v1, v6
.LBB19_7:
	s_or_b32 exec_lo, exec_lo, s3
                                        ; implicit-def: $vgpr6
                                        ; implicit-def: $vgpr10
                                        ; implicit-def: $vgpr9
                                        ; implicit-def: $vgpr11
.LBB19_8:
	s_and_not1_saveexec_b32 s2, s2
	s_cbranch_execz .LBB19_10
; %bb.9:
	s_waitcnt lgkmcnt(0)
	v_dual_mov_b32 v1, v10 :: v_dual_mov_b32 v2, v11
	v_dual_mov_b32 v4, v6 :: v_dual_mov_b32 v5, v7
	v_mov_b32_e32 v3, v9
.LBB19_10:
	s_or_b32 exec_lo, exec_lo, s2
	v_cmp_gt_u32_e32 vcc_lo, 24, v12
	s_mov_b32 s2, exec_lo
	s_waitcnt lgkmcnt(2)
	v_cndmask_b32_e64 v6, 0, 1, vcc_lo
	s_delay_alu instid0(VALU_DEP_1) | instskip(NEXT) | instid1(VALU_DEP_1)
	v_lshlrev_b32_e32 v6, 3, v6
	v_add_lshl_u32 v9, v6, v12, 2
	ds_bpermute_b32 v13, v9, v2
	s_waitcnt lgkmcnt(1)
	ds_bpermute_b32 v10, v9, v3
	ds_bpermute_b32 v6, v9, v4
	;; [unrolled: 1-line block ×4, first 2 shown]
	v_cmpx_neq_f32_e32 0, v1
	s_xor_b32 s2, exec_lo, s2
	s_cbranch_execz .LBB19_14
; %bb.11:
	s_mov_b32 s3, exec_lo
	s_waitcnt lgkmcnt(0)
	v_cmpx_neq_f32_e32 0, v11
	s_cbranch_execz .LBB19_13
; %bb.12:
	v_add_f32_e32 v6, v1, v11
	v_sub_f32_e32 v13, v13, v2
	s_delay_alu instid0(VALU_DEP_2) | instskip(NEXT) | instid1(VALU_DEP_1)
	v_div_scale_f32 v4, null, v6, v6, v11
	v_rcp_f32_e32 v5, v4
	s_waitcnt_depctr 0xfff
	v_fma_f32 v7, -v4, v5, 1.0
	s_delay_alu instid0(VALU_DEP_1) | instskip(SKIP_1) | instid1(VALU_DEP_1)
	v_fmac_f32_e32 v5, v7, v5
	v_div_scale_f32 v14, vcc_lo, v11, v6, v11
	v_mul_f32_e32 v7, v14, v5
	s_delay_alu instid0(VALU_DEP_1) | instskip(NEXT) | instid1(VALU_DEP_1)
	v_fma_f32 v15, -v4, v7, v14
	v_fmac_f32_e32 v7, v15, v5
	s_delay_alu instid0(VALU_DEP_1) | instskip(NEXT) | instid1(VALU_DEP_1)
	v_fma_f32 v4, -v4, v7, v14
	v_div_fmas_f32 v4, v4, v5, v7
	v_mul_f32_e32 v5, v13, v13
	s_delay_alu instid0(VALU_DEP_2) | instskip(SKIP_1) | instid1(VALU_DEP_3)
	v_div_fixup_f32 v7, v4, v6, v11
	v_add_f32_e32 v3, v3, v10
	v_dual_mul_f32 v1, v1, v5 :: v_dual_mov_b32 v4, -1
	s_delay_alu instid0(VALU_DEP_3) | instskip(NEXT) | instid1(VALU_DEP_2)
	v_dual_mov_b32 v5, -1 :: v_dual_fmac_f32 v2, v13, v7
	v_fmac_f32_e32 v3, v1, v7
	v_mov_b32_e32 v1, v6
.LBB19_13:
	s_or_b32 exec_lo, exec_lo, s3
                                        ; implicit-def: $vgpr6
                                        ; implicit-def: $vgpr11
                                        ; implicit-def: $vgpr10
                                        ; implicit-def: $vgpr13
.LBB19_14:
	s_and_not1_saveexec_b32 s2, s2
	s_cbranch_execz .LBB19_16
; %bb.15:
	s_waitcnt lgkmcnt(0)
	v_dual_mov_b32 v1, v11 :: v_dual_mov_b32 v4, v6
	v_dual_mov_b32 v5, v7 :: v_dual_mov_b32 v2, v13
	v_mov_b32_e32 v3, v10
.LBB19_16:
	s_or_b32 exec_lo, exec_lo, s2
	v_cmp_gt_u32_e32 vcc_lo, 28, v12
	s_mov_b32 s2, exec_lo
	s_waitcnt lgkmcnt(2)
	v_cndmask_b32_e64 v6, 0, 1, vcc_lo
	s_delay_alu instid0(VALU_DEP_1) | instskip(NEXT) | instid1(VALU_DEP_1)
	v_lshlrev_b32_e32 v6, 2, v6
	v_add_lshl_u32 v10, v6, v12, 2
	ds_bpermute_b32 v14, v10, v2
	s_waitcnt lgkmcnt(1)
	ds_bpermute_b32 v11, v10, v3
	ds_bpermute_b32 v6, v10, v4
	;; [unrolled: 1-line block ×4, first 2 shown]
	v_cmpx_neq_f32_e32 0, v1
	s_xor_b32 s2, exec_lo, s2
	s_cbranch_execz .LBB19_20
; %bb.17:
	s_mov_b32 s3, exec_lo
	s_waitcnt lgkmcnt(0)
	v_cmpx_neq_f32_e32 0, v13
	s_cbranch_execz .LBB19_19
; %bb.18:
	v_dual_sub_f32 v14, v14, v2 :: v_dual_add_f32 v3, v3, v11
	v_add_f32_e32 v6, v1, v13
	s_delay_alu instid0(VALU_DEP_1) | instskip(SKIP_1) | instid1(VALU_DEP_2)
	v_div_scale_f32 v4, null, v6, v6, v13
	v_div_scale_f32 v15, vcc_lo, v13, v6, v13
	v_rcp_f32_e32 v5, v4
	s_waitcnt_depctr 0xfff
	v_fma_f32 v7, -v4, v5, 1.0
	s_delay_alu instid0(VALU_DEP_1) | instskip(NEXT) | instid1(VALU_DEP_1)
	v_fmac_f32_e32 v5, v7, v5
	v_mul_f32_e32 v7, v15, v5
	s_delay_alu instid0(VALU_DEP_1) | instskip(NEXT) | instid1(VALU_DEP_1)
	v_fma_f32 v16, -v4, v7, v15
	v_fmac_f32_e32 v7, v16, v5
	s_delay_alu instid0(VALU_DEP_1) | instskip(NEXT) | instid1(VALU_DEP_1)
	v_fma_f32 v4, -v4, v7, v15
	v_div_fmas_f32 v4, v4, v5, v7
	v_mul_f32_e32 v5, v14, v14
	s_delay_alu instid0(VALU_DEP_2) | instskip(NEXT) | instid1(VALU_DEP_2)
	v_div_fixup_f32 v7, v4, v6, v13
	v_dual_mul_f32 v1, v1, v5 :: v_dual_mov_b32 v4, -1
	s_delay_alu instid0(VALU_DEP_2) | instskip(NEXT) | instid1(VALU_DEP_2)
	v_dual_mov_b32 v5, -1 :: v_dual_fmac_f32 v2, v14, v7
	v_fmac_f32_e32 v3, v1, v7
	v_mov_b32_e32 v1, v6
.LBB19_19:
	s_or_b32 exec_lo, exec_lo, s3
                                        ; implicit-def: $vgpr6
                                        ; implicit-def: $vgpr13
                                        ; implicit-def: $vgpr11
                                        ; implicit-def: $vgpr14
.LBB19_20:
	s_and_not1_saveexec_b32 s2, s2
	s_cbranch_execz .LBB19_22
; %bb.21:
	s_waitcnt lgkmcnt(0)
	v_dual_mov_b32 v1, v13 :: v_dual_mov_b32 v4, v6
	v_dual_mov_b32 v5, v7 :: v_dual_mov_b32 v2, v14
	v_mov_b32_e32 v3, v11
.LBB19_22:
	s_or_b32 exec_lo, exec_lo, s2
	v_cmp_gt_u32_e32 vcc_lo, 30, v12
	s_mov_b32 s2, exec_lo
	s_waitcnt lgkmcnt(2)
	v_cndmask_b32_e64 v6, 0, 1, vcc_lo
	s_delay_alu instid0(VALU_DEP_1) | instskip(NEXT) | instid1(VALU_DEP_1)
	v_lshlrev_b32_e32 v6, 1, v6
	v_add_lshl_u32 v11, v6, v12, 2
	ds_bpermute_b32 v15, v11, v2
	s_waitcnt lgkmcnt(1)
	ds_bpermute_b32 v13, v11, v3
	ds_bpermute_b32 v6, v11, v4
	;; [unrolled: 1-line block ×4, first 2 shown]
	v_cmpx_neq_f32_e32 0, v1
	s_xor_b32 s2, exec_lo, s2
	s_cbranch_execz .LBB19_26
; %bb.23:
	s_mov_b32 s3, exec_lo
	s_waitcnt lgkmcnt(0)
	v_cmpx_neq_f32_e32 0, v14
	s_cbranch_execz .LBB19_25
; %bb.24:
	v_add_f32_e32 v6, v1, v14
	v_sub_f32_e32 v15, v15, v2
	v_add_f32_e32 v3, v3, v13
	s_delay_alu instid0(VALU_DEP_3) | instskip(NEXT) | instid1(VALU_DEP_1)
	v_div_scale_f32 v4, null, v6, v6, v14
	v_rcp_f32_e32 v5, v4
	s_waitcnt_depctr 0xfff
	v_fma_f32 v7, -v4, v5, 1.0
	s_delay_alu instid0(VALU_DEP_1) | instskip(SKIP_1) | instid1(VALU_DEP_1)
	v_fmac_f32_e32 v5, v7, v5
	v_div_scale_f32 v16, vcc_lo, v14, v6, v14
	v_mul_f32_e32 v7, v16, v5
	s_delay_alu instid0(VALU_DEP_1) | instskip(NEXT) | instid1(VALU_DEP_1)
	v_fma_f32 v17, -v4, v7, v16
	v_fmac_f32_e32 v7, v17, v5
	s_delay_alu instid0(VALU_DEP_1) | instskip(NEXT) | instid1(VALU_DEP_1)
	v_fma_f32 v4, -v4, v7, v16
	v_div_fmas_f32 v4, v4, v5, v7
	v_mul_f32_e32 v5, v15, v15
	s_delay_alu instid0(VALU_DEP_2) | instskip(NEXT) | instid1(VALU_DEP_2)
	v_div_fixup_f32 v7, v4, v6, v14
	v_dual_mul_f32 v1, v1, v5 :: v_dual_mov_b32 v4, -1
	s_delay_alu instid0(VALU_DEP_2) | instskip(NEXT) | instid1(VALU_DEP_2)
	v_dual_mov_b32 v5, -1 :: v_dual_fmac_f32 v2, v15, v7
	v_fmac_f32_e32 v3, v1, v7
	v_mov_b32_e32 v1, v6
.LBB19_25:
	s_or_b32 exec_lo, exec_lo, s3
                                        ; implicit-def: $vgpr6
                                        ; implicit-def: $vgpr14
                                        ; implicit-def: $vgpr13
                                        ; implicit-def: $vgpr15
.LBB19_26:
	s_and_not1_saveexec_b32 s2, s2
	s_cbranch_execz .LBB19_28
; %bb.27:
	s_waitcnt lgkmcnt(0)
	v_dual_mov_b32 v1, v14 :: v_dual_mov_b32 v2, v15
	v_dual_mov_b32 v4, v6 :: v_dual_mov_b32 v5, v7
	v_mov_b32_e32 v3, v13
.LBB19_28:
	s_or_b32 exec_lo, exec_lo, s2
	v_cmp_ne_u32_e32 vcc_lo, 31, v12
	s_mov_b32 s2, exec_lo
	s_waitcnt lgkmcnt(2)
	v_add_co_ci_u32_e32 v6, vcc_lo, 0, v12, vcc_lo
	s_delay_alu instid0(VALU_DEP_1)
	v_lshlrev_b32_e32 v12, 2, v6
	ds_bpermute_b32 v15, v12, v2
	ds_bpermute_b32 v13, v12, v3
	;; [unrolled: 1-line block ×3, first 2 shown]
	s_waitcnt lgkmcnt(4)
	ds_bpermute_b32 v7, v12, v5
	s_waitcnt lgkmcnt(4)
	ds_bpermute_b32 v14, v12, v1
	v_cmpx_neq_f32_e32 0, v1
	s_xor_b32 s2, exec_lo, s2
	s_cbranch_execz .LBB19_32
; %bb.29:
	s_mov_b32 s3, exec_lo
	s_waitcnt lgkmcnt(0)
	v_cmpx_neq_f32_e32 0, v14
	s_cbranch_execz .LBB19_31
; %bb.30:
	v_add_f32_e32 v6, v1, v14
	v_sub_f32_e32 v15, v15, v2
	v_add_f32_e32 v3, v3, v13
	s_delay_alu instid0(VALU_DEP_3) | instskip(NEXT) | instid1(VALU_DEP_1)
	v_div_scale_f32 v4, null, v6, v6, v14
	v_rcp_f32_e32 v5, v4
	s_waitcnt_depctr 0xfff
	v_fma_f32 v7, -v4, v5, 1.0
	s_delay_alu instid0(VALU_DEP_1) | instskip(SKIP_1) | instid1(VALU_DEP_1)
	v_fmac_f32_e32 v5, v7, v5
	v_div_scale_f32 v16, vcc_lo, v14, v6, v14
	v_mul_f32_e32 v7, v16, v5
	s_delay_alu instid0(VALU_DEP_1) | instskip(NEXT) | instid1(VALU_DEP_1)
	v_fma_f32 v17, -v4, v7, v16
	v_fmac_f32_e32 v7, v17, v5
	s_delay_alu instid0(VALU_DEP_1) | instskip(NEXT) | instid1(VALU_DEP_1)
	v_fma_f32 v4, -v4, v7, v16
	v_div_fmas_f32 v4, v4, v5, v7
	v_mul_f32_e32 v5, v15, v15
	s_delay_alu instid0(VALU_DEP_2) | instskip(NEXT) | instid1(VALU_DEP_2)
	v_div_fixup_f32 v7, v4, v6, v14
	v_dual_mul_f32 v1, v1, v5 :: v_dual_mov_b32 v4, -1
	s_delay_alu instid0(VALU_DEP_2) | instskip(NEXT) | instid1(VALU_DEP_2)
	v_dual_mov_b32 v5, -1 :: v_dual_fmac_f32 v2, v15, v7
	v_fmac_f32_e32 v3, v1, v7
	v_mov_b32_e32 v1, v6
.LBB19_31:
	s_or_b32 exec_lo, exec_lo, s3
                                        ; implicit-def: $vgpr6
                                        ; implicit-def: $vgpr14
                                        ; implicit-def: $vgpr13
                                        ; implicit-def: $vgpr15
.LBB19_32:
	s_and_not1_saveexec_b32 s2, s2
	s_cbranch_execz .LBB19_34
; %bb.33:
	s_waitcnt lgkmcnt(0)
	v_dual_mov_b32 v1, v14 :: v_dual_mov_b32 v2, v15
	v_dual_mov_b32 v4, v6 :: v_dual_mov_b32 v5, v7
	v_mov_b32_e32 v3, v13
.LBB19_34:
	s_or_b32 exec_lo, exec_lo, s2
	s_waitcnt lgkmcnt(2)
	v_and_b32_e32 v6, 31, v0
	s_mov_b32 s2, exec_lo
	s_waitcnt lgkmcnt(0)
	s_barrier
	buffer_gl0_inv
	v_cmpx_eq_u32_e32 0, v6
	s_cbranch_execz .LBB19_36
; %bb.35:
	v_lshrrev_b32_e32 v7, 5, v0
	s_delay_alu instid0(VALU_DEP_1)
	v_mul_u32_u24_e32 v7, 24, v7
	ds_store_2addr_b64 v7, v[2:3], v[4:5] offset1:1
	ds_store_b32 v7, v1 offset:16
.LBB19_36:
	s_or_b32 exec_lo, exec_lo, s2
	s_waitcnt lgkmcnt(0)
	s_barrier
	buffer_gl0_inv
	s_load_b32 s2, s[0:1], 0x34
	v_mul_u32_u24_e32 v4, 24, v6
	v_dual_mov_b32 v1, 0 :: v_dual_mov_b32 v2, 0
	s_waitcnt lgkmcnt(0)
	s_bfe_u32 s2, s2, 0xb0005
	s_delay_alu instid0(SALU_CYCLE_1)
	v_cmp_gt_u32_e32 vcc_lo, s2, v0
	s_and_saveexec_b32 s2, vcc_lo
	s_cbranch_execnz .LBB19_65
; %bb.37:
	s_or_b32 exec_lo, exec_lo, s2
	s_and_saveexec_b32 s2, vcc_lo
	s_cbranch_execnz .LBB19_66
.LBB19_38:
	s_or_b32 exec_lo, exec_lo, s2
	v_mov_b32_e32 v3, 0
	s_and_saveexec_b32 s2, vcc_lo
	s_cbranch_execz .LBB19_40
.LBB19_39:
	ds_load_b32 v3, v4 offset:16
.LBB19_40:
	s_or_b32 exec_lo, exec_lo, s2
	s_delay_alu instid0(SALU_CYCLE_1)
	s_mov_b32 s2, exec_lo
	v_cmpx_gt_u32_e32 32, v0
	s_cbranch_execz .LBB19_62
; %bb.41:
	s_waitcnt lgkmcnt(0)
	ds_bpermute_b32 v6, v8, v2
	ds_bpermute_b32 v4, v8, v1
	;; [unrolled: 1-line block ×3, first 2 shown]
	s_mov_b32 s3, exec_lo
	v_cmpx_neq_f32_e32 0, v3
	s_cbranch_execz .LBB19_45
; %bb.42:
	s_mov_b32 s6, exec_lo
	s_waitcnt lgkmcnt(0)
	v_cmpx_neq_f32_e32 0, v5
	s_cbranch_execz .LBB19_44
; %bb.43:
	v_dual_add_f32 v7, v3, v5 :: v_dual_sub_f32 v6, v6, v2
	v_add_f32_e32 v1, v1, v4
	s_delay_alu instid0(VALU_DEP_2) | instskip(SKIP_1) | instid1(VALU_DEP_2)
	v_div_scale_f32 v8, null, v7, v7, v5
	v_div_scale_f32 v15, vcc_lo, v5, v7, v5
	v_rcp_f32_e32 v13, v8
	s_waitcnt_depctr 0xfff
	v_fma_f32 v14, -v8, v13, 1.0
	s_delay_alu instid0(VALU_DEP_1) | instskip(NEXT) | instid1(VALU_DEP_1)
	v_fmac_f32_e32 v13, v14, v13
	v_mul_f32_e32 v14, v15, v13
	s_delay_alu instid0(VALU_DEP_1) | instskip(NEXT) | instid1(VALU_DEP_1)
	v_fma_f32 v16, -v8, v14, v15
	v_fmac_f32_e32 v14, v16, v13
	s_delay_alu instid0(VALU_DEP_1) | instskip(NEXT) | instid1(VALU_DEP_1)
	v_fma_f32 v8, -v8, v14, v15
	v_div_fmas_f32 v8, v8, v13, v14
	v_mul_f32_e32 v13, v6, v6
	s_delay_alu instid0(VALU_DEP_2) | instskip(NEXT) | instid1(VALU_DEP_1)
	v_div_fixup_f32 v4, v8, v7, v5
	v_dual_mul_f32 v3, v3, v13 :: v_dual_fmac_f32 v2, v6, v4
	s_delay_alu instid0(VALU_DEP_1)
	v_fmac_f32_e32 v1, v3, v4
	v_mov_b32_e32 v3, v7
.LBB19_44:
	s_or_b32 exec_lo, exec_lo, s6
	s_delay_alu instid0(VALU_DEP_1)
	v_dual_mov_b32 v5, v3 :: v_dual_mov_b32 v4, v1
	v_mov_b32_e32 v6, v2
.LBB19_45:
	s_or_b32 exec_lo, exec_lo, s3
	s_waitcnt lgkmcnt(2)
	ds_bpermute_b32 v7, v9, v6
	s_waitcnt lgkmcnt(2)
	ds_bpermute_b32 v1, v9, v4
	;; [unrolled: 2-line block ×3, first 2 shown]
	s_mov_b32 s3, exec_lo
	v_cmpx_neq_f32_e32 0, v5
	s_cbranch_execz .LBB19_49
; %bb.46:
	s_mov_b32 s6, exec_lo
	s_waitcnt lgkmcnt(0)
	v_cmpx_neq_f32_e32 0, v3
	s_cbranch_execz .LBB19_48
; %bb.47:
	v_dual_add_f32 v2, v5, v3 :: v_dual_sub_f32 v7, v7, v6
	v_add_f32_e32 v4, v4, v1
	s_delay_alu instid0(VALU_DEP_2) | instskip(SKIP_1) | instid1(VALU_DEP_2)
	v_div_scale_f32 v8, null, v2, v2, v3
	v_div_scale_f32 v14, vcc_lo, v3, v2, v3
	v_rcp_f32_e32 v9, v8
	s_waitcnt_depctr 0xfff
	v_fma_f32 v13, -v8, v9, 1.0
	s_delay_alu instid0(VALU_DEP_1) | instskip(NEXT) | instid1(VALU_DEP_1)
	v_fmac_f32_e32 v9, v13, v9
	v_mul_f32_e32 v13, v14, v9
	s_delay_alu instid0(VALU_DEP_1) | instskip(NEXT) | instid1(VALU_DEP_1)
	v_fma_f32 v15, -v8, v13, v14
	v_fmac_f32_e32 v13, v15, v9
	s_delay_alu instid0(VALU_DEP_1) | instskip(NEXT) | instid1(VALU_DEP_1)
	v_fma_f32 v8, -v8, v13, v14
	v_div_fmas_f32 v8, v8, v9, v13
	v_mul_f32_e32 v9, v7, v7
	s_delay_alu instid0(VALU_DEP_2) | instskip(NEXT) | instid1(VALU_DEP_2)
	v_div_fixup_f32 v1, v8, v2, v3
	v_mul_f32_e32 v3, v5, v9
	s_delay_alu instid0(VALU_DEP_2) | instskip(NEXT) | instid1(VALU_DEP_2)
	v_dual_mov_b32 v5, v2 :: v_dual_fmac_f32 v6, v7, v1
	v_fmac_f32_e32 v4, v3, v1
.LBB19_48:
	s_or_b32 exec_lo, exec_lo, s6
	s_delay_alu instid0(VALU_DEP_2) | instskip(NEXT) | instid1(VALU_DEP_2)
	v_mov_b32_e32 v3, v5
	v_mov_b32_e32 v1, v4
	;; [unrolled: 1-line block ×3, first 2 shown]
.LBB19_49:
	s_or_b32 exec_lo, exec_lo, s3
	s_waitcnt lgkmcnt(2)
	ds_bpermute_b32 v8, v10, v7
	s_waitcnt lgkmcnt(2)
	ds_bpermute_b32 v2, v10, v1
	;; [unrolled: 2-line block ×3, first 2 shown]
	s_mov_b32 s3, exec_lo
	v_cmpx_neq_f32_e32 0, v3
	s_cbranch_execz .LBB19_53
; %bb.50:
	s_mov_b32 s6, exec_lo
	s_waitcnt lgkmcnt(0)
	v_cmpx_neq_f32_e32 0, v6
	s_cbranch_execz .LBB19_52
; %bb.51:
	v_add_f32_e32 v4, v3, v6
	v_dual_sub_f32 v8, v8, v7 :: v_dual_add_f32 v1, v1, v2
	s_delay_alu instid0(VALU_DEP_2) | instskip(NEXT) | instid1(VALU_DEP_1)
	v_div_scale_f32 v5, null, v4, v4, v6
	v_rcp_f32_e32 v9, v5
	s_waitcnt_depctr 0xfff
	v_fma_f32 v10, -v5, v9, 1.0
	s_delay_alu instid0(VALU_DEP_1) | instskip(SKIP_1) | instid1(VALU_DEP_1)
	v_fmac_f32_e32 v9, v10, v9
	v_div_scale_f32 v13, vcc_lo, v6, v4, v6
	v_mul_f32_e32 v10, v13, v9
	s_delay_alu instid0(VALU_DEP_1) | instskip(NEXT) | instid1(VALU_DEP_1)
	v_fma_f32 v14, -v5, v10, v13
	v_fmac_f32_e32 v10, v14, v9
	s_delay_alu instid0(VALU_DEP_1) | instskip(NEXT) | instid1(VALU_DEP_1)
	v_fma_f32 v5, -v5, v10, v13
	v_div_fmas_f32 v5, v5, v9, v10
	v_mul_f32_e32 v9, v8, v8
	s_delay_alu instid0(VALU_DEP_2) | instskip(NEXT) | instid1(VALU_DEP_2)
	v_div_fixup_f32 v2, v5, v4, v6
	v_mul_f32_e32 v3, v3, v9
	s_delay_alu instid0(VALU_DEP_2) | instskip(NEXT) | instid1(VALU_DEP_2)
	v_fmac_f32_e32 v7, v8, v2
	v_fmac_f32_e32 v1, v3, v2
	v_mov_b32_e32 v3, v4
.LBB19_52:
	s_or_b32 exec_lo, exec_lo, s6
	s_delay_alu instid0(VALU_DEP_1) | instskip(NEXT) | instid1(VALU_DEP_3)
	v_mov_b32_e32 v6, v3
	v_mov_b32_e32 v2, v1
	;; [unrolled: 1-line block ×3, first 2 shown]
.LBB19_53:
	s_or_b32 exec_lo, exec_lo, s3
	s_waitcnt lgkmcnt(2)
	ds_bpermute_b32 v7, v11, v8
	s_waitcnt lgkmcnt(2)
	ds_bpermute_b32 v4, v11, v2
	;; [unrolled: 2-line block ×3, first 2 shown]
	s_mov_b32 s3, exec_lo
	v_cmpx_neq_f32_e32 0, v6
	s_cbranch_execz .LBB19_57
; %bb.54:
	s_mov_b32 s6, exec_lo
	s_waitcnt lgkmcnt(0)
	v_cmpx_neq_f32_e32 0, v5
	s_cbranch_execz .LBB19_56
; %bb.55:
	v_sub_f32_e32 v7, v7, v8
	v_add_f32_e32 v1, v6, v5
	v_add_f32_e32 v2, v2, v4
	s_delay_alu instid0(VALU_DEP_2) | instskip(SKIP_1) | instid1(VALU_DEP_2)
	v_div_scale_f32 v3, null, v1, v1, v5
	v_div_scale_f32 v11, vcc_lo, v5, v1, v5
	v_rcp_f32_e32 v9, v3
	s_waitcnt_depctr 0xfff
	v_fma_f32 v10, -v3, v9, 1.0
	s_delay_alu instid0(VALU_DEP_1) | instskip(NEXT) | instid1(VALU_DEP_1)
	v_fmac_f32_e32 v9, v10, v9
	v_mul_f32_e32 v10, v11, v9
	s_delay_alu instid0(VALU_DEP_1) | instskip(NEXT) | instid1(VALU_DEP_1)
	v_fma_f32 v13, -v3, v10, v11
	v_fmac_f32_e32 v10, v13, v9
	s_delay_alu instid0(VALU_DEP_1) | instskip(NEXT) | instid1(VALU_DEP_1)
	v_fma_f32 v3, -v3, v10, v11
	v_div_fmas_f32 v3, v3, v9, v10
	v_mul_f32_e32 v9, v7, v7
	s_delay_alu instid0(VALU_DEP_2) | instskip(NEXT) | instid1(VALU_DEP_2)
	v_div_fixup_f32 v3, v3, v1, v5
	v_mul_f32_e32 v4, v6, v9
	s_delay_alu instid0(VALU_DEP_2) | instskip(NEXT) | instid1(VALU_DEP_2)
	v_fmac_f32_e32 v8, v7, v3
	v_fmac_f32_e32 v2, v4, v3
	v_mov_b32_e32 v6, v1
.LBB19_56:
	s_or_b32 exec_lo, exec_lo, s6
	s_delay_alu instid0(VALU_DEP_1) | instskip(NEXT) | instid1(VALU_DEP_3)
	v_mov_b32_e32 v5, v6
	v_dual_mov_b32 v4, v2 :: v_dual_mov_b32 v7, v8
.LBB19_57:
	s_or_b32 exec_lo, exec_lo, s3
	s_waitcnt lgkmcnt(2)
	ds_bpermute_b32 v2, v12, v7
	s_waitcnt lgkmcnt(2)
	ds_bpermute_b32 v1, v12, v4
	;; [unrolled: 2-line block ×3, first 2 shown]
	s_mov_b32 s3, exec_lo
	v_cmpx_neq_f32_e32 0, v5
	s_cbranch_execz .LBB19_61
; %bb.58:
	s_mov_b32 s6, exec_lo
	s_waitcnt lgkmcnt(0)
	v_cmpx_neq_f32_e32 0, v3
	s_cbranch_execz .LBB19_60
; %bb.59:
	v_add_f32_e32 v6, v5, v3
	v_sub_f32_e32 v2, v2, v7
	v_add_f32_e32 v4, v4, v1
	s_delay_alu instid0(VALU_DEP_3) | instskip(NEXT) | instid1(VALU_DEP_1)
	v_div_scale_f32 v8, null, v6, v6, v3
	v_rcp_f32_e32 v9, v8
	s_waitcnt_depctr 0xfff
	v_fma_f32 v10, -v8, v9, 1.0
	s_delay_alu instid0(VALU_DEP_1) | instskip(SKIP_1) | instid1(VALU_DEP_1)
	v_fmac_f32_e32 v9, v10, v9
	v_div_scale_f32 v11, vcc_lo, v3, v6, v3
	v_mul_f32_e32 v10, v11, v9
	s_delay_alu instid0(VALU_DEP_1) | instskip(NEXT) | instid1(VALU_DEP_1)
	v_fma_f32 v12, -v8, v10, v11
	v_fmac_f32_e32 v10, v12, v9
	s_delay_alu instid0(VALU_DEP_1) | instskip(NEXT) | instid1(VALU_DEP_1)
	v_fma_f32 v8, -v8, v10, v11
	v_div_fmas_f32 v8, v8, v9, v10
	v_mul_f32_e32 v9, v2, v2
	s_delay_alu instid0(VALU_DEP_2) | instskip(NEXT) | instid1(VALU_DEP_2)
	v_div_fixup_f32 v1, v8, v6, v3
	v_mul_f32_e32 v3, v5, v9
	v_mov_b32_e32 v5, v6
	s_delay_alu instid0(VALU_DEP_3) | instskip(NEXT) | instid1(VALU_DEP_3)
	v_fmac_f32_e32 v7, v2, v1
	v_fmac_f32_e32 v4, v3, v1
.LBB19_60:
	s_or_b32 exec_lo, exec_lo, s6
	s_delay_alu instid0(VALU_DEP_2) | instskip(NEXT) | instid1(VALU_DEP_2)
	v_dual_mov_b32 v3, v5 :: v_dual_mov_b32 v2, v7
	v_mov_b32_e32 v1, v4
.LBB19_61:
	s_or_b32 exec_lo, exec_lo, s3
.LBB19_62:
	s_delay_alu instid0(SALU_CYCLE_1) | instskip(NEXT) | instid1(SALU_CYCLE_1)
	s_or_b32 exec_lo, exec_lo, s2
	s_mov_b32 s2, exec_lo
	v_cmpx_eq_u32_e32 0, v0
	s_cbranch_execz .LBB19_64
; %bb.63:
	s_waitcnt lgkmcnt(0)
	v_max_f32_e32 v0, v3, v3
	s_clause 0x1
	s_load_b32 s2, s[0:1], 0x8
	s_load_b64 s[0:1], s[0:1], 0x20
	s_delay_alu instid0(VALU_DEP_1) | instskip(NEXT) | instid1(VALU_DEP_1)
	v_max_f32_e32 v0, 0, v0
	v_div_scale_f32 v3, null, v0, v0, v1
	v_div_scale_f32 v6, vcc_lo, v1, v0, v1
	s_delay_alu instid0(VALU_DEP_2) | instskip(SKIP_2) | instid1(VALU_DEP_1)
	v_rcp_f32_e32 v4, v3
	s_waitcnt_depctr 0xfff
	v_fma_f32 v5, -v3, v4, 1.0
	v_fmac_f32_e32 v4, v5, v4
	s_delay_alu instid0(VALU_DEP_1) | instskip(NEXT) | instid1(VALU_DEP_1)
	v_mul_f32_e32 v5, v6, v4
	v_fma_f32 v7, -v3, v5, v6
	s_delay_alu instid0(VALU_DEP_1) | instskip(NEXT) | instid1(VALU_DEP_1)
	v_fmac_f32_e32 v5, v7, v4
	v_fma_f32 v3, -v3, v5, v6
	s_delay_alu instid0(VALU_DEP_1) | instskip(NEXT) | instid1(VALU_DEP_1)
	v_div_fmas_f32 v3, v3, v4, v5
	v_div_fixup_f32 v0, v3, v0, v1
	s_delay_alu instid0(VALU_DEP_1) | instskip(SKIP_1) | instid1(VALU_DEP_1)
	v_fmac_f32_e32 v0, v2, v2
	s_waitcnt lgkmcnt(0)
	v_add_f32_e32 v0, s2, v0
	s_lshl_b64 s[2:3], s[4:5], 2
	s_delay_alu instid0(SALU_CYCLE_1) | instskip(SKIP_1) | instid1(VALU_DEP_1)
	s_add_u32 s0, s0, s2
	s_addc_u32 s1, s1, s3
	v_mul_f32_e32 v1, 0x4b800000, v0
	v_cmp_gt_f32_e32 vcc_lo, 0x800000, v0
	s_delay_alu instid0(VALU_DEP_2) | instskip(NEXT) | instid1(VALU_DEP_1)
	v_cndmask_b32_e32 v0, v0, v1, vcc_lo
	v_rsq_f32_e32 v0, v0
	s_waitcnt_depctr 0xfff
	v_mul_f32_e32 v1, 0x45800000, v0
	s_delay_alu instid0(VALU_DEP_1)
	v_dual_cndmask_b32 v0, v0, v1 :: v_dual_mov_b32 v1, 0
	global_store_b32 v1, v0, s[0:1]
.LBB19_64:
	s_nop 0
	s_sendmsg sendmsg(MSG_DEALLOC_VGPRS)
	s_endpgm
.LBB19_65:
	ds_load_b32 v2, v4
	s_or_b32 exec_lo, exec_lo, s2
	s_and_saveexec_b32 s2, vcc_lo
	s_cbranch_execz .LBB19_38
.LBB19_66:
	ds_load_b32 v1, v4 offset:4
	s_or_b32 exec_lo, exec_lo, s2
	v_mov_b32_e32 v3, 0
	s_and_saveexec_b32 s2, vcc_lo
	s_cbranch_execnz .LBB19_39
	s_branch .LBB19_40
	.section	.rodata,"a",@progbits
	.p2align	6, 0x0
	.amdhsa_kernel _ZN2at6native12_GLOBAL__N_124RowwiseMomentsCUDAKernelIN3c104HalfEfLb1EEEvlT0_PKT_PS5_S9_
		.amdhsa_group_segment_fixed_size 768
		.amdhsa_private_segment_fixed_size 0
		.amdhsa_kernarg_size 296
		.amdhsa_user_sgpr_count 15
		.amdhsa_user_sgpr_dispatch_ptr 0
		.amdhsa_user_sgpr_queue_ptr 0
		.amdhsa_user_sgpr_kernarg_segment_ptr 1
		.amdhsa_user_sgpr_dispatch_id 0
		.amdhsa_user_sgpr_private_segment_size 0
		.amdhsa_wavefront_size32 1
		.amdhsa_uses_dynamic_stack 0
		.amdhsa_enable_private_segment 0
		.amdhsa_system_sgpr_workgroup_id_x 1
		.amdhsa_system_sgpr_workgroup_id_y 0
		.amdhsa_system_sgpr_workgroup_id_z 0
		.amdhsa_system_sgpr_workgroup_info 0
		.amdhsa_system_vgpr_workitem_id 0
		.amdhsa_next_free_vgpr 18
		.amdhsa_next_free_sgpr 16
		.amdhsa_reserve_vcc 1
		.amdhsa_float_round_mode_32 0
		.amdhsa_float_round_mode_16_64 0
		.amdhsa_float_denorm_mode_32 3
		.amdhsa_float_denorm_mode_16_64 3
		.amdhsa_dx10_clamp 1
		.amdhsa_ieee_mode 1
		.amdhsa_fp16_overflow 0
		.amdhsa_workgroup_processor_mode 1
		.amdhsa_memory_ordered 1
		.amdhsa_forward_progress 0
		.amdhsa_shared_vgpr_count 0
		.amdhsa_exception_fp_ieee_invalid_op 0
		.amdhsa_exception_fp_denorm_src 0
		.amdhsa_exception_fp_ieee_div_zero 0
		.amdhsa_exception_fp_ieee_overflow 0
		.amdhsa_exception_fp_ieee_underflow 0
		.amdhsa_exception_fp_ieee_inexact 0
		.amdhsa_exception_int_div_zero 0
	.end_amdhsa_kernel
	.section	.text._ZN2at6native12_GLOBAL__N_124RowwiseMomentsCUDAKernelIN3c104HalfEfLb1EEEvlT0_PKT_PS5_S9_,"axG",@progbits,_ZN2at6native12_GLOBAL__N_124RowwiseMomentsCUDAKernelIN3c104HalfEfLb1EEEvlT0_PKT_PS5_S9_,comdat
.Lfunc_end19:
	.size	_ZN2at6native12_GLOBAL__N_124RowwiseMomentsCUDAKernelIN3c104HalfEfLb1EEEvlT0_PKT_PS5_S9_, .Lfunc_end19-_ZN2at6native12_GLOBAL__N_124RowwiseMomentsCUDAKernelIN3c104HalfEfLb1EEEvlT0_PKT_PS5_S9_
                                        ; -- End function
	.section	.AMDGPU.csdata,"",@progbits
; Kernel info:
; codeLenInByte = 3444
; NumSgprs: 18
; NumVgprs: 18
; ScratchSize: 0
; MemoryBound: 0
; FloatMode: 240
; IeeeMode: 1
; LDSByteSize: 768 bytes/workgroup (compile time only)
; SGPRBlocks: 2
; VGPRBlocks: 2
; NumSGPRsForWavesPerEU: 18
; NumVGPRsForWavesPerEU: 18
; Occupancy: 16
; WaveLimiterHint : 0
; COMPUTE_PGM_RSRC2:SCRATCH_EN: 0
; COMPUTE_PGM_RSRC2:USER_SGPR: 15
; COMPUTE_PGM_RSRC2:TRAP_HANDLER: 0
; COMPUTE_PGM_RSRC2:TGID_X_EN: 1
; COMPUTE_PGM_RSRC2:TGID_Y_EN: 0
; COMPUTE_PGM_RSRC2:TGID_Z_EN: 0
; COMPUTE_PGM_RSRC2:TIDIG_COMP_CNT: 0
	.section	.text._ZN2at6native12_GLOBAL__N_126LayerNormForwardCUDAKernelIN3c104HalfEfLb1EEEvlPKT_PKT0_SA_S7_S7_PS5_,"axG",@progbits,_ZN2at6native12_GLOBAL__N_126LayerNormForwardCUDAKernelIN3c104HalfEfLb1EEEvlPKT_PKT0_SA_S7_S7_PS5_,comdat
	.globl	_ZN2at6native12_GLOBAL__N_126LayerNormForwardCUDAKernelIN3c104HalfEfLb1EEEvlPKT_PKT0_SA_S7_S7_PS5_ ; -- Begin function _ZN2at6native12_GLOBAL__N_126LayerNormForwardCUDAKernelIN3c104HalfEfLb1EEEvlPKT_PKT0_SA_S7_S7_PS5_
	.p2align	8
	.type	_ZN2at6native12_GLOBAL__N_126LayerNormForwardCUDAKernelIN3c104HalfEfLb1EEEvlPKT_PKT0_SA_S7_S7_PS5_,@function
_ZN2at6native12_GLOBAL__N_126LayerNormForwardCUDAKernelIN3c104HalfEfLb1EEEvlPKT_PKT0_SA_S7_S7_PS5_: ; @_ZN2at6native12_GLOBAL__N_126LayerNormForwardCUDAKernelIN3c104HalfEfLb1EEEvlPKT_PKT0_SA_S7_S7_PS5_
; %bb.0:
	s_load_b128 s[4:7], s[0:1], 0x0
	v_mov_b32_e32 v1, 0
	s_mov_b32 s3, exec_lo
	s_waitcnt lgkmcnt(0)
	s_delay_alu instid0(VALU_DEP_1)
	v_cmpx_gt_i64_e64 s[4:5], v[0:1]
	s_cbranch_execz .LBB20_6
; %bb.1:
	s_clause 0x2
	s_load_b128 s[8:11], s[0:1], 0x18
	s_load_b32 s16, s[0:1], 0x44
	s_load_b64 s[12:13], s[0:1], 0x30
	s_mov_b32 s2, s15
	s_mov_b32 s3, 0
	s_mul_i32 s0, s5, s2
	v_dual_mov_b32 v3, v1 :: v_dual_lshlrev_b32 v2, 1, v0
	s_waitcnt lgkmcnt(0)
	s_cmp_lg_u64 s[10:11], 0
	s_cselect_b32 s1, -1, 0
	s_lshl_b64 s[14:15], s[2:3], 2
	s_delay_alu instid0(SALU_CYCLE_1)
	s_add_u32 s8, s8, s14
	s_addc_u32 s9, s9, s15
	s_mul_i32 s14, s4, s2
	s_load_b32 s8, s[8:9], 0x0
	s_mul_hi_u32 s9, s4, s2
	s_and_b32 s2, s16, 0xffff
	s_add_i32 s15, s9, s0
	s_delay_alu instid0(SALU_CYCLE_1) | instskip(NEXT) | instid1(SALU_CYCLE_1)
	s_lshl_b64 s[14:15], s[14:15], 1
	s_add_u32 s6, s6, s14
	s_addc_u32 s7, s7, s15
	s_lshl_b32 s9, s2, 1
	s_add_u32 s12, s12, s14
	s_addc_u32 s13, s13, s15
	s_set_inst_prefetch_distance 0x1
	s_branch .LBB20_4
	.p2align	6
.LBB20_2:                               ;   in Loop: Header=BB20_4 Depth=1
	v_add_co_u32 v4, vcc_lo, s10, v2
	v_add_co_ci_u32_e32 v5, vcc_lo, s11, v3, vcc_lo
	global_load_u16 v4, v[4:5], off
	s_waitcnt vmcnt(0)
	v_cvt_f32_f16_e32 v4, v4
.LBB20_3:                               ;   in Loop: Header=BB20_4 Depth=1
	v_add_co_u32 v5, vcc_lo, s6, v2
	v_add_co_ci_u32_e32 v6, vcc_lo, s7, v3, vcc_lo
	v_add_co_u32 v0, vcc_lo, v0, s2
	v_add_co_ci_u32_e32 v1, vcc_lo, 0, v1, vcc_lo
	global_load_u16 v5, v[5:6], off
	s_waitcnt vmcnt(0)
	v_cvt_f32_f16_e32 v5, v5
	s_waitcnt lgkmcnt(0)
	s_delay_alu instid0(VALU_DEP_1)
	v_mul_f32_e32 v7, s8, v5
	v_add_co_u32 v5, vcc_lo, s12, v2
	v_add_co_ci_u32_e32 v6, vcc_lo, s13, v3, vcc_lo
	v_cmp_le_i64_e32 vcc_lo, s[4:5], v[0:1]
	v_add_co_u32 v2, s0, v2, s9
	v_fma_mixlo_f16 v4, v4, v7, 0
	v_add_co_ci_u32_e64 v3, s0, 0, v3, s0
	s_or_b32 s3, vcc_lo, s3
	global_store_b16 v[5:6], v4, off
	s_and_not1_b32 exec_lo, exec_lo, s3
	s_cbranch_execz .LBB20_6
.LBB20_4:                               ; =>This Inner Loop Header: Depth=1
	s_and_not1_b32 vcc_lo, exec_lo, s1
	s_cbranch_vccz .LBB20_2
; %bb.5:                                ;   in Loop: Header=BB20_4 Depth=1
	v_mov_b32_e32 v4, 1.0
	s_branch .LBB20_3
.LBB20_6:
	s_set_inst_prefetch_distance 0x2
	s_nop 0
	s_sendmsg sendmsg(MSG_DEALLOC_VGPRS)
	s_endpgm
	.section	.rodata,"a",@progbits
	.p2align	6, 0x0
	.amdhsa_kernel _ZN2at6native12_GLOBAL__N_126LayerNormForwardCUDAKernelIN3c104HalfEfLb1EEEvlPKT_PKT0_SA_S7_S7_PS5_
		.amdhsa_group_segment_fixed_size 0
		.amdhsa_private_segment_fixed_size 0
		.amdhsa_kernarg_size 312
		.amdhsa_user_sgpr_count 15
		.amdhsa_user_sgpr_dispatch_ptr 0
		.amdhsa_user_sgpr_queue_ptr 0
		.amdhsa_user_sgpr_kernarg_segment_ptr 1
		.amdhsa_user_sgpr_dispatch_id 0
		.amdhsa_user_sgpr_private_segment_size 0
		.amdhsa_wavefront_size32 1
		.amdhsa_uses_dynamic_stack 0
		.amdhsa_enable_private_segment 0
		.amdhsa_system_sgpr_workgroup_id_x 1
		.amdhsa_system_sgpr_workgroup_id_y 0
		.amdhsa_system_sgpr_workgroup_id_z 0
		.amdhsa_system_sgpr_workgroup_info 0
		.amdhsa_system_vgpr_workitem_id 0
		.amdhsa_next_free_vgpr 8
		.amdhsa_next_free_sgpr 17
		.amdhsa_reserve_vcc 1
		.amdhsa_float_round_mode_32 0
		.amdhsa_float_round_mode_16_64 0
		.amdhsa_float_denorm_mode_32 3
		.amdhsa_float_denorm_mode_16_64 3
		.amdhsa_dx10_clamp 1
		.amdhsa_ieee_mode 1
		.amdhsa_fp16_overflow 0
		.amdhsa_workgroup_processor_mode 1
		.amdhsa_memory_ordered 1
		.amdhsa_forward_progress 0
		.amdhsa_shared_vgpr_count 0
		.amdhsa_exception_fp_ieee_invalid_op 0
		.amdhsa_exception_fp_denorm_src 0
		.amdhsa_exception_fp_ieee_div_zero 0
		.amdhsa_exception_fp_ieee_overflow 0
		.amdhsa_exception_fp_ieee_underflow 0
		.amdhsa_exception_fp_ieee_inexact 0
		.amdhsa_exception_int_div_zero 0
	.end_amdhsa_kernel
	.section	.text._ZN2at6native12_GLOBAL__N_126LayerNormForwardCUDAKernelIN3c104HalfEfLb1EEEvlPKT_PKT0_SA_S7_S7_PS5_,"axG",@progbits,_ZN2at6native12_GLOBAL__N_126LayerNormForwardCUDAKernelIN3c104HalfEfLb1EEEvlPKT_PKT0_SA_S7_S7_PS5_,comdat
.Lfunc_end20:
	.size	_ZN2at6native12_GLOBAL__N_126LayerNormForwardCUDAKernelIN3c104HalfEfLb1EEEvlPKT_PKT0_SA_S7_S7_PS5_, .Lfunc_end20-_ZN2at6native12_GLOBAL__N_126LayerNormForwardCUDAKernelIN3c104HalfEfLb1EEEvlPKT_PKT0_SA_S7_S7_PS5_
                                        ; -- End function
	.section	.AMDGPU.csdata,"",@progbits
; Kernel info:
; codeLenInByte = 348
; NumSgprs: 19
; NumVgprs: 8
; ScratchSize: 0
; MemoryBound: 0
; FloatMode: 240
; IeeeMode: 1
; LDSByteSize: 0 bytes/workgroup (compile time only)
; SGPRBlocks: 2
; VGPRBlocks: 0
; NumSGPRsForWavesPerEU: 19
; NumVGPRsForWavesPerEU: 8
; Occupancy: 16
; WaveLimiterHint : 0
; COMPUTE_PGM_RSRC2:SCRATCH_EN: 0
; COMPUTE_PGM_RSRC2:USER_SGPR: 15
; COMPUTE_PGM_RSRC2:TRAP_HANDLER: 0
; COMPUTE_PGM_RSRC2:TGID_X_EN: 1
; COMPUTE_PGM_RSRC2:TGID_Y_EN: 0
; COMPUTE_PGM_RSRC2:TGID_Z_EN: 0
; COMPUTE_PGM_RSRC2:TIDIG_COMP_CNT: 0
	.section	.text._ZN2at6native12_GLOBAL__N_128vectorized_layer_norm_kernelIN3c108BFloat16EfLb1EEEviT0_PKT_S8_S8_PS5_S9_PS6_,"axG",@progbits,_ZN2at6native12_GLOBAL__N_128vectorized_layer_norm_kernelIN3c108BFloat16EfLb1EEEviT0_PKT_S8_S8_PS5_S9_PS6_,comdat
	.globl	_ZN2at6native12_GLOBAL__N_128vectorized_layer_norm_kernelIN3c108BFloat16EfLb1EEEviT0_PKT_S8_S8_PS5_S9_PS6_ ; -- Begin function _ZN2at6native12_GLOBAL__N_128vectorized_layer_norm_kernelIN3c108BFloat16EfLb1EEEviT0_PKT_S8_S8_PS5_S9_PS6_
	.p2align	8
	.type	_ZN2at6native12_GLOBAL__N_128vectorized_layer_norm_kernelIN3c108BFloat16EfLb1EEEviT0_PKT_S8_S8_PS5_S9_PS6_,@function
_ZN2at6native12_GLOBAL__N_128vectorized_layer_norm_kernelIN3c108BFloat16EfLb1EEEviT0_PKT_S8_S8_PS5_S9_PS6_: ; @_ZN2at6native12_GLOBAL__N_128vectorized_layer_norm_kernelIN3c108BFloat16EfLb1EEEviT0_PKT_S8_S8_PS5_S9_PS6_
; %bb.0:
	s_clause 0x1
	s_load_b128 s[8:11], s[0:1], 0x0
	s_load_b32 s3, s[0:1], 0x44
	v_dual_mov_b32 v4, 0 :: v_dual_and_b32 v3, 0x3ff, v0
	v_bfe_u32 v2, v0, 10, 10
	s_mov_b32 s12, s15
	s_mov_b32 s13, 0
	s_waitcnt lgkmcnt(0)
	s_ashr_i32 s2, s8, 31
	s_and_b32 s4, s3, 0xffff
	s_lshr_b32 s6, s2, 30
	v_mul_u32_u24_e32 v0, s4, v2
	v_mad_u32_u24 v8, v2, s4, v3
	s_add_i32 s6, s8, s6
	s_mul_hi_u32 s5, s8, s15
	s_mul_i32 s2, s2, s15
	s_ashr_i32 s18, s6, 2
	s_add_i32 s17, s5, s2
	v_cmp_gt_i32_e64 s2, s18, v8
	v_add_lshl_u32 v9, v0, v3, 3
	s_lshr_b32 s6, s3, 16
	s_mul_i32 s16, s8, s15
	s_mul_i32 s14, s6, s4
	s_and_saveexec_b32 s7, s2
	s_cbranch_execz .LBB21_4
; %bb.1:
	s_lshl_b64 s[4:5], s[16:17], 1
	v_dual_mov_b32 v4, 0 :: v_dual_mov_b32 v5, v8
	s_add_u32 s3, s10, s4
	s_addc_u32 s4, s11, s5
	v_add_co_u32 v0, s3, s3, v9
	s_delay_alu instid0(VALU_DEP_1) | instskip(SKIP_1) | instid1(SALU_CYCLE_1)
	v_add_co_ci_u32_e64 v1, null, s4, 0, s3
	s_ashr_i32 s15, s14, 31
	s_lshl_b64 s[4:5], s[14:15], 3
	s_mov_b32 s15, s13
	.p2align	6
.LBB21_2:                               ; =>This Inner Loop Header: Depth=1
	global_load_b64 v[6:7], v[0:1], off
	v_add_co_u32 v0, vcc_lo, v0, s4
	v_add_co_ci_u32_e32 v1, vcc_lo, s5, v1, vcc_lo
	v_add_nc_u32_e32 v5, s14, v5
	s_delay_alu instid0(VALU_DEP_1) | instskip(NEXT) | instid1(VALU_DEP_1)
	v_cmp_le_i32_e64 s3, s18, v5
	s_or_b32 s15, s3, s15
	s_waitcnt vmcnt(0)
	v_lshlrev_b32_e32 v10, 16, v6
	v_and_b32_e32 v11, 0xffff0000, v6
	v_alignbit_b32 v6, v7, v6, 16
	s_delay_alu instid0(VALU_DEP_3) | instskip(NEXT) | instid1(VALU_DEP_2)
	v_fmac_f32_e32 v4, v10, v10
	v_and_b32_e32 v6, 0xffff0000, v6
	s_delay_alu instid0(VALU_DEP_2) | instskip(NEXT) | instid1(VALU_DEP_1)
	v_fmac_f32_e32 v4, v11, v11
	v_dual_fmac_f32 v4, v6, v6 :: v_dual_and_b32 v7, 0xffff0000, v7
	s_delay_alu instid0(VALU_DEP_1)
	v_fmac_f32_e32 v4, v7, v7
	s_and_not1_b32 exec_lo, exec_lo, s15
	s_cbranch_execnz .LBB21_2
; %bb.3:
	s_or_b32 exec_lo, exec_lo, s15
.LBB21_4:
	s_delay_alu instid0(SALU_CYCLE_1) | instskip(SKIP_3) | instid1(VALU_DEP_1)
	s_or_b32 exec_lo, exec_lo, s7
	v_mbcnt_lo_u32_b32 v0, -1, 0
	s_cmp_lt_u32 s6, 2
	s_mov_b32 s3, -1
	v_cmp_gt_u32_e32 vcc_lo, 16, v0
	v_cndmask_b32_e64 v1, 0, 1, vcc_lo
	v_cmp_gt_u32_e32 vcc_lo, 24, v0
	s_delay_alu instid0(VALU_DEP_2) | instskip(SKIP_2) | instid1(VALU_DEP_3)
	v_lshlrev_b32_e32 v1, 4, v1
	v_cndmask_b32_e64 v5, 0, 1, vcc_lo
	v_cmp_gt_u32_e32 vcc_lo, 28, v0
	v_add_lshl_u32 v1, v1, v0, 2
	s_delay_alu instid0(VALU_DEP_3)
	v_lshlrev_b32_e32 v5, 3, v5
	ds_bpermute_b32 v1, v1, v4
	v_add_lshl_u32 v5, v5, v0, 2
	s_waitcnt lgkmcnt(0)
	v_add_f32_e32 v1, v4, v1
	ds_bpermute_b32 v4, v5, v1
	v_cndmask_b32_e64 v5, 0, 1, vcc_lo
	v_cmp_gt_u32_e32 vcc_lo, 30, v0
	s_delay_alu instid0(VALU_DEP_2) | instskip(NEXT) | instid1(VALU_DEP_1)
	v_lshlrev_b32_e32 v5, 2, v5
	v_add_lshl_u32 v5, v5, v0, 2
	s_waitcnt lgkmcnt(0)
	v_add_f32_e32 v1, v1, v4
	ds_bpermute_b32 v4, v5, v1
	v_cndmask_b32_e64 v5, 0, 1, vcc_lo
	v_cmp_ne_u32_e32 vcc_lo, 31, v0
	s_delay_alu instid0(VALU_DEP_2) | instskip(NEXT) | instid1(VALU_DEP_1)
	v_lshlrev_b32_e32 v5, 1, v5
	v_add_lshl_u32 v5, v5, v0, 2
	v_add_co_ci_u32_e32 v0, vcc_lo, 0, v0, vcc_lo
	s_delay_alu instid0(VALU_DEP_1)
	v_lshlrev_b32_e32 v0, 2, v0
	s_waitcnt lgkmcnt(0)
	v_add_f32_e32 v1, v1, v4
	ds_bpermute_b32 v4, v5, v1
	s_waitcnt lgkmcnt(0)
	v_add_f32_e32 v1, v1, v4
	ds_bpermute_b32 v0, v0, v1
	s_waitcnt lgkmcnt(0)
	v_add_f32_e32 v4, v1, v0
	s_cbranch_scc0 .LBB21_6
; %bb.5:
	v_mov_b32_e32 v0, 0
	v_cvt_f32_i32_e32 v5, s8
	ds_bpermute_b32 v1, v0, v4
	s_waitcnt lgkmcnt(0)
	v_div_scale_f32 v6, null, v5, v5, v1
	s_delay_alu instid0(VALU_DEP_1) | instskip(SKIP_2) | instid1(VALU_DEP_1)
	v_rcp_f32_e32 v7, v6
	s_waitcnt_depctr 0xfff
	v_fma_f32 v10, -v6, v7, 1.0
	v_fmac_f32_e32 v7, v10, v7
	v_div_scale_f32 v10, vcc_lo, v1, v5, v1
	ds_bpermute_b32 v0, v0, v0
	v_mul_f32_e32 v11, v10, v7
	s_delay_alu instid0(VALU_DEP_1) | instskip(NEXT) | instid1(VALU_DEP_1)
	v_fma_f32 v12, -v6, v11, v10
	v_fmac_f32_e32 v11, v12, v7
	s_delay_alu instid0(VALU_DEP_1) | instskip(NEXT) | instid1(VALU_DEP_1)
	v_fma_f32 v6, -v6, v11, v10
	v_div_fmas_f32 v6, v6, v7, v11
	s_delay_alu instid0(VALU_DEP_1)
	v_div_fixup_f32 v1, v6, v5, v1
	s_cbranch_execz .LBB21_7
	s_branch .LBB21_17
.LBB21_6:
                                        ; implicit-def: $vgpr1
	s_and_not1_b32 vcc_lo, exec_lo, s3
	s_cbranch_vccnz .LBB21_17
.LBB21_7:
	v_cmp_eq_u32_e32 vcc_lo, 0, v3
	s_waitcnt lgkmcnt(0)
	v_lshl_add_u32 v0, v2, 3, 0
	v_mov_b32_e32 v1, 0
	s_lshl_b32 s3, s6, 2
	s_delay_alu instid0(SALU_CYCLE_1)
	s_add_i32 s5, s3, 0
	s_set_inst_prefetch_distance 0x1
	.p2align	6
.LBB21_8:                               ; =>This Inner Loop Header: Depth=1
	s_lshr_b32 s7, s6, 1
	s_and_b32 s4, s6, 0xfffe
	v_cmp_le_u32_e64 s3, s7, v2
	v_cmp_gt_u32_e64 s4, s4, v2
	s_delay_alu instid0(VALU_DEP_1) | instskip(NEXT) | instid1(SALU_CYCLE_1)
	s_and_b32 s3, s3, s4
	s_and_b32 s4, vcc_lo, s3
	s_delay_alu instid0(SALU_CYCLE_1)
	s_and_saveexec_b32 s3, s4
	s_cbranch_execz .LBB21_10
; %bb.9:                                ;   in Loop: Header=BB21_8 Depth=1
	v_subrev_nc_u32_e32 v5, s7, v2
	s_delay_alu instid0(VALU_DEP_1)
	v_lshl_add_u32 v6, v5, 3, 0
	v_lshl_add_u32 v5, v5, 2, s5
	ds_store_2addr_b32 v6, v1, v4 offset1:1
	ds_store_b32 v5, v1
.LBB21_10:                              ;   in Loop: Header=BB21_8 Depth=1
	s_or_b32 exec_lo, exec_lo, s3
	v_cmp_gt_u32_e64 s3, s7, v2
	s_waitcnt lgkmcnt(0)
	s_barrier
	buffer_gl0_inv
	s_and_b32 s4, vcc_lo, s3
	s_delay_alu instid0(SALU_CYCLE_1)
	s_and_saveexec_b32 s3, s4
	s_cbranch_execz .LBB21_12
; %bb.11:                               ;   in Loop: Header=BB21_8 Depth=1
	ds_load_b32 v5, v0 offset:4
	s_waitcnt lgkmcnt(0)
	v_add_f32_e32 v4, v4, v5
.LBB21_12:                              ;   in Loop: Header=BB21_8 Depth=1
	s_or_b32 exec_lo, exec_lo, s3
	s_cmp_lt_u32 s6, 4
	s_barrier
	buffer_gl0_inv
	s_cbranch_scc1 .LBB21_14
; %bb.13:                               ;   in Loop: Header=BB21_8 Depth=1
	s_mov_b32 s6, s7
	s_branch .LBB21_8
.LBB21_14:
	s_set_inst_prefetch_distance 0x2
	v_or_b32_e32 v0, v3, v2
	s_mov_b32 s3, exec_lo
	s_delay_alu instid0(VALU_DEP_1)
	v_cmpx_eq_u32_e32 0, v0
	s_cbranch_execz .LBB21_16
; %bb.15:
	v_cvt_f32_i32_e32 v0, s8
	s_delay_alu instid0(VALU_DEP_1) | instskip(SKIP_1) | instid1(VALU_DEP_2)
	v_div_scale_f32 v1, null, v0, v0, v4
	v_div_scale_f32 v5, vcc_lo, v4, v0, v4
	v_rcp_f32_e32 v2, v1
	s_waitcnt_depctr 0xfff
	v_fma_f32 v3, -v1, v2, 1.0
	s_delay_alu instid0(VALU_DEP_1) | instskip(NEXT) | instid1(VALU_DEP_1)
	v_fmac_f32_e32 v2, v3, v2
	v_mul_f32_e32 v3, v5, v2
	s_delay_alu instid0(VALU_DEP_1) | instskip(NEXT) | instid1(VALU_DEP_1)
	v_fma_f32 v6, -v1, v3, v5
	v_fmac_f32_e32 v3, v6, v2
	s_delay_alu instid0(VALU_DEP_1) | instskip(NEXT) | instid1(VALU_DEP_1)
	v_fma_f32 v1, -v1, v3, v5
	v_div_fmas_f32 v1, v1, v2, v3
	s_delay_alu instid0(VALU_DEP_1)
	v_div_fixup_f32 v0, v1, v0, v4
	v_mov_b32_e32 v1, 0
	ds_store_2addr_b32 v1, v1, v0 offset1:1
.LBB21_16:
	s_or_b32 exec_lo, exec_lo, s3
	v_mov_b32_e32 v0, 0
	s_waitcnt lgkmcnt(0)
	s_barrier
	buffer_gl0_inv
	ds_load_2addr_b32 v[0:1], v0 offset1:1
.LBB21_17:
	s_waitcnt lgkmcnt(0)
	s_delay_alu instid0(VALU_DEP_1) | instskip(SKIP_1) | instid1(VALU_DEP_1)
	v_add_f32_e32 v1, s9, v1
	s_load_b128 s[4:7], s[0:1], 0x28
	v_mul_f32_e32 v2, 0x4b800000, v1
	v_cmp_gt_f32_e32 vcc_lo, 0x800000, v1
	s_delay_alu instid0(VALU_DEP_2) | instskip(NEXT) | instid1(VALU_DEP_1)
	v_cndmask_b32_e32 v1, v1, v2, vcc_lo
	v_rsq_f32_e32 v1, v1
	s_waitcnt_depctr 0xfff
	v_mul_f32_e32 v2, 0x45800000, v1
	s_delay_alu instid0(VALU_DEP_1)
	v_cndmask_b32_e32 v10, v1, v2, vcc_lo
	s_and_saveexec_b32 s8, s2
	s_cbranch_execz .LBB21_32
; %bb.18:
	s_load_b128 s[0:3], s[0:1], 0x10
	s_delay_alu instid0(VALU_DEP_1)
	v_dual_mov_b32 v11, v10 :: v_dual_mov_b32 v12, v0
	v_dual_mov_b32 v13, 0 :: v_dual_mov_b32 v14, v8
	s_waitcnt lgkmcnt(0)
	s_cmp_eq_u64 s[0:1], 0
	s_cselect_b32 s9, -1, 0
	s_cmp_eq_u64 s[2:3], 0
	s_cselect_b32 s19, -1, 0
	s_lshl_b64 s[20:21], s[16:17], 1
	v_cndmask_b32_e64 v15, 0, 1, s19
	s_add_u32 s16, s6, s20
	s_addc_u32 s17, s7, s21
	s_add_u32 s10, s10, s20
	s_addc_u32 s11, s11, s21
	s_ashr_i32 s15, s14, 31
	s_or_b32 s19, s9, s19
	s_lshl_b64 s[6:7], s[14:15], 3
	s_mov_b32 s15, 0
	s_branch .LBB21_20
.LBB21_19:                              ;   in Loop: Header=BB21_20 Depth=1
	s_delay_alu instid0(VALU_DEP_1) | instskip(SKIP_1) | instid1(VALU_DEP_3)
	v_bfe_u32 v1, v16, 16, 1
	v_and_b32_e32 v5, 0xffff, v5
	v_lshl_or_b32 v3, v4, 16, v6
	v_cmp_o_f32_e32 vcc_lo, v16, v16
	v_add_nc_u32_e32 v14, s14, v14
	v_add3_u32 v7, v16, v1, 0x7fff
	s_add_u32 s10, s10, s6
	v_or_b32_e32 v5, v13, v5
	v_add_co_u32 v1, s20, s16, v9
	s_delay_alu instid0(VALU_DEP_3) | instskip(SKIP_3) | instid1(VALU_DEP_2)
	v_and_b32_e32 v4, 0xffff0000, v7
	s_addc_u32 s11, s11, s7
	s_add_u32 s16, s16, s6
	v_add_co_ci_u32_e64 v2, null, s17, 0, s20
	v_cndmask_b32_e32 v4, 0x7fc00000, v4, vcc_lo
	s_addc_u32 s17, s17, s7
	v_cmp_le_i32_e32 vcc_lo, s18, v14
	s_add_u32 s0, s0, s6
	s_addc_u32 s1, s1, s7
	v_or_b32_e32 v4, v5, v4
	s_add_u32 s2, s2, s6
	s_addc_u32 s3, s3, s7
	s_or_b32 s15, vcc_lo, s15
	global_store_b64 v[1:2], v[3:4], off
	s_and_not1_b32 exec_lo, exec_lo, s15
	s_cbranch_execz .LBB21_32
.LBB21_20:                              ; =>This Inner Loop Header: Depth=1
	v_add_co_u32 v1, s20, s10, v9
	s_delay_alu instid0(VALU_DEP_1)
	v_add_co_ci_u32_e64 v2, null, s11, 0, s20
	s_and_b32 vcc_lo, exec_lo, s19
	global_load_b64 v[1:2], v[1:2], off
	s_waitcnt vmcnt(0)
	v_lshrrev_b64 v[3:4], 16, v[1:2]
	s_cbranch_vccz .LBB21_24
; %bb.21:                               ;   in Loop: Header=BB21_20 Depth=1
	s_and_b32 vcc_lo, exec_lo, s9
	s_cbranch_vccz .LBB21_25
; %bb.22:                               ;   in Loop: Header=BB21_20 Depth=1
	v_cmp_ne_u32_e32 vcc_lo, 1, v15
	s_cbranch_vccnz .LBB21_26
; %bb.23:                               ;   in Loop: Header=BB21_20 Depth=1
	v_lshlrev_b32_e32 v6, 16, v3
	v_lshlrev_b32_e32 v4, 16, v1
	v_and_b32_e32 v18, 0xffff0000, v2
	s_delay_alu instid0(VALU_DEP_3) | instskip(NEXT) | instid1(VALU_DEP_3)
	v_mul_f32_e32 v7, v10, v6
	v_dual_mul_f32 v4, v10, v4 :: v_dual_lshlrev_b32 v5, 16, v2
	s_delay_alu instid0(VALU_DEP_2) | instskip(NEXT) | instid1(VALU_DEP_2)
	v_bfe_u32 v17, v7, 16, 1
	v_mul_f32_e32 v5, v11, v5
	s_delay_alu instid0(VALU_DEP_3) | instskip(SKIP_1) | instid1(VALU_DEP_4)
	v_bfe_u32 v6, v4, 16, 1
	v_cmp_o_f32_e32 vcc_lo, v4, v4
	v_add3_u32 v17, v7, v17, 0x7fff
	s_delay_alu instid0(VALU_DEP_4) | instskip(NEXT) | instid1(VALU_DEP_4)
	v_bfe_u32 v16, v5, 16, 1
	v_add3_u32 v6, v4, v6, 0x7fff
	s_delay_alu instid0(VALU_DEP_3) | instskip(NEXT) | instid1(VALU_DEP_3)
	v_lshrrev_b32_e32 v17, 16, v17
	v_add3_u32 v16, v5, v16, 0x7fff
	s_delay_alu instid0(VALU_DEP_3) | instskip(NEXT) | instid1(VALU_DEP_2)
	v_lshrrev_b32_e32 v6, 16, v6
	v_lshrrev_b32_e32 v16, 16, v16
	s_delay_alu instid0(VALU_DEP_2) | instskip(SKIP_1) | instid1(VALU_DEP_3)
	v_cndmask_b32_e32 v6, 0x7fc0, v6, vcc_lo
	v_cmp_o_f32_e32 vcc_lo, v5, v5
	v_dual_cndmask_b32 v5, 0x7fc0, v16 :: v_dual_mul_f32 v16, v10, v18
	v_cmp_o_f32_e32 vcc_lo, v7, v7
	v_cndmask_b32_e32 v4, 0x7fc0, v17, vcc_lo
	s_cbranch_execz .LBB21_27
	s_branch .LBB21_28
.LBB21_24:                              ;   in Loop: Header=BB21_20 Depth=1
                                        ; implicit-def: $vgpr4_vgpr5
                                        ; implicit-def: $vgpr16
                                        ; implicit-def: $vgpr6_vgpr7
	s_branch .LBB21_31
.LBB21_25:                              ;   in Loop: Header=BB21_20 Depth=1
                                        ; implicit-def: $vgpr4_vgpr5
                                        ; implicit-def: $vgpr16
                                        ; implicit-def: $vgpr6_vgpr7
	s_branch .LBB21_29
.LBB21_26:                              ;   in Loop: Header=BB21_20 Depth=1
                                        ; implicit-def: $vgpr4_vgpr5
                                        ; implicit-def: $vgpr16
                                        ; implicit-def: $vgpr6_vgpr7
.LBB21_27:                              ;   in Loop: Header=BB21_20 Depth=1
	v_add_co_u32 v4, s20, s2, v9
	s_delay_alu instid0(VALU_DEP_1)
	v_add_co_ci_u32_e64 v5, null, s3, 0, s20
	v_lshlrev_b32_e32 v7, 16, v3
	v_lshlrev_b32_e32 v6, 16, v1
	v_and_b32_e32 v19, 0xffff0000, v2
	global_load_b64 v[4:5], v[4:5], off
	v_dual_sub_f32 v7, v7, v0 :: v_dual_lshlrev_b32 v16, 16, v2
	v_sub_f32_e32 v6, v6, v0
	v_sub_f32_e32 v19, v19, v0
	s_waitcnt vmcnt(0)
	v_lshlrev_b32_e32 v17, 16, v4
	v_and_b32_e32 v4, 0xffff0000, v4
	v_lshlrev_b32_e32 v18, 16, v5
	s_delay_alu instid0(VALU_DEP_2) | instskip(NEXT) | instid1(VALU_DEP_4)
	v_fmac_f32_e32 v4, v10, v7
	v_dual_sub_f32 v16, v16, v12 :: v_dual_fmac_f32 v17, v10, v6
	s_delay_alu instid0(VALU_DEP_1) | instskip(NEXT) | instid1(VALU_DEP_2)
	v_fmac_f32_e32 v18, v11, v16
	v_bfe_u32 v6, v17, 16, 1
	s_delay_alu instid0(VALU_DEP_4) | instskip(SKIP_1) | instid1(VALU_DEP_4)
	v_bfe_u32 v16, v4, 16, 1
	v_cmp_o_f32_e32 vcc_lo, v17, v17
	v_bfe_u32 v7, v18, 16, 1
	s_delay_alu instid0(VALU_DEP_4) | instskip(NEXT) | instid1(VALU_DEP_4)
	v_add3_u32 v6, v17, v6, 0x7fff
	v_add3_u32 v20, v4, v16, 0x7fff
	v_and_b32_e32 v16, 0xffff0000, v5
	s_delay_alu instid0(VALU_DEP_4) | instskip(NEXT) | instid1(VALU_DEP_4)
	v_add3_u32 v7, v18, v7, 0x7fff
	v_lshrrev_b32_e32 v6, 16, v6
	s_delay_alu instid0(VALU_DEP_3) | instskip(NEXT) | instid1(VALU_DEP_3)
	v_fmac_f32_e32 v16, v10, v19
	v_lshrrev_b32_e32 v5, 16, v7
	s_delay_alu instid0(VALU_DEP_3) | instskip(SKIP_2) | instid1(VALU_DEP_4)
	v_cndmask_b32_e32 v6, 0x7fc0, v6, vcc_lo
	v_cmp_o_f32_e32 vcc_lo, v18, v18
	v_lshrrev_b32_e32 v7, 16, v20
	v_cndmask_b32_e32 v5, 0x7fc0, v5, vcc_lo
	v_cmp_o_f32_e32 vcc_lo, v4, v4
	s_delay_alu instid0(VALU_DEP_3)
	v_cndmask_b32_e32 v4, 0x7fc0, v7, vcc_lo
.LBB21_28:                              ;   in Loop: Header=BB21_20 Depth=1
	s_cbranch_execnz .LBB21_30
.LBB21_29:                              ;   in Loop: Header=BB21_20 Depth=1
	v_add_co_u32 v4, s20, s0, v9
	s_delay_alu instid0(VALU_DEP_1)
	v_add_co_ci_u32_e64 v5, null, s1, 0, s20
	v_lshlrev_b32_e32 v7, 16, v3
	v_lshlrev_b32_e32 v6, 16, v1
	v_and_b32_e32 v19, 0xffff0000, v2
	global_load_b64 v[4:5], v[4:5], off
	v_dual_mul_f32 v7, v10, v7 :: v_dual_lshlrev_b32 v16, 16, v2
	v_mul_f32_e32 v6, v10, v6
	s_delay_alu instid0(VALU_DEP_2)
	v_dual_mul_f32 v19, v10, v19 :: v_dual_mul_f32 v16, v11, v16
	s_waitcnt vmcnt(0)
	v_lshlrev_b32_e32 v18, 16, v5
	v_lshlrev_b32_e32 v17, 16, v4
	v_and_b32_e32 v4, 0xffff0000, v4
	v_and_b32_e32 v20, 0xffff0000, v5
	s_delay_alu instid0(VALU_DEP_4) | instskip(NEXT) | instid1(VALU_DEP_4)
	v_mul_f32_e32 v16, v16, v18
	v_mul_f32_e32 v6, v6, v17
	s_delay_alu instid0(VALU_DEP_4) | instskip(NEXT) | instid1(VALU_DEP_3)
	v_mul_f32_e32 v4, v7, v4
	v_bfe_u32 v17, v16, 16, 1
	s_delay_alu instid0(VALU_DEP_3) | instskip(NEXT) | instid1(VALU_DEP_3)
	v_bfe_u32 v7, v6, 16, 1
	v_bfe_u32 v18, v4, 16, 1
	v_cmp_o_f32_e32 vcc_lo, v6, v6
	s_delay_alu instid0(VALU_DEP_4) | instskip(NEXT) | instid1(VALU_DEP_4)
	v_add3_u32 v17, v16, v17, 0x7fff
	v_add3_u32 v7, v6, v7, 0x7fff
	s_delay_alu instid0(VALU_DEP_4) | instskip(NEXT) | instid1(VALU_DEP_3)
	v_add3_u32 v18, v4, v18, 0x7fff
	v_lshrrev_b32_e32 v5, 16, v17
	s_delay_alu instid0(VALU_DEP_3) | instskip(NEXT) | instid1(VALU_DEP_3)
	v_lshrrev_b32_e32 v7, 16, v7
	v_lshrrev_b32_e32 v17, 16, v18
	s_delay_alu instid0(VALU_DEP_2)
	v_cndmask_b32_e32 v6, 0x7fc0, v7, vcc_lo
	v_cmp_o_f32_e32 vcc_lo, v16, v16
	v_dual_mul_f32 v16, v19, v20 :: v_dual_cndmask_b32 v5, 0x7fc0, v5
	v_cmp_o_f32_e32 vcc_lo, v4, v4
	v_cndmask_b32_e32 v4, 0x7fc0, v17, vcc_lo
.LBB21_30:                              ;   in Loop: Header=BB21_20 Depth=1
	s_cbranch_execnz .LBB21_19
.LBB21_31:                              ;   in Loop: Header=BB21_20 Depth=1
	v_add_co_u32 v4, s20, s0, v9
	s_delay_alu instid0(VALU_DEP_1)
	v_add_co_ci_u32_e64 v5, null, s1, 0, s20
	v_lshlrev_b32_e32 v6, 16, v2
	v_lshlrev_b32_e32 v1, 16, v1
	v_and_b32_e32 v2, 0xffff0000, v2
	global_load_b64 v[4:5], v[4:5], off
	v_dual_mul_f32 v6, v11, v6 :: v_dual_lshlrev_b32 v3, 16, v3
	v_mul_f32_e32 v1, v10, v1
	v_mul_f32_e32 v2, v10, v2
	s_waitcnt vmcnt(0)
	s_delay_alu instid0(VALU_DEP_3) | instskip(SKIP_2) | instid1(VALU_DEP_1)
	v_dual_mul_f32 v3, v10, v3 :: v_dual_lshlrev_b32 v16, 16, v5
	v_and_b32_e32 v17, 0xffff0000, v5
	v_lshlrev_b32_e32 v7, 16, v4
	v_dual_mul_f32 v1, v1, v7 :: v_dual_and_b32 v4, 0xffff0000, v4
	s_delay_alu instid0(VALU_DEP_4) | instskip(NEXT) | instid1(VALU_DEP_2)
	v_mul_f32_e32 v7, v6, v16
	v_mul_f32_e32 v3, v3, v4
	s_delay_alu instid0(VALU_DEP_3) | instskip(NEXT) | instid1(VALU_DEP_3)
	v_bfe_u32 v4, v1, 16, 1
	v_bfe_u32 v6, v7, 16, 1
	s_delay_alu instid0(VALU_DEP_3) | instskip(SKIP_1) | instid1(VALU_DEP_4)
	v_bfe_u32 v16, v3, 16, 1
	v_cmp_o_f32_e32 vcc_lo, v1, v1
	v_add3_u32 v4, v1, v4, 0x7fff
	s_delay_alu instid0(VALU_DEP_4) | instskip(NEXT) | instid1(VALU_DEP_4)
	v_add3_u32 v6, v7, v6, 0x7fff
	v_add3_u32 v16, v3, v16, 0x7fff
	s_delay_alu instid0(VALU_DEP_3) | instskip(NEXT) | instid1(VALU_DEP_3)
	v_lshrrev_b32_e32 v4, 16, v4
	v_lshrrev_b32_e32 v5, 16, v6
	s_delay_alu instid0(VALU_DEP_3) | instskip(NEXT) | instid1(VALU_DEP_3)
	v_lshrrev_b32_e32 v16, 16, v16
	v_cndmask_b32_e32 v6, 0x7fc0, v4, vcc_lo
	v_cmp_o_f32_e32 vcc_lo, v7, v7
	s_delay_alu instid0(VALU_DEP_4)
	v_cndmask_b32_e32 v5, 0x7fc0, v5, vcc_lo
	v_cmp_o_f32_e32 vcc_lo, v3, v3
	v_cndmask_b32_e32 v4, 0x7fc0, v16, vcc_lo
	v_mul_f32_e32 v16, v2, v17
	s_branch .LBB21_19
.LBB21_32:
	s_or_b32 exec_lo, exec_lo, s8
	s_delay_alu instid0(SALU_CYCLE_1)
	s_mov_b32 s0, exec_lo
	v_cmpx_eq_u32_e32 0, v8
	s_cbranch_execz .LBB21_34
; %bb.33:
	s_lshl_b64 s[0:1], s[12:13], 2
	v_mov_b32_e32 v0, 0
	s_waitcnt lgkmcnt(0)
	s_add_u32 s0, s4, s0
	s_addc_u32 s1, s5, s1
	global_store_b32 v0, v10, s[0:1]
.LBB21_34:
	s_nop 0
	s_sendmsg sendmsg(MSG_DEALLOC_VGPRS)
	s_endpgm
	.section	.rodata,"a",@progbits
	.p2align	6, 0x0
	.amdhsa_kernel _ZN2at6native12_GLOBAL__N_128vectorized_layer_norm_kernelIN3c108BFloat16EfLb1EEEviT0_PKT_S8_S8_PS5_S9_PS6_
		.amdhsa_group_segment_fixed_size 0
		.amdhsa_private_segment_fixed_size 0
		.amdhsa_kernarg_size 312
		.amdhsa_user_sgpr_count 15
		.amdhsa_user_sgpr_dispatch_ptr 0
		.amdhsa_user_sgpr_queue_ptr 0
		.amdhsa_user_sgpr_kernarg_segment_ptr 1
		.amdhsa_user_sgpr_dispatch_id 0
		.amdhsa_user_sgpr_private_segment_size 0
		.amdhsa_wavefront_size32 1
		.amdhsa_uses_dynamic_stack 0
		.amdhsa_enable_private_segment 0
		.amdhsa_system_sgpr_workgroup_id_x 1
		.amdhsa_system_sgpr_workgroup_id_y 0
		.amdhsa_system_sgpr_workgroup_id_z 0
		.amdhsa_system_sgpr_workgroup_info 0
		.amdhsa_system_vgpr_workitem_id 1
		.amdhsa_next_free_vgpr 21
		.amdhsa_next_free_sgpr 22
		.amdhsa_reserve_vcc 1
		.amdhsa_float_round_mode_32 0
		.amdhsa_float_round_mode_16_64 0
		.amdhsa_float_denorm_mode_32 3
		.amdhsa_float_denorm_mode_16_64 3
		.amdhsa_dx10_clamp 1
		.amdhsa_ieee_mode 1
		.amdhsa_fp16_overflow 0
		.amdhsa_workgroup_processor_mode 1
		.amdhsa_memory_ordered 1
		.amdhsa_forward_progress 0
		.amdhsa_shared_vgpr_count 0
		.amdhsa_exception_fp_ieee_invalid_op 0
		.amdhsa_exception_fp_denorm_src 0
		.amdhsa_exception_fp_ieee_div_zero 0
		.amdhsa_exception_fp_ieee_overflow 0
		.amdhsa_exception_fp_ieee_underflow 0
		.amdhsa_exception_fp_ieee_inexact 0
		.amdhsa_exception_int_div_zero 0
	.end_amdhsa_kernel
	.section	.text._ZN2at6native12_GLOBAL__N_128vectorized_layer_norm_kernelIN3c108BFloat16EfLb1EEEviT0_PKT_S8_S8_PS5_S9_PS6_,"axG",@progbits,_ZN2at6native12_GLOBAL__N_128vectorized_layer_norm_kernelIN3c108BFloat16EfLb1EEEviT0_PKT_S8_S8_PS5_S9_PS6_,comdat
.Lfunc_end21:
	.size	_ZN2at6native12_GLOBAL__N_128vectorized_layer_norm_kernelIN3c108BFloat16EfLb1EEEviT0_PKT_S8_S8_PS5_S9_PS6_, .Lfunc_end21-_ZN2at6native12_GLOBAL__N_128vectorized_layer_norm_kernelIN3c108BFloat16EfLb1EEEviT0_PKT_S8_S8_PS5_S9_PS6_
                                        ; -- End function
	.section	.AMDGPU.csdata,"",@progbits
; Kernel info:
; codeLenInByte = 2456
; NumSgprs: 24
; NumVgprs: 21
; ScratchSize: 0
; MemoryBound: 0
; FloatMode: 240
; IeeeMode: 1
; LDSByteSize: 0 bytes/workgroup (compile time only)
; SGPRBlocks: 2
; VGPRBlocks: 2
; NumSGPRsForWavesPerEU: 24
; NumVGPRsForWavesPerEU: 21
; Occupancy: 16
; WaveLimiterHint : 0
; COMPUTE_PGM_RSRC2:SCRATCH_EN: 0
; COMPUTE_PGM_RSRC2:USER_SGPR: 15
; COMPUTE_PGM_RSRC2:TRAP_HANDLER: 0
; COMPUTE_PGM_RSRC2:TGID_X_EN: 1
; COMPUTE_PGM_RSRC2:TGID_Y_EN: 0
; COMPUTE_PGM_RSRC2:TGID_Z_EN: 0
; COMPUTE_PGM_RSRC2:TIDIG_COMP_CNT: 1
	.section	.text._ZN2at6native12_GLOBAL__N_124RowwiseMomentsCUDAKernelIN3c108BFloat16EfLb1EEEvlT0_PKT_PS5_S9_,"axG",@progbits,_ZN2at6native12_GLOBAL__N_124RowwiseMomentsCUDAKernelIN3c108BFloat16EfLb1EEEvlT0_PKT_PS5_S9_,comdat
	.globl	_ZN2at6native12_GLOBAL__N_124RowwiseMomentsCUDAKernelIN3c108BFloat16EfLb1EEEvlT0_PKT_PS5_S9_ ; -- Begin function _ZN2at6native12_GLOBAL__N_124RowwiseMomentsCUDAKernelIN3c108BFloat16EfLb1EEEvlT0_PKT_PS5_S9_
	.p2align	8
	.type	_ZN2at6native12_GLOBAL__N_124RowwiseMomentsCUDAKernelIN3c108BFloat16EfLb1EEEvlT0_PKT_PS5_S9_,@function
_ZN2at6native12_GLOBAL__N_124RowwiseMomentsCUDAKernelIN3c108BFloat16EfLb1EEEvlT0_PKT_PS5_S9_: ; @_ZN2at6native12_GLOBAL__N_124RowwiseMomentsCUDAKernelIN3c108BFloat16EfLb1EEEvlT0_PKT_PS5_S9_
; %bb.0:
	s_load_b64 s[6:7], s[0:1], 0x0
	v_dual_mov_b32 v1, 0 :: v_dual_mov_b32 v4, 0
	v_mov_b32_e32 v5, 0
	s_mov_b32 s4, s15
	s_mov_b32 s5, 0
	s_delay_alu instid0(VALU_DEP_2)
	v_mov_b32_e32 v2, v1
	v_mov_b32_e32 v3, v1
	s_mov_b32 s3, exec_lo
	s_waitcnt lgkmcnt(0)
	v_cmpx_gt_i64_e64 s[6:7], v[0:1]
	s_cbranch_execz .LBB22_4
; %bb.1:
	s_clause 0x1
	s_load_b32 s2, s[0:1], 0x34
	s_load_b64 s[8:9], s[0:1], 0x10
	s_mul_i32 s11, s7, s4
	s_mul_hi_u32 s12, s6, s4
	s_mul_i32 s10, s6, s4
	s_add_i32 s11, s12, s11
	v_dual_mov_b32 v3, 0 :: v_dual_lshlrev_b32 v2, 1, v0
	s_lshl_b64 s[12:13], s[10:11], 1
	v_dual_mov_b32 v7, v1 :: v_dual_mov_b32 v6, v0
	s_waitcnt lgkmcnt(0)
	s_and_b32 s10, s2, 0xffff
	s_add_u32 s2, s8, s12
	s_addc_u32 s8, s9, s13
	v_add_co_u32 v8, s2, s2, v2
	s_delay_alu instid0(VALU_DEP_1)
	v_add_co_ci_u32_e64 v9, null, s8, 0, s2
	v_mov_b32_e32 v2, 0
	s_lshl_b32 s11, s10, 1
	s_mov_b64 s[8:9], 0
	s_mov_b32 s12, s5
.LBB22_2:                               ; =>This Inner Loop Header: Depth=1
	global_load_u16 v1, v[8:9], off
	s_add_u32 s8, s8, 1
	s_addc_u32 s9, s9, 0
	s_delay_alu instid0(SALU_CYCLE_1) | instskip(NEXT) | instid1(SALU_CYCLE_1)
	s_clz_i32_u32 s2, s9
	s_min_u32 s2, s2, 32
	s_delay_alu instid0(SALU_CYCLE_1) | instskip(SKIP_2) | instid1(SALU_CYCLE_1)
	s_lshl_b64 s[14:15], s[8:9], s2
	s_sub_i32 s2, 32, s2
	s_min_u32 s13, s14, 1
	s_or_b32 s13, s15, s13
	s_delay_alu instid0(SALU_CYCLE_1) | instskip(SKIP_2) | instid1(VALU_DEP_2)
	v_cvt_f32_u32_e32 v4, s13
	s_waitcnt vmcnt(0)
	v_lshlrev_b32_e32 v5, 16, v1
	v_ldexp_f32 v1, v4, s2
	s_delay_alu instid0(VALU_DEP_2) | instskip(NEXT) | instid1(VALU_DEP_1)
	v_sub_f32_e32 v10, v5, v2
	v_div_scale_f32 v4, null, v1, v1, v10
	s_delay_alu instid0(VALU_DEP_1) | instskip(SKIP_2) | instid1(VALU_DEP_1)
	v_rcp_f32_e32 v11, v4
	s_waitcnt_depctr 0xfff
	v_fma_f32 v12, -v4, v11, 1.0
	v_fmac_f32_e32 v11, v12, v11
	v_div_scale_f32 v13, vcc_lo, v10, v1, v10
	s_delay_alu instid0(VALU_DEP_1) | instskip(NEXT) | instid1(VALU_DEP_1)
	v_mul_f32_e32 v12, v13, v11
	v_fma_f32 v14, -v4, v12, v13
	s_delay_alu instid0(VALU_DEP_1) | instskip(NEXT) | instid1(VALU_DEP_1)
	v_fmac_f32_e32 v12, v14, v11
	v_fma_f32 v4, -v4, v12, v13
	s_delay_alu instid0(VALU_DEP_1) | instskip(SKIP_2) | instid1(VALU_DEP_3)
	v_div_fmas_f32 v4, v4, v11, v12
	v_add_co_u32 v6, vcc_lo, v6, s10
	v_add_co_ci_u32_e32 v7, vcc_lo, 0, v7, vcc_lo
	v_div_fixup_f32 v4, v4, v1, v10
	v_add_co_u32 v8, vcc_lo, v8, s11
	s_delay_alu instid0(VALU_DEP_3) | instskip(SKIP_1) | instid1(VALU_DEP_4)
	v_cmp_le_i64_e64 s2, s[6:7], v[6:7]
	v_add_co_ci_u32_e32 v9, vcc_lo, 0, v9, vcc_lo
	v_add_f32_e32 v2, v2, v4
	s_delay_alu instid0(VALU_DEP_3) | instskip(NEXT) | instid1(VALU_DEP_1)
	s_or_b32 s12, s2, s12
	v_dual_sub_f32 v11, v5, v2 :: v_dual_mov_b32 v4, s8
	v_mov_b32_e32 v5, s9
	s_delay_alu instid0(VALU_DEP_2)
	v_fmac_f32_e32 v3, v10, v11
	s_and_not1_b32 exec_lo, exec_lo, s12
	s_cbranch_execnz .LBB22_2
; %bb.3:
	s_or_b32 exec_lo, exec_lo, s12
.LBB22_4:
	s_delay_alu instid0(SALU_CYCLE_1) | instskip(SKIP_2) | instid1(VALU_DEP_1)
	s_or_b32 exec_lo, exec_lo, s3
	v_mbcnt_lo_u32_b32 v12, -1, 0
	s_mov_b32 s2, exec_lo
	v_cmp_gt_u32_e32 vcc_lo, 16, v12
	v_cndmask_b32_e64 v6, 0, 1, vcc_lo
	s_delay_alu instid0(VALU_DEP_1) | instskip(NEXT) | instid1(VALU_DEP_1)
	v_lshlrev_b32_e32 v6, 4, v6
	v_add_lshl_u32 v8, v6, v12, 2
	ds_bpermute_b32 v11, v8, v2
	ds_bpermute_b32 v9, v8, v3
	;; [unrolled: 1-line block ×5, first 2 shown]
	v_cmpx_neq_f32_e32 0, v1
	s_xor_b32 s2, exec_lo, s2
	s_cbranch_execz .LBB22_8
; %bb.5:
	s_mov_b32 s3, exec_lo
	s_waitcnt lgkmcnt(0)
	v_cmpx_neq_f32_e32 0, v10
	s_cbranch_execz .LBB22_7
; %bb.6:
	v_add_f32_e32 v6, v1, v10
	v_sub_f32_e32 v11, v11, v2
	v_add_f32_e32 v3, v3, v9
	s_delay_alu instid0(VALU_DEP_3) | instskip(NEXT) | instid1(VALU_DEP_1)
	v_div_scale_f32 v4, null, v6, v6, v10
	v_rcp_f32_e32 v5, v4
	s_waitcnt_depctr 0xfff
	v_fma_f32 v7, -v4, v5, 1.0
	s_delay_alu instid0(VALU_DEP_1) | instskip(SKIP_1) | instid1(VALU_DEP_1)
	v_fmac_f32_e32 v5, v7, v5
	v_div_scale_f32 v13, vcc_lo, v10, v6, v10
	v_mul_f32_e32 v7, v13, v5
	s_delay_alu instid0(VALU_DEP_1) | instskip(NEXT) | instid1(VALU_DEP_1)
	v_fma_f32 v14, -v4, v7, v13
	v_fmac_f32_e32 v7, v14, v5
	s_delay_alu instid0(VALU_DEP_1) | instskip(NEXT) | instid1(VALU_DEP_1)
	v_fma_f32 v4, -v4, v7, v13
	v_div_fmas_f32 v4, v4, v5, v7
	v_mul_f32_e32 v5, v11, v11
	s_delay_alu instid0(VALU_DEP_2) | instskip(NEXT) | instid1(VALU_DEP_2)
	v_div_fixup_f32 v7, v4, v6, v10
	v_dual_mul_f32 v1, v1, v5 :: v_dual_mov_b32 v4, -1
	s_delay_alu instid0(VALU_DEP_2) | instskip(NEXT) | instid1(VALU_DEP_2)
	v_dual_mov_b32 v5, -1 :: v_dual_fmac_f32 v2, v11, v7
	v_fmac_f32_e32 v3, v1, v7
	v_mov_b32_e32 v1, v6
.LBB22_7:
	s_or_b32 exec_lo, exec_lo, s3
                                        ; implicit-def: $vgpr6
                                        ; implicit-def: $vgpr10
                                        ; implicit-def: $vgpr9
                                        ; implicit-def: $vgpr11
.LBB22_8:
	s_and_not1_saveexec_b32 s2, s2
	s_cbranch_execz .LBB22_10
; %bb.9:
	s_waitcnt lgkmcnt(0)
	v_dual_mov_b32 v1, v10 :: v_dual_mov_b32 v2, v11
	v_dual_mov_b32 v4, v6 :: v_dual_mov_b32 v5, v7
	v_mov_b32_e32 v3, v9
.LBB22_10:
	s_or_b32 exec_lo, exec_lo, s2
	v_cmp_gt_u32_e32 vcc_lo, 24, v12
	s_mov_b32 s2, exec_lo
	s_waitcnt lgkmcnt(2)
	v_cndmask_b32_e64 v6, 0, 1, vcc_lo
	s_delay_alu instid0(VALU_DEP_1) | instskip(NEXT) | instid1(VALU_DEP_1)
	v_lshlrev_b32_e32 v6, 3, v6
	v_add_lshl_u32 v9, v6, v12, 2
	ds_bpermute_b32 v13, v9, v2
	s_waitcnt lgkmcnt(1)
	ds_bpermute_b32 v10, v9, v3
	ds_bpermute_b32 v6, v9, v4
	;; [unrolled: 1-line block ×4, first 2 shown]
	v_cmpx_neq_f32_e32 0, v1
	s_xor_b32 s2, exec_lo, s2
	s_cbranch_execz .LBB22_14
; %bb.11:
	s_mov_b32 s3, exec_lo
	s_waitcnt lgkmcnt(0)
	v_cmpx_neq_f32_e32 0, v11
	s_cbranch_execz .LBB22_13
; %bb.12:
	v_add_f32_e32 v6, v1, v11
	v_sub_f32_e32 v13, v13, v2
	s_delay_alu instid0(VALU_DEP_2) | instskip(NEXT) | instid1(VALU_DEP_1)
	v_div_scale_f32 v4, null, v6, v6, v11
	v_rcp_f32_e32 v5, v4
	s_waitcnt_depctr 0xfff
	v_fma_f32 v7, -v4, v5, 1.0
	s_delay_alu instid0(VALU_DEP_1) | instskip(SKIP_1) | instid1(VALU_DEP_1)
	v_fmac_f32_e32 v5, v7, v5
	v_div_scale_f32 v14, vcc_lo, v11, v6, v11
	v_mul_f32_e32 v7, v14, v5
	s_delay_alu instid0(VALU_DEP_1) | instskip(NEXT) | instid1(VALU_DEP_1)
	v_fma_f32 v15, -v4, v7, v14
	v_fmac_f32_e32 v7, v15, v5
	s_delay_alu instid0(VALU_DEP_1) | instskip(NEXT) | instid1(VALU_DEP_1)
	v_fma_f32 v4, -v4, v7, v14
	v_div_fmas_f32 v4, v4, v5, v7
	v_mul_f32_e32 v5, v13, v13
	s_delay_alu instid0(VALU_DEP_2) | instskip(SKIP_1) | instid1(VALU_DEP_3)
	v_div_fixup_f32 v7, v4, v6, v11
	v_add_f32_e32 v3, v3, v10
	v_dual_mul_f32 v1, v1, v5 :: v_dual_mov_b32 v4, -1
	s_delay_alu instid0(VALU_DEP_3) | instskip(NEXT) | instid1(VALU_DEP_2)
	v_dual_mov_b32 v5, -1 :: v_dual_fmac_f32 v2, v13, v7
	v_fmac_f32_e32 v3, v1, v7
	v_mov_b32_e32 v1, v6
.LBB22_13:
	s_or_b32 exec_lo, exec_lo, s3
                                        ; implicit-def: $vgpr6
                                        ; implicit-def: $vgpr11
                                        ; implicit-def: $vgpr10
                                        ; implicit-def: $vgpr13
.LBB22_14:
	s_and_not1_saveexec_b32 s2, s2
	s_cbranch_execz .LBB22_16
; %bb.15:
	s_waitcnt lgkmcnt(0)
	v_dual_mov_b32 v1, v11 :: v_dual_mov_b32 v4, v6
	v_dual_mov_b32 v5, v7 :: v_dual_mov_b32 v2, v13
	v_mov_b32_e32 v3, v10
.LBB22_16:
	s_or_b32 exec_lo, exec_lo, s2
	v_cmp_gt_u32_e32 vcc_lo, 28, v12
	s_mov_b32 s2, exec_lo
	s_waitcnt lgkmcnt(2)
	v_cndmask_b32_e64 v6, 0, 1, vcc_lo
	s_delay_alu instid0(VALU_DEP_1) | instskip(NEXT) | instid1(VALU_DEP_1)
	v_lshlrev_b32_e32 v6, 2, v6
	v_add_lshl_u32 v10, v6, v12, 2
	ds_bpermute_b32 v14, v10, v2
	s_waitcnt lgkmcnt(1)
	ds_bpermute_b32 v11, v10, v3
	ds_bpermute_b32 v6, v10, v4
	;; [unrolled: 1-line block ×4, first 2 shown]
	v_cmpx_neq_f32_e32 0, v1
	s_xor_b32 s2, exec_lo, s2
	s_cbranch_execz .LBB22_20
; %bb.17:
	s_mov_b32 s3, exec_lo
	s_waitcnt lgkmcnt(0)
	v_cmpx_neq_f32_e32 0, v13
	s_cbranch_execz .LBB22_19
; %bb.18:
	v_dual_sub_f32 v14, v14, v2 :: v_dual_add_f32 v3, v3, v11
	v_add_f32_e32 v6, v1, v13
	s_delay_alu instid0(VALU_DEP_1) | instskip(SKIP_1) | instid1(VALU_DEP_2)
	v_div_scale_f32 v4, null, v6, v6, v13
	v_div_scale_f32 v15, vcc_lo, v13, v6, v13
	v_rcp_f32_e32 v5, v4
	s_waitcnt_depctr 0xfff
	v_fma_f32 v7, -v4, v5, 1.0
	s_delay_alu instid0(VALU_DEP_1) | instskip(NEXT) | instid1(VALU_DEP_1)
	v_fmac_f32_e32 v5, v7, v5
	v_mul_f32_e32 v7, v15, v5
	s_delay_alu instid0(VALU_DEP_1) | instskip(NEXT) | instid1(VALU_DEP_1)
	v_fma_f32 v16, -v4, v7, v15
	v_fmac_f32_e32 v7, v16, v5
	s_delay_alu instid0(VALU_DEP_1) | instskip(NEXT) | instid1(VALU_DEP_1)
	v_fma_f32 v4, -v4, v7, v15
	v_div_fmas_f32 v4, v4, v5, v7
	v_mul_f32_e32 v5, v14, v14
	s_delay_alu instid0(VALU_DEP_2) | instskip(NEXT) | instid1(VALU_DEP_2)
	v_div_fixup_f32 v7, v4, v6, v13
	v_dual_mul_f32 v1, v1, v5 :: v_dual_mov_b32 v4, -1
	s_delay_alu instid0(VALU_DEP_2) | instskip(NEXT) | instid1(VALU_DEP_2)
	v_dual_mov_b32 v5, -1 :: v_dual_fmac_f32 v2, v14, v7
	v_fmac_f32_e32 v3, v1, v7
	v_mov_b32_e32 v1, v6
.LBB22_19:
	s_or_b32 exec_lo, exec_lo, s3
                                        ; implicit-def: $vgpr6
                                        ; implicit-def: $vgpr13
                                        ; implicit-def: $vgpr11
                                        ; implicit-def: $vgpr14
.LBB22_20:
	s_and_not1_saveexec_b32 s2, s2
	s_cbranch_execz .LBB22_22
; %bb.21:
	s_waitcnt lgkmcnt(0)
	v_dual_mov_b32 v1, v13 :: v_dual_mov_b32 v4, v6
	v_dual_mov_b32 v5, v7 :: v_dual_mov_b32 v2, v14
	v_mov_b32_e32 v3, v11
.LBB22_22:
	s_or_b32 exec_lo, exec_lo, s2
	v_cmp_gt_u32_e32 vcc_lo, 30, v12
	s_mov_b32 s2, exec_lo
	s_waitcnt lgkmcnt(2)
	v_cndmask_b32_e64 v6, 0, 1, vcc_lo
	s_delay_alu instid0(VALU_DEP_1) | instskip(NEXT) | instid1(VALU_DEP_1)
	v_lshlrev_b32_e32 v6, 1, v6
	v_add_lshl_u32 v11, v6, v12, 2
	ds_bpermute_b32 v15, v11, v2
	s_waitcnt lgkmcnt(1)
	ds_bpermute_b32 v13, v11, v3
	ds_bpermute_b32 v6, v11, v4
	;; [unrolled: 1-line block ×4, first 2 shown]
	v_cmpx_neq_f32_e32 0, v1
	s_xor_b32 s2, exec_lo, s2
	s_cbranch_execz .LBB22_26
; %bb.23:
	s_mov_b32 s3, exec_lo
	s_waitcnt lgkmcnt(0)
	v_cmpx_neq_f32_e32 0, v14
	s_cbranch_execz .LBB22_25
; %bb.24:
	v_add_f32_e32 v6, v1, v14
	v_sub_f32_e32 v15, v15, v2
	v_add_f32_e32 v3, v3, v13
	s_delay_alu instid0(VALU_DEP_3) | instskip(NEXT) | instid1(VALU_DEP_1)
	v_div_scale_f32 v4, null, v6, v6, v14
	v_rcp_f32_e32 v5, v4
	s_waitcnt_depctr 0xfff
	v_fma_f32 v7, -v4, v5, 1.0
	s_delay_alu instid0(VALU_DEP_1) | instskip(SKIP_1) | instid1(VALU_DEP_1)
	v_fmac_f32_e32 v5, v7, v5
	v_div_scale_f32 v16, vcc_lo, v14, v6, v14
	v_mul_f32_e32 v7, v16, v5
	s_delay_alu instid0(VALU_DEP_1) | instskip(NEXT) | instid1(VALU_DEP_1)
	v_fma_f32 v17, -v4, v7, v16
	v_fmac_f32_e32 v7, v17, v5
	s_delay_alu instid0(VALU_DEP_1) | instskip(NEXT) | instid1(VALU_DEP_1)
	v_fma_f32 v4, -v4, v7, v16
	v_div_fmas_f32 v4, v4, v5, v7
	v_mul_f32_e32 v5, v15, v15
	s_delay_alu instid0(VALU_DEP_2) | instskip(NEXT) | instid1(VALU_DEP_2)
	v_div_fixup_f32 v7, v4, v6, v14
	v_dual_mul_f32 v1, v1, v5 :: v_dual_mov_b32 v4, -1
	s_delay_alu instid0(VALU_DEP_2) | instskip(NEXT) | instid1(VALU_DEP_2)
	v_dual_mov_b32 v5, -1 :: v_dual_fmac_f32 v2, v15, v7
	v_fmac_f32_e32 v3, v1, v7
	v_mov_b32_e32 v1, v6
.LBB22_25:
	s_or_b32 exec_lo, exec_lo, s3
                                        ; implicit-def: $vgpr6
                                        ; implicit-def: $vgpr14
                                        ; implicit-def: $vgpr13
                                        ; implicit-def: $vgpr15
.LBB22_26:
	s_and_not1_saveexec_b32 s2, s2
	s_cbranch_execz .LBB22_28
; %bb.27:
	s_waitcnt lgkmcnt(0)
	v_dual_mov_b32 v1, v14 :: v_dual_mov_b32 v2, v15
	v_dual_mov_b32 v4, v6 :: v_dual_mov_b32 v5, v7
	v_mov_b32_e32 v3, v13
.LBB22_28:
	s_or_b32 exec_lo, exec_lo, s2
	v_cmp_ne_u32_e32 vcc_lo, 31, v12
	s_mov_b32 s2, exec_lo
	s_waitcnt lgkmcnt(2)
	v_add_co_ci_u32_e32 v6, vcc_lo, 0, v12, vcc_lo
	s_delay_alu instid0(VALU_DEP_1)
	v_lshlrev_b32_e32 v12, 2, v6
	ds_bpermute_b32 v15, v12, v2
	ds_bpermute_b32 v13, v12, v3
	;; [unrolled: 1-line block ×3, first 2 shown]
	s_waitcnt lgkmcnt(4)
	ds_bpermute_b32 v7, v12, v5
	s_waitcnt lgkmcnt(4)
	ds_bpermute_b32 v14, v12, v1
	v_cmpx_neq_f32_e32 0, v1
	s_xor_b32 s2, exec_lo, s2
	s_cbranch_execz .LBB22_32
; %bb.29:
	s_mov_b32 s3, exec_lo
	s_waitcnt lgkmcnt(0)
	v_cmpx_neq_f32_e32 0, v14
	s_cbranch_execz .LBB22_31
; %bb.30:
	v_add_f32_e32 v6, v1, v14
	v_sub_f32_e32 v15, v15, v2
	v_add_f32_e32 v3, v3, v13
	s_delay_alu instid0(VALU_DEP_3) | instskip(NEXT) | instid1(VALU_DEP_1)
	v_div_scale_f32 v4, null, v6, v6, v14
	v_rcp_f32_e32 v5, v4
	s_waitcnt_depctr 0xfff
	v_fma_f32 v7, -v4, v5, 1.0
	s_delay_alu instid0(VALU_DEP_1) | instskip(SKIP_1) | instid1(VALU_DEP_1)
	v_fmac_f32_e32 v5, v7, v5
	v_div_scale_f32 v16, vcc_lo, v14, v6, v14
	v_mul_f32_e32 v7, v16, v5
	s_delay_alu instid0(VALU_DEP_1) | instskip(NEXT) | instid1(VALU_DEP_1)
	v_fma_f32 v17, -v4, v7, v16
	v_fmac_f32_e32 v7, v17, v5
	s_delay_alu instid0(VALU_DEP_1) | instskip(NEXT) | instid1(VALU_DEP_1)
	v_fma_f32 v4, -v4, v7, v16
	v_div_fmas_f32 v4, v4, v5, v7
	v_mul_f32_e32 v5, v15, v15
	s_delay_alu instid0(VALU_DEP_2) | instskip(NEXT) | instid1(VALU_DEP_2)
	v_div_fixup_f32 v7, v4, v6, v14
	v_dual_mul_f32 v1, v1, v5 :: v_dual_mov_b32 v4, -1
	s_delay_alu instid0(VALU_DEP_2) | instskip(NEXT) | instid1(VALU_DEP_2)
	v_dual_mov_b32 v5, -1 :: v_dual_fmac_f32 v2, v15, v7
	v_fmac_f32_e32 v3, v1, v7
	v_mov_b32_e32 v1, v6
.LBB22_31:
	s_or_b32 exec_lo, exec_lo, s3
                                        ; implicit-def: $vgpr6
                                        ; implicit-def: $vgpr14
                                        ; implicit-def: $vgpr13
                                        ; implicit-def: $vgpr15
.LBB22_32:
	s_and_not1_saveexec_b32 s2, s2
	s_cbranch_execz .LBB22_34
; %bb.33:
	s_waitcnt lgkmcnt(0)
	v_dual_mov_b32 v1, v14 :: v_dual_mov_b32 v2, v15
	v_dual_mov_b32 v4, v6 :: v_dual_mov_b32 v5, v7
	v_mov_b32_e32 v3, v13
.LBB22_34:
	s_or_b32 exec_lo, exec_lo, s2
	s_waitcnt lgkmcnt(2)
	v_and_b32_e32 v6, 31, v0
	s_mov_b32 s2, exec_lo
	s_waitcnt lgkmcnt(0)
	s_barrier
	buffer_gl0_inv
	v_cmpx_eq_u32_e32 0, v6
	s_cbranch_execz .LBB22_36
; %bb.35:
	v_lshrrev_b32_e32 v7, 5, v0
	s_delay_alu instid0(VALU_DEP_1)
	v_mul_u32_u24_e32 v7, 24, v7
	ds_store_2addr_b64 v7, v[2:3], v[4:5] offset1:1
	ds_store_b32 v7, v1 offset:16
.LBB22_36:
	s_or_b32 exec_lo, exec_lo, s2
	s_waitcnt lgkmcnt(0)
	s_barrier
	buffer_gl0_inv
	s_load_b32 s2, s[0:1], 0x34
	v_mul_u32_u24_e32 v4, 24, v6
	v_dual_mov_b32 v1, 0 :: v_dual_mov_b32 v2, 0
	s_waitcnt lgkmcnt(0)
	s_bfe_u32 s2, s2, 0xb0005
	s_delay_alu instid0(SALU_CYCLE_1)
	v_cmp_gt_u32_e32 vcc_lo, s2, v0
	s_and_saveexec_b32 s2, vcc_lo
	s_cbranch_execnz .LBB22_65
; %bb.37:
	s_or_b32 exec_lo, exec_lo, s2
	s_and_saveexec_b32 s2, vcc_lo
	s_cbranch_execnz .LBB22_66
.LBB22_38:
	s_or_b32 exec_lo, exec_lo, s2
	v_mov_b32_e32 v3, 0
	s_and_saveexec_b32 s2, vcc_lo
	s_cbranch_execz .LBB22_40
.LBB22_39:
	ds_load_b32 v3, v4 offset:16
.LBB22_40:
	s_or_b32 exec_lo, exec_lo, s2
	s_delay_alu instid0(SALU_CYCLE_1)
	s_mov_b32 s2, exec_lo
	v_cmpx_gt_u32_e32 32, v0
	s_cbranch_execz .LBB22_62
; %bb.41:
	s_waitcnt lgkmcnt(0)
	ds_bpermute_b32 v6, v8, v2
	ds_bpermute_b32 v4, v8, v1
	;; [unrolled: 1-line block ×3, first 2 shown]
	s_mov_b32 s3, exec_lo
	v_cmpx_neq_f32_e32 0, v3
	s_cbranch_execz .LBB22_45
; %bb.42:
	s_mov_b32 s6, exec_lo
	s_waitcnt lgkmcnt(0)
	v_cmpx_neq_f32_e32 0, v5
	s_cbranch_execz .LBB22_44
; %bb.43:
	v_dual_add_f32 v7, v3, v5 :: v_dual_sub_f32 v6, v6, v2
	v_add_f32_e32 v1, v1, v4
	s_delay_alu instid0(VALU_DEP_2) | instskip(SKIP_1) | instid1(VALU_DEP_2)
	v_div_scale_f32 v8, null, v7, v7, v5
	v_div_scale_f32 v15, vcc_lo, v5, v7, v5
	v_rcp_f32_e32 v13, v8
	s_waitcnt_depctr 0xfff
	v_fma_f32 v14, -v8, v13, 1.0
	s_delay_alu instid0(VALU_DEP_1) | instskip(NEXT) | instid1(VALU_DEP_1)
	v_fmac_f32_e32 v13, v14, v13
	v_mul_f32_e32 v14, v15, v13
	s_delay_alu instid0(VALU_DEP_1) | instskip(NEXT) | instid1(VALU_DEP_1)
	v_fma_f32 v16, -v8, v14, v15
	v_fmac_f32_e32 v14, v16, v13
	s_delay_alu instid0(VALU_DEP_1) | instskip(NEXT) | instid1(VALU_DEP_1)
	v_fma_f32 v8, -v8, v14, v15
	v_div_fmas_f32 v8, v8, v13, v14
	v_mul_f32_e32 v13, v6, v6
	s_delay_alu instid0(VALU_DEP_2) | instskip(NEXT) | instid1(VALU_DEP_1)
	v_div_fixup_f32 v4, v8, v7, v5
	v_dual_mul_f32 v3, v3, v13 :: v_dual_fmac_f32 v2, v6, v4
	s_delay_alu instid0(VALU_DEP_1)
	v_fmac_f32_e32 v1, v3, v4
	v_mov_b32_e32 v3, v7
.LBB22_44:
	s_or_b32 exec_lo, exec_lo, s6
	s_delay_alu instid0(VALU_DEP_1)
	v_dual_mov_b32 v5, v3 :: v_dual_mov_b32 v4, v1
	v_mov_b32_e32 v6, v2
.LBB22_45:
	s_or_b32 exec_lo, exec_lo, s3
	s_waitcnt lgkmcnt(2)
	ds_bpermute_b32 v7, v9, v6
	s_waitcnt lgkmcnt(2)
	ds_bpermute_b32 v1, v9, v4
	;; [unrolled: 2-line block ×3, first 2 shown]
	s_mov_b32 s3, exec_lo
	v_cmpx_neq_f32_e32 0, v5
	s_cbranch_execz .LBB22_49
; %bb.46:
	s_mov_b32 s6, exec_lo
	s_waitcnt lgkmcnt(0)
	v_cmpx_neq_f32_e32 0, v3
	s_cbranch_execz .LBB22_48
; %bb.47:
	v_dual_add_f32 v2, v5, v3 :: v_dual_sub_f32 v7, v7, v6
	v_add_f32_e32 v4, v4, v1
	s_delay_alu instid0(VALU_DEP_2) | instskip(SKIP_1) | instid1(VALU_DEP_2)
	v_div_scale_f32 v8, null, v2, v2, v3
	v_div_scale_f32 v14, vcc_lo, v3, v2, v3
	v_rcp_f32_e32 v9, v8
	s_waitcnt_depctr 0xfff
	v_fma_f32 v13, -v8, v9, 1.0
	s_delay_alu instid0(VALU_DEP_1) | instskip(NEXT) | instid1(VALU_DEP_1)
	v_fmac_f32_e32 v9, v13, v9
	v_mul_f32_e32 v13, v14, v9
	s_delay_alu instid0(VALU_DEP_1) | instskip(NEXT) | instid1(VALU_DEP_1)
	v_fma_f32 v15, -v8, v13, v14
	v_fmac_f32_e32 v13, v15, v9
	s_delay_alu instid0(VALU_DEP_1) | instskip(NEXT) | instid1(VALU_DEP_1)
	v_fma_f32 v8, -v8, v13, v14
	v_div_fmas_f32 v8, v8, v9, v13
	v_mul_f32_e32 v9, v7, v7
	s_delay_alu instid0(VALU_DEP_2) | instskip(NEXT) | instid1(VALU_DEP_2)
	v_div_fixup_f32 v1, v8, v2, v3
	v_mul_f32_e32 v3, v5, v9
	s_delay_alu instid0(VALU_DEP_2) | instskip(NEXT) | instid1(VALU_DEP_2)
	v_dual_mov_b32 v5, v2 :: v_dual_fmac_f32 v6, v7, v1
	v_fmac_f32_e32 v4, v3, v1
.LBB22_48:
	s_or_b32 exec_lo, exec_lo, s6
	s_delay_alu instid0(VALU_DEP_2) | instskip(NEXT) | instid1(VALU_DEP_2)
	v_mov_b32_e32 v3, v5
	v_mov_b32_e32 v1, v4
	;; [unrolled: 1-line block ×3, first 2 shown]
.LBB22_49:
	s_or_b32 exec_lo, exec_lo, s3
	s_waitcnt lgkmcnt(2)
	ds_bpermute_b32 v8, v10, v7
	s_waitcnt lgkmcnt(2)
	ds_bpermute_b32 v2, v10, v1
	;; [unrolled: 2-line block ×3, first 2 shown]
	s_mov_b32 s3, exec_lo
	v_cmpx_neq_f32_e32 0, v3
	s_cbranch_execz .LBB22_53
; %bb.50:
	s_mov_b32 s6, exec_lo
	s_waitcnt lgkmcnt(0)
	v_cmpx_neq_f32_e32 0, v6
	s_cbranch_execz .LBB22_52
; %bb.51:
	v_add_f32_e32 v4, v3, v6
	v_dual_sub_f32 v8, v8, v7 :: v_dual_add_f32 v1, v1, v2
	s_delay_alu instid0(VALU_DEP_2) | instskip(NEXT) | instid1(VALU_DEP_1)
	v_div_scale_f32 v5, null, v4, v4, v6
	v_rcp_f32_e32 v9, v5
	s_waitcnt_depctr 0xfff
	v_fma_f32 v10, -v5, v9, 1.0
	s_delay_alu instid0(VALU_DEP_1) | instskip(SKIP_1) | instid1(VALU_DEP_1)
	v_fmac_f32_e32 v9, v10, v9
	v_div_scale_f32 v13, vcc_lo, v6, v4, v6
	v_mul_f32_e32 v10, v13, v9
	s_delay_alu instid0(VALU_DEP_1) | instskip(NEXT) | instid1(VALU_DEP_1)
	v_fma_f32 v14, -v5, v10, v13
	v_fmac_f32_e32 v10, v14, v9
	s_delay_alu instid0(VALU_DEP_1) | instskip(NEXT) | instid1(VALU_DEP_1)
	v_fma_f32 v5, -v5, v10, v13
	v_div_fmas_f32 v5, v5, v9, v10
	v_mul_f32_e32 v9, v8, v8
	s_delay_alu instid0(VALU_DEP_2) | instskip(NEXT) | instid1(VALU_DEP_2)
	v_div_fixup_f32 v2, v5, v4, v6
	v_mul_f32_e32 v3, v3, v9
	s_delay_alu instid0(VALU_DEP_2) | instskip(NEXT) | instid1(VALU_DEP_2)
	v_fmac_f32_e32 v7, v8, v2
	v_fmac_f32_e32 v1, v3, v2
	v_mov_b32_e32 v3, v4
.LBB22_52:
	s_or_b32 exec_lo, exec_lo, s6
	s_delay_alu instid0(VALU_DEP_1) | instskip(NEXT) | instid1(VALU_DEP_3)
	v_mov_b32_e32 v6, v3
	v_mov_b32_e32 v2, v1
	;; [unrolled: 1-line block ×3, first 2 shown]
.LBB22_53:
	s_or_b32 exec_lo, exec_lo, s3
	s_waitcnt lgkmcnt(2)
	ds_bpermute_b32 v7, v11, v8
	s_waitcnt lgkmcnt(2)
	ds_bpermute_b32 v4, v11, v2
	;; [unrolled: 2-line block ×3, first 2 shown]
	s_mov_b32 s3, exec_lo
	v_cmpx_neq_f32_e32 0, v6
	s_cbranch_execz .LBB22_57
; %bb.54:
	s_mov_b32 s6, exec_lo
	s_waitcnt lgkmcnt(0)
	v_cmpx_neq_f32_e32 0, v5
	s_cbranch_execz .LBB22_56
; %bb.55:
	v_sub_f32_e32 v7, v7, v8
	v_add_f32_e32 v1, v6, v5
	v_add_f32_e32 v2, v2, v4
	s_delay_alu instid0(VALU_DEP_2) | instskip(SKIP_1) | instid1(VALU_DEP_2)
	v_div_scale_f32 v3, null, v1, v1, v5
	v_div_scale_f32 v11, vcc_lo, v5, v1, v5
	v_rcp_f32_e32 v9, v3
	s_waitcnt_depctr 0xfff
	v_fma_f32 v10, -v3, v9, 1.0
	s_delay_alu instid0(VALU_DEP_1) | instskip(NEXT) | instid1(VALU_DEP_1)
	v_fmac_f32_e32 v9, v10, v9
	v_mul_f32_e32 v10, v11, v9
	s_delay_alu instid0(VALU_DEP_1) | instskip(NEXT) | instid1(VALU_DEP_1)
	v_fma_f32 v13, -v3, v10, v11
	v_fmac_f32_e32 v10, v13, v9
	s_delay_alu instid0(VALU_DEP_1) | instskip(NEXT) | instid1(VALU_DEP_1)
	v_fma_f32 v3, -v3, v10, v11
	v_div_fmas_f32 v3, v3, v9, v10
	v_mul_f32_e32 v9, v7, v7
	s_delay_alu instid0(VALU_DEP_2) | instskip(NEXT) | instid1(VALU_DEP_2)
	v_div_fixup_f32 v3, v3, v1, v5
	v_mul_f32_e32 v4, v6, v9
	s_delay_alu instid0(VALU_DEP_2) | instskip(NEXT) | instid1(VALU_DEP_2)
	v_fmac_f32_e32 v8, v7, v3
	v_fmac_f32_e32 v2, v4, v3
	v_mov_b32_e32 v6, v1
.LBB22_56:
	s_or_b32 exec_lo, exec_lo, s6
	s_delay_alu instid0(VALU_DEP_1) | instskip(NEXT) | instid1(VALU_DEP_3)
	v_mov_b32_e32 v5, v6
	v_dual_mov_b32 v4, v2 :: v_dual_mov_b32 v7, v8
.LBB22_57:
	s_or_b32 exec_lo, exec_lo, s3
	s_waitcnt lgkmcnt(2)
	ds_bpermute_b32 v2, v12, v7
	s_waitcnt lgkmcnt(2)
	ds_bpermute_b32 v1, v12, v4
	;; [unrolled: 2-line block ×3, first 2 shown]
	s_mov_b32 s3, exec_lo
	v_cmpx_neq_f32_e32 0, v5
	s_cbranch_execz .LBB22_61
; %bb.58:
	s_mov_b32 s6, exec_lo
	s_waitcnt lgkmcnt(0)
	v_cmpx_neq_f32_e32 0, v3
	s_cbranch_execz .LBB22_60
; %bb.59:
	v_add_f32_e32 v6, v5, v3
	v_sub_f32_e32 v2, v2, v7
	v_add_f32_e32 v4, v4, v1
	s_delay_alu instid0(VALU_DEP_3) | instskip(NEXT) | instid1(VALU_DEP_1)
	v_div_scale_f32 v8, null, v6, v6, v3
	v_rcp_f32_e32 v9, v8
	s_waitcnt_depctr 0xfff
	v_fma_f32 v10, -v8, v9, 1.0
	s_delay_alu instid0(VALU_DEP_1) | instskip(SKIP_1) | instid1(VALU_DEP_1)
	v_fmac_f32_e32 v9, v10, v9
	v_div_scale_f32 v11, vcc_lo, v3, v6, v3
	v_mul_f32_e32 v10, v11, v9
	s_delay_alu instid0(VALU_DEP_1) | instskip(NEXT) | instid1(VALU_DEP_1)
	v_fma_f32 v12, -v8, v10, v11
	v_fmac_f32_e32 v10, v12, v9
	s_delay_alu instid0(VALU_DEP_1) | instskip(NEXT) | instid1(VALU_DEP_1)
	v_fma_f32 v8, -v8, v10, v11
	v_div_fmas_f32 v8, v8, v9, v10
	v_mul_f32_e32 v9, v2, v2
	s_delay_alu instid0(VALU_DEP_2) | instskip(NEXT) | instid1(VALU_DEP_2)
	v_div_fixup_f32 v1, v8, v6, v3
	v_mul_f32_e32 v3, v5, v9
	v_mov_b32_e32 v5, v6
	s_delay_alu instid0(VALU_DEP_3) | instskip(NEXT) | instid1(VALU_DEP_3)
	v_fmac_f32_e32 v7, v2, v1
	v_fmac_f32_e32 v4, v3, v1
.LBB22_60:
	s_or_b32 exec_lo, exec_lo, s6
	s_delay_alu instid0(VALU_DEP_2) | instskip(NEXT) | instid1(VALU_DEP_2)
	v_dual_mov_b32 v3, v5 :: v_dual_mov_b32 v2, v7
	v_mov_b32_e32 v1, v4
.LBB22_61:
	s_or_b32 exec_lo, exec_lo, s3
.LBB22_62:
	s_delay_alu instid0(SALU_CYCLE_1) | instskip(NEXT) | instid1(SALU_CYCLE_1)
	s_or_b32 exec_lo, exec_lo, s2
	s_mov_b32 s2, exec_lo
	v_cmpx_eq_u32_e32 0, v0
	s_cbranch_execz .LBB22_64
; %bb.63:
	s_waitcnt lgkmcnt(0)
	v_max_f32_e32 v0, v3, v3
	s_clause 0x1
	s_load_b32 s2, s[0:1], 0x8
	s_load_b64 s[0:1], s[0:1], 0x20
	s_delay_alu instid0(VALU_DEP_1) | instskip(NEXT) | instid1(VALU_DEP_1)
	v_max_f32_e32 v0, 0, v0
	v_div_scale_f32 v3, null, v0, v0, v1
	v_div_scale_f32 v6, vcc_lo, v1, v0, v1
	s_delay_alu instid0(VALU_DEP_2) | instskip(SKIP_2) | instid1(VALU_DEP_1)
	v_rcp_f32_e32 v4, v3
	s_waitcnt_depctr 0xfff
	v_fma_f32 v5, -v3, v4, 1.0
	v_fmac_f32_e32 v4, v5, v4
	s_delay_alu instid0(VALU_DEP_1) | instskip(NEXT) | instid1(VALU_DEP_1)
	v_mul_f32_e32 v5, v6, v4
	v_fma_f32 v7, -v3, v5, v6
	s_delay_alu instid0(VALU_DEP_1) | instskip(NEXT) | instid1(VALU_DEP_1)
	v_fmac_f32_e32 v5, v7, v4
	v_fma_f32 v3, -v3, v5, v6
	s_delay_alu instid0(VALU_DEP_1) | instskip(NEXT) | instid1(VALU_DEP_1)
	v_div_fmas_f32 v3, v3, v4, v5
	v_div_fixup_f32 v0, v3, v0, v1
	s_delay_alu instid0(VALU_DEP_1) | instskip(SKIP_1) | instid1(VALU_DEP_1)
	v_fmac_f32_e32 v0, v2, v2
	s_waitcnt lgkmcnt(0)
	v_add_f32_e32 v0, s2, v0
	s_lshl_b64 s[2:3], s[4:5], 2
	s_delay_alu instid0(SALU_CYCLE_1) | instskip(SKIP_1) | instid1(VALU_DEP_1)
	s_add_u32 s0, s0, s2
	s_addc_u32 s1, s1, s3
	v_mul_f32_e32 v1, 0x4b800000, v0
	v_cmp_gt_f32_e32 vcc_lo, 0x800000, v0
	s_delay_alu instid0(VALU_DEP_2) | instskip(NEXT) | instid1(VALU_DEP_1)
	v_cndmask_b32_e32 v0, v0, v1, vcc_lo
	v_rsq_f32_e32 v0, v0
	s_waitcnt_depctr 0xfff
	v_mul_f32_e32 v1, 0x45800000, v0
	s_delay_alu instid0(VALU_DEP_1)
	v_dual_cndmask_b32 v0, v0, v1 :: v_dual_mov_b32 v1, 0
	global_store_b32 v1, v0, s[0:1]
.LBB22_64:
	s_nop 0
	s_sendmsg sendmsg(MSG_DEALLOC_VGPRS)
	s_endpgm
.LBB22_65:
	ds_load_b32 v2, v4
	s_or_b32 exec_lo, exec_lo, s2
	s_and_saveexec_b32 s2, vcc_lo
	s_cbranch_execz .LBB22_38
.LBB22_66:
	ds_load_b32 v1, v4 offset:4
	s_or_b32 exec_lo, exec_lo, s2
	v_mov_b32_e32 v3, 0
	s_and_saveexec_b32 s2, vcc_lo
	s_cbranch_execnz .LBB22_39
	s_branch .LBB22_40
	.section	.rodata,"a",@progbits
	.p2align	6, 0x0
	.amdhsa_kernel _ZN2at6native12_GLOBAL__N_124RowwiseMomentsCUDAKernelIN3c108BFloat16EfLb1EEEvlT0_PKT_PS5_S9_
		.amdhsa_group_segment_fixed_size 768
		.amdhsa_private_segment_fixed_size 0
		.amdhsa_kernarg_size 296
		.amdhsa_user_sgpr_count 15
		.amdhsa_user_sgpr_dispatch_ptr 0
		.amdhsa_user_sgpr_queue_ptr 0
		.amdhsa_user_sgpr_kernarg_segment_ptr 1
		.amdhsa_user_sgpr_dispatch_id 0
		.amdhsa_user_sgpr_private_segment_size 0
		.amdhsa_wavefront_size32 1
		.amdhsa_uses_dynamic_stack 0
		.amdhsa_enable_private_segment 0
		.amdhsa_system_sgpr_workgroup_id_x 1
		.amdhsa_system_sgpr_workgroup_id_y 0
		.amdhsa_system_sgpr_workgroup_id_z 0
		.amdhsa_system_sgpr_workgroup_info 0
		.amdhsa_system_vgpr_workitem_id 0
		.amdhsa_next_free_vgpr 18
		.amdhsa_next_free_sgpr 16
		.amdhsa_reserve_vcc 1
		.amdhsa_float_round_mode_32 0
		.amdhsa_float_round_mode_16_64 0
		.amdhsa_float_denorm_mode_32 3
		.amdhsa_float_denorm_mode_16_64 3
		.amdhsa_dx10_clamp 1
		.amdhsa_ieee_mode 1
		.amdhsa_fp16_overflow 0
		.amdhsa_workgroup_processor_mode 1
		.amdhsa_memory_ordered 1
		.amdhsa_forward_progress 0
		.amdhsa_shared_vgpr_count 0
		.amdhsa_exception_fp_ieee_invalid_op 0
		.amdhsa_exception_fp_denorm_src 0
		.amdhsa_exception_fp_ieee_div_zero 0
		.amdhsa_exception_fp_ieee_overflow 0
		.amdhsa_exception_fp_ieee_underflow 0
		.amdhsa_exception_fp_ieee_inexact 0
		.amdhsa_exception_int_div_zero 0
	.end_amdhsa_kernel
	.section	.text._ZN2at6native12_GLOBAL__N_124RowwiseMomentsCUDAKernelIN3c108BFloat16EfLb1EEEvlT0_PKT_PS5_S9_,"axG",@progbits,_ZN2at6native12_GLOBAL__N_124RowwiseMomentsCUDAKernelIN3c108BFloat16EfLb1EEEvlT0_PKT_PS5_S9_,comdat
.Lfunc_end22:
	.size	_ZN2at6native12_GLOBAL__N_124RowwiseMomentsCUDAKernelIN3c108BFloat16EfLb1EEEvlT0_PKT_PS5_S9_, .Lfunc_end22-_ZN2at6native12_GLOBAL__N_124RowwiseMomentsCUDAKernelIN3c108BFloat16EfLb1EEEvlT0_PKT_PS5_S9_
                                        ; -- End function
	.section	.AMDGPU.csdata,"",@progbits
; Kernel info:
; codeLenInByte = 3444
; NumSgprs: 18
; NumVgprs: 18
; ScratchSize: 0
; MemoryBound: 0
; FloatMode: 240
; IeeeMode: 1
; LDSByteSize: 768 bytes/workgroup (compile time only)
; SGPRBlocks: 2
; VGPRBlocks: 2
; NumSGPRsForWavesPerEU: 18
; NumVGPRsForWavesPerEU: 18
; Occupancy: 16
; WaveLimiterHint : 0
; COMPUTE_PGM_RSRC2:SCRATCH_EN: 0
; COMPUTE_PGM_RSRC2:USER_SGPR: 15
; COMPUTE_PGM_RSRC2:TRAP_HANDLER: 0
; COMPUTE_PGM_RSRC2:TGID_X_EN: 1
; COMPUTE_PGM_RSRC2:TGID_Y_EN: 0
; COMPUTE_PGM_RSRC2:TGID_Z_EN: 0
; COMPUTE_PGM_RSRC2:TIDIG_COMP_CNT: 0
	.section	.text._ZN2at6native12_GLOBAL__N_126LayerNormForwardCUDAKernelIN3c108BFloat16EfLb1EEEvlPKT_PKT0_SA_S7_S7_PS5_,"axG",@progbits,_ZN2at6native12_GLOBAL__N_126LayerNormForwardCUDAKernelIN3c108BFloat16EfLb1EEEvlPKT_PKT0_SA_S7_S7_PS5_,comdat
	.globl	_ZN2at6native12_GLOBAL__N_126LayerNormForwardCUDAKernelIN3c108BFloat16EfLb1EEEvlPKT_PKT0_SA_S7_S7_PS5_ ; -- Begin function _ZN2at6native12_GLOBAL__N_126LayerNormForwardCUDAKernelIN3c108BFloat16EfLb1EEEvlPKT_PKT0_SA_S7_S7_PS5_
	.p2align	8
	.type	_ZN2at6native12_GLOBAL__N_126LayerNormForwardCUDAKernelIN3c108BFloat16EfLb1EEEvlPKT_PKT0_SA_S7_S7_PS5_,@function
_ZN2at6native12_GLOBAL__N_126LayerNormForwardCUDAKernelIN3c108BFloat16EfLb1EEEvlPKT_PKT0_SA_S7_S7_PS5_: ; @_ZN2at6native12_GLOBAL__N_126LayerNormForwardCUDAKernelIN3c108BFloat16EfLb1EEEvlPKT_PKT0_SA_S7_S7_PS5_
; %bb.0:
	s_load_b128 s[4:7], s[0:1], 0x0
	v_mov_b32_e32 v1, 0
	s_mov_b32 s3, exec_lo
	s_waitcnt lgkmcnt(0)
	s_delay_alu instid0(VALU_DEP_1)
	v_cmpx_gt_i64_e64 s[4:5], v[0:1]
	s_cbranch_execz .LBB23_6
; %bb.1:
	s_clause 0x2
	s_load_b128 s[8:11], s[0:1], 0x18
	s_load_b32 s16, s[0:1], 0x44
	s_load_b64 s[12:13], s[0:1], 0x30
	s_mov_b32 s2, s15
	s_mov_b32 s3, 0
	s_mul_i32 s0, s5, s2
	v_dual_mov_b32 v3, v1 :: v_dual_lshlrev_b32 v2, 1, v0
	s_waitcnt lgkmcnt(0)
	s_cmp_lg_u64 s[10:11], 0
	s_cselect_b32 s1, -1, 0
	s_lshl_b64 s[14:15], s[2:3], 2
	s_delay_alu instid0(SALU_CYCLE_1)
	s_add_u32 s8, s8, s14
	s_addc_u32 s9, s9, s15
	s_mul_i32 s14, s4, s2
	s_load_b32 s8, s[8:9], 0x0
	s_mul_hi_u32 s9, s4, s2
	s_and_b32 s2, s16, 0xffff
	s_add_i32 s15, s9, s0
	s_delay_alu instid0(SALU_CYCLE_1) | instskip(NEXT) | instid1(SALU_CYCLE_1)
	s_lshl_b64 s[14:15], s[14:15], 1
	s_add_u32 s6, s6, s14
	s_addc_u32 s7, s7, s15
	s_lshl_b32 s9, s2, 1
	s_add_u32 s12, s12, s14
	s_addc_u32 s13, s13, s15
	s_set_inst_prefetch_distance 0x1
	s_branch .LBB23_4
	.p2align	6
.LBB23_2:                               ;   in Loop: Header=BB23_4 Depth=1
	v_add_co_u32 v4, vcc_lo, s10, v2
	v_add_co_ci_u32_e32 v5, vcc_lo, s11, v3, vcc_lo
	global_load_u16 v4, v[4:5], off
	s_waitcnt vmcnt(0)
	v_lshlrev_b32_e32 v4, 16, v4
.LBB23_3:                               ;   in Loop: Header=BB23_4 Depth=1
	v_add_co_u32 v5, vcc_lo, s6, v2
	v_add_co_ci_u32_e32 v6, vcc_lo, s7, v3, vcc_lo
	v_add_co_u32 v0, vcc_lo, v0, s2
	v_add_co_ci_u32_e32 v1, vcc_lo, 0, v1, vcc_lo
	global_load_u16 v5, v[5:6], off
	s_waitcnt vmcnt(0)
	v_lshlrev_b32_e32 v5, 16, v5
	s_waitcnt lgkmcnt(0)
	s_delay_alu instid0(VALU_DEP_1) | instskip(NEXT) | instid1(VALU_DEP_1)
	v_mul_f32_e32 v5, s8, v5
	v_mul_f32_e32 v6, v4, v5
	s_delay_alu instid0(VALU_DEP_1) | instskip(SKIP_1) | instid1(VALU_DEP_2)
	v_bfe_u32 v4, v6, 16, 1
	v_cmp_o_f32_e64 s0, v6, v6
	v_add3_u32 v4, v6, v4, 0x7fff
	s_delay_alu instid0(VALU_DEP_1) | instskip(SKIP_3) | instid1(VALU_DEP_4)
	v_lshrrev_b32_e32 v7, 16, v4
	v_add_co_u32 v4, vcc_lo, s12, v2
	v_add_co_ci_u32_e32 v5, vcc_lo, s13, v3, vcc_lo
	v_cmp_le_i64_e32 vcc_lo, s[4:5], v[0:1]
	v_cndmask_b32_e64 v6, 0x7fc0, v7, s0
	v_add_co_u32 v2, s0, v2, s9
	s_delay_alu instid0(VALU_DEP_1)
	v_add_co_ci_u32_e64 v3, s0, 0, v3, s0
	s_or_b32 s3, vcc_lo, s3
	global_store_b16 v[4:5], v6, off
	s_and_not1_b32 exec_lo, exec_lo, s3
	s_cbranch_execz .LBB23_6
.LBB23_4:                               ; =>This Inner Loop Header: Depth=1
	s_and_not1_b32 vcc_lo, exec_lo, s1
	s_cbranch_vccz .LBB23_2
; %bb.5:                                ;   in Loop: Header=BB23_4 Depth=1
	v_mov_b32_e32 v4, 1.0
	s_branch .LBB23_3
.LBB23_6:
	s_set_inst_prefetch_distance 0x2
	s_nop 0
	s_sendmsg sendmsg(MSG_DEALLOC_VGPRS)
	s_endpgm
	.section	.rodata,"a",@progbits
	.p2align	6, 0x0
	.amdhsa_kernel _ZN2at6native12_GLOBAL__N_126LayerNormForwardCUDAKernelIN3c108BFloat16EfLb1EEEvlPKT_PKT0_SA_S7_S7_PS5_
		.amdhsa_group_segment_fixed_size 0
		.amdhsa_private_segment_fixed_size 0
		.amdhsa_kernarg_size 312
		.amdhsa_user_sgpr_count 15
		.amdhsa_user_sgpr_dispatch_ptr 0
		.amdhsa_user_sgpr_queue_ptr 0
		.amdhsa_user_sgpr_kernarg_segment_ptr 1
		.amdhsa_user_sgpr_dispatch_id 0
		.amdhsa_user_sgpr_private_segment_size 0
		.amdhsa_wavefront_size32 1
		.amdhsa_uses_dynamic_stack 0
		.amdhsa_enable_private_segment 0
		.amdhsa_system_sgpr_workgroup_id_x 1
		.amdhsa_system_sgpr_workgroup_id_y 0
		.amdhsa_system_sgpr_workgroup_id_z 0
		.amdhsa_system_sgpr_workgroup_info 0
		.amdhsa_system_vgpr_workitem_id 0
		.amdhsa_next_free_vgpr 8
		.amdhsa_next_free_sgpr 17
		.amdhsa_reserve_vcc 1
		.amdhsa_float_round_mode_32 0
		.amdhsa_float_round_mode_16_64 0
		.amdhsa_float_denorm_mode_32 3
		.amdhsa_float_denorm_mode_16_64 3
		.amdhsa_dx10_clamp 1
		.amdhsa_ieee_mode 1
		.amdhsa_fp16_overflow 0
		.amdhsa_workgroup_processor_mode 1
		.amdhsa_memory_ordered 1
		.amdhsa_forward_progress 0
		.amdhsa_shared_vgpr_count 0
		.amdhsa_exception_fp_ieee_invalid_op 0
		.amdhsa_exception_fp_denorm_src 0
		.amdhsa_exception_fp_ieee_div_zero 0
		.amdhsa_exception_fp_ieee_overflow 0
		.amdhsa_exception_fp_ieee_underflow 0
		.amdhsa_exception_fp_ieee_inexact 0
		.amdhsa_exception_int_div_zero 0
	.end_amdhsa_kernel
	.section	.text._ZN2at6native12_GLOBAL__N_126LayerNormForwardCUDAKernelIN3c108BFloat16EfLb1EEEvlPKT_PKT0_SA_S7_S7_PS5_,"axG",@progbits,_ZN2at6native12_GLOBAL__N_126LayerNormForwardCUDAKernelIN3c108BFloat16EfLb1EEEvlPKT_PKT0_SA_S7_S7_PS5_,comdat
.Lfunc_end23:
	.size	_ZN2at6native12_GLOBAL__N_126LayerNormForwardCUDAKernelIN3c108BFloat16EfLb1EEEvlPKT_PKT0_SA_S7_S7_PS5_, .Lfunc_end23-_ZN2at6native12_GLOBAL__N_126LayerNormForwardCUDAKernelIN3c108BFloat16EfLb1EEEvlPKT_PKT0_SA_S7_S7_PS5_
                                        ; -- End function
	.section	.AMDGPU.csdata,"",@progbits
; Kernel info:
; codeLenInByte = 400
; NumSgprs: 19
; NumVgprs: 8
; ScratchSize: 0
; MemoryBound: 0
; FloatMode: 240
; IeeeMode: 1
; LDSByteSize: 0 bytes/workgroup (compile time only)
; SGPRBlocks: 2
; VGPRBlocks: 0
; NumSGPRsForWavesPerEU: 19
; NumVGPRsForWavesPerEU: 8
; Occupancy: 16
; WaveLimiterHint : 0
; COMPUTE_PGM_RSRC2:SCRATCH_EN: 0
; COMPUTE_PGM_RSRC2:USER_SGPR: 15
; COMPUTE_PGM_RSRC2:TRAP_HANDLER: 0
; COMPUTE_PGM_RSRC2:TGID_X_EN: 1
; COMPUTE_PGM_RSRC2:TGID_Y_EN: 0
; COMPUTE_PGM_RSRC2:TGID_Z_EN: 0
; COMPUTE_PGM_RSRC2:TIDIG_COMP_CNT: 0
	.section	.text._ZN2at6native12_GLOBAL__N_118cuComputeGradInputIddLb0EEEvPKT_S5_llPKT0_S8_S5_PS3_,"axG",@progbits,_ZN2at6native12_GLOBAL__N_118cuComputeGradInputIddLb0EEEvPKT_S5_llPKT0_S8_S5_PS3_,comdat
	.globl	_ZN2at6native12_GLOBAL__N_118cuComputeGradInputIddLb0EEEvPKT_S5_llPKT0_S8_S5_PS3_ ; -- Begin function _ZN2at6native12_GLOBAL__N_118cuComputeGradInputIddLb0EEEvPKT_S5_llPKT0_S8_S5_PS3_
	.p2align	8
	.type	_ZN2at6native12_GLOBAL__N_118cuComputeGradInputIddLb0EEEvPKT_S5_llPKT0_S8_S5_PS3_,@function
_ZN2at6native12_GLOBAL__N_118cuComputeGradInputIddLb0EEEvPKT_S5_llPKT0_S8_S5_PS3_: ; @_ZN2at6native12_GLOBAL__N_118cuComputeGradInputIddLb0EEEvPKT_S5_llPKT0_S8_S5_PS3_
; %bb.0:
	s_load_b128 s[16:19], s[0:1], 0x10
	s_mov_b32 s6, s15
	s_ashr_i32 s7, s15, 31
	s_waitcnt lgkmcnt(0)
	v_cmp_ge_i64_e64 s2, s[6:7], s[16:17]
	s_delay_alu instid0(VALU_DEP_1)
	s_and_b32 vcc_lo, exec_lo, s2
	s_cbranch_vccnz .LBB24_47
; %bb.1:
	v_cvt_f64_i32_e32 v[1:2], s19
	v_cvt_f64_u32_e32 v[3:4], s18
	s_clause 0x1
	s_load_b32 s2, s[0:1], 0x4c
	s_load_b256 s[8:15], s[0:1], 0x20
	v_and_b32_e32 v22, 0x3ff, v0
	v_bfe_u32 v23, v0, 10, 10
	s_clause 0x1
	s_load_b32 s30, s[0:1], 0x44
	s_load_b128 s[20:23], s[0:1], 0x0
	v_cmp_gt_i64_e64 s39, s[18:19], 0
	v_mbcnt_lo_u32_b32 v27, -1, 0
	v_cmp_eq_u32_e64 s0, 0, v23
	v_cmp_ne_u32_e64 s1, 0, v23
	s_delay_alu instid0(VALU_DEP_4)
	v_cndmask_b32_e64 v26, 0, 1, s39
	s_waitcnt lgkmcnt(0)
	s_and_b32 s31, s2, 0xffff
	s_lshr_b32 s33, s2, 16
	s_cmp_lg_u64 s[12:13], 0
	s_mul_i32 s34, s33, s31
	s_cselect_b32 s35, -1, 0
	s_ashr_i32 s38, s34, 31
	v_cmp_gt_u16_e64 s36, s2, 1
	v_cmp_gt_u16_e64 s37, s33, 1
	v_ldexp_f64 v[1:2], v[1:2], 32
	s_delay_alu instid0(VALU_DEP_1) | instskip(NEXT) | instid1(VALU_DEP_1)
	v_add_f64 v[4:5], v[1:2], v[3:4]
	v_div_scale_f64 v[1:2], null, v[4:5], v[4:5], 1.0
	s_delay_alu instid0(VALU_DEP_1) | instskip(SKIP_2) | instid1(VALU_DEP_1)
	v_rcp_f64_e32 v[6:7], v[1:2]
	s_waitcnt_depctr 0xfff
	v_fma_f64 v[8:9], -v[1:2], v[6:7], 1.0
	v_fma_f64 v[6:7], v[6:7], v[8:9], v[6:7]
	s_delay_alu instid0(VALU_DEP_1) | instskip(NEXT) | instid1(VALU_DEP_1)
	v_fma_f64 v[8:9], -v[1:2], v[6:7], 1.0
	v_fma_f64 v[6:7], v[6:7], v[8:9], v[6:7]
	v_div_scale_f64 v[8:9], vcc_lo, 1.0, v[4:5], 1.0
	s_delay_alu instid0(VALU_DEP_1) | instskip(NEXT) | instid1(VALU_DEP_1)
	v_mul_f64 v[10:11], v[8:9], v[6:7]
	v_fma_f64 v[1:2], -v[1:2], v[10:11], v[8:9]
	v_mov_b32_e32 v9, 0
	v_mad_u32_u24 v8, v23, s31, v22
	v_lshl_add_u32 v25, v22, 4, 0
	s_delay_alu instid0(VALU_DEP_2) | instskip(NEXT) | instid1(VALU_DEP_4)
	v_add_nc_u32_e32 v0, s34, v8
	v_cmp_gt_i64_e64 s2, s[18:19], v[8:9]
	v_lshl_add_u32 v24, v8, 4, 0
	v_div_fmas_f64 v[1:2], v[1:2], v[6:7], v[10:11]
	s_delay_alu instid0(VALU_DEP_4) | instskip(NEXT) | instid1(VALU_DEP_2)
	v_sub_co_u32 v10, vcc_lo, v0, s34
	v_div_fixup_f64 v[6:7], v[1:2], v[4:5], 1.0
	v_ashrrev_i32_e32 v1, 31, v0
	s_delay_alu instid0(VALU_DEP_1)
	v_subrev_co_ci_u32_e32 v11, vcc_lo, s38, v1, vcc_lo
	s_branch .LBB24_4
.LBB24_2:                               ;   in Loop: Header=BB24_4 Depth=1
	s_set_inst_prefetch_distance 0x2
	s_or_b32 exec_lo, exec_lo, s28
.LBB24_3:                               ;   in Loop: Header=BB24_4 Depth=1
	s_add_i32 s6, s30, s6
	s_waitcnt_vscnt null, 0x0
	s_ashr_i32 s7, s6, 31
	s_barrier
	v_cmp_ge_i64_e64 s3, s[6:7], s[16:17]
	buffer_gl0_inv
	s_and_b32 vcc_lo, exec_lo, s3
	s_cbranch_vccnz .LBB24_47
.LBB24_4:                               ; =>This Loop Header: Depth=1
                                        ;     Child Loop BB24_8 Depth 2
                                        ;     Child Loop BB24_19 Depth 2
	;; [unrolled: 1-line block ×6, first 2 shown]
	s_mul_i32 s3, s6, s19
	s_mul_hi_u32 s4, s6, s18
	s_mul_i32 s24, s7, s18
	s_add_i32 s3, s4, s3
	s_lshl_b64 s[4:5], s[6:7], 3
	s_add_i32 s29, s3, s24
	s_add_u32 s24, s8, s4
	s_addc_u32 s25, s9, s5
	s_add_u32 s4, s10, s4
	s_addc_u32 s5, s11, s5
	s_load_b64 s[24:25], s[24:25], 0x0
	s_load_b64 s[26:27], s[4:5], 0x0
	s_mul_i32 s28, s6, s18
	v_cmp_ne_u32_e64 s3, 1, v26
	s_lshl_b64 s[28:29], s[28:29], 3
	s_delay_alu instid0(SALU_CYCLE_1)
	s_add_u32 s7, s22, s28
	s_addc_u32 s40, s23, s29
	s_add_u32 s41, s20, s28
	s_addc_u32 s42, s21, s29
	s_and_not1_b32 vcc_lo, exec_lo, s35
	s_cbranch_vccnz .LBB24_15
; %bb.5:                                ;   in Loop: Header=BB24_4 Depth=1
	v_mov_b32_e32 v0, 0
	v_mov_b32_e32 v1, 0
	s_and_b32 vcc_lo, exec_lo, s3
	s_delay_alu instid0(VALU_DEP_1)
	v_dual_mov_b32 v3, v1 :: v_dual_mov_b32 v2, v0
	s_cbranch_vccnz .LBB24_14
; %bb.6:                                ;   in Loop: Header=BB24_4 Depth=1
	v_mov_b32_e32 v12, 0
	v_mov_b32_e32 v13, 0
	s_delay_alu instid0(VALU_DEP_2) | instskip(SKIP_2) | instid1(VALU_DEP_3)
	v_mov_b32_e32 v0, v12
	v_mov_b32_e32 v2, v12
	s_mov_b32 s4, 0
	v_mov_b32_e32 v3, v13
	v_mov_b32_e32 v1, v13
	s_branch .LBB24_8
.LBB24_7:                               ;   in Loop: Header=BB24_8 Depth=2
	s_or_b32 exec_lo, exec_lo, s3
	s_waitcnt vmcnt(0)
	v_mul_f64 v[16:17], v[14:15], v[20:21]
	s_waitcnt lgkmcnt(0)
	v_add_f64 v[18:19], v[18:19], -s[24:25]
	v_fma_f64 v[0:1], v[14:15], v[20:21], v[0:1]
	s_add_i32 s4, s4, s34
	s_delay_alu instid0(SALU_CYCLE_1) | instskip(NEXT) | instid1(SALU_CYCLE_1)
	s_ashr_i32 s5, s4, 31
	v_cmp_ge_i64_e64 s3, s[4:5], s[18:19]
	s_delay_alu instid0(VALU_DEP_1) | instskip(NEXT) | instid1(VALU_DEP_3)
	s_and_b32 vcc_lo, exec_lo, s3
	v_mul_f64 v[16:17], v[18:19], v[16:17]
	s_delay_alu instid0(VALU_DEP_1)
	v_fma_f64 v[2:3], s[26:27], v[16:17], v[2:3]
	s_cbranch_vccnz .LBB24_14
.LBB24_8:                               ;   Parent Loop BB24_4 Depth=1
                                        ; =>  This Inner Loop Header: Depth=2
	v_add_nc_u32_e32 v14, s4, v8
	s_delay_alu instid0(VALU_DEP_1) | instskip(NEXT) | instid1(VALU_DEP_1)
	v_ashrrev_i32_e32 v15, 31, v14
	v_cmp_gt_i64_e32 vcc_lo, s[18:19], v[14:15]
	v_lshlrev_b64 v[16:17], 3, v[14:15]
	v_dual_mov_b32 v15, v13 :: v_dual_mov_b32 v14, v12
	s_and_saveexec_b32 s5, vcc_lo
	s_cbranch_execz .LBB24_10
; %bb.9:                                ;   in Loop: Header=BB24_8 Depth=2
	s_delay_alu instid0(VALU_DEP_2) | instskip(NEXT) | instid1(VALU_DEP_1)
	v_add_co_u32 v14, s3, s12, v16
	v_add_co_ci_u32_e64 v15, s3, s13, v17, s3
	global_load_b64 v[14:15], v[14:15], off
.LBB24_10:                              ;   in Loop: Header=BB24_8 Depth=2
	s_or_b32 exec_lo, exec_lo, s5
	v_dual_mov_b32 v19, v13 :: v_dual_mov_b32 v18, v12
	s_and_saveexec_b32 s5, vcc_lo
	s_cbranch_execz .LBB24_12
; %bb.11:                               ;   in Loop: Header=BB24_8 Depth=2
	v_add_co_u32 v18, s3, s7, v16
	s_delay_alu instid0(VALU_DEP_1)
	v_add_co_ci_u32_e64 v19, s3, s40, v17, s3
	global_load_b64 v[18:19], v[18:19], off
.LBB24_12:                              ;   in Loop: Header=BB24_8 Depth=2
	s_or_b32 exec_lo, exec_lo, s5
	v_mov_b32_e32 v20, 0
	v_mov_b32_e32 v21, 0
	s_and_saveexec_b32 s3, vcc_lo
	s_cbranch_execz .LBB24_7
; %bb.13:                               ;   in Loop: Header=BB24_8 Depth=2
	v_add_co_u32 v16, vcc_lo, s41, v16
	v_add_co_ci_u32_e32 v17, vcc_lo, s42, v17, vcc_lo
	global_load_b64 v[20:21], v[16:17], off
	s_branch .LBB24_7
.LBB24_14:                              ;   in Loop: Header=BB24_4 Depth=1
	s_cbranch_execz .LBB24_16
	s_branch .LBB24_23
.LBB24_15:                              ;   in Loop: Header=BB24_4 Depth=1
                                        ; implicit-def: $vgpr0_vgpr1
.LBB24_16:                              ;   in Loop: Header=BB24_4 Depth=1
	v_mov_b32_e32 v0, 0
	v_mov_b32_e32 v1, 0
	s_and_not1_b32 vcc_lo, exec_lo, s39
	s_delay_alu instid0(VALU_DEP_1)
	v_dual_mov_b32 v3, v1 :: v_dual_mov_b32 v2, v0
	s_cbranch_vccnz .LBB24_23
; %bb.17:                               ;   in Loop: Header=BB24_4 Depth=1
	v_mov_b32_e32 v12, 0
	v_mov_b32_e32 v13, 0
	s_delay_alu instid0(VALU_DEP_2) | instskip(SKIP_2) | instid1(VALU_DEP_3)
	v_mov_b32_e32 v0, v12
	v_mov_b32_e32 v2, v12
	s_mov_b32 s4, 0
	v_mov_b32_e32 v3, v13
	v_mov_b32_e32 v1, v13
	s_set_inst_prefetch_distance 0x1
	s_branch .LBB24_19
	.p2align	6
.LBB24_18:                              ;   in Loop: Header=BB24_19 Depth=2
	s_or_b32 exec_lo, exec_lo, s3
	s_waitcnt vmcnt(0) lgkmcnt(0)
	v_add_f64 v[14:15], v[14:15], -s[24:25]
	v_add_f64 v[0:1], v[0:1], v[18:19]
	s_add_i32 s4, s4, s34
	s_delay_alu instid0(SALU_CYCLE_1) | instskip(NEXT) | instid1(SALU_CYCLE_1)
	s_ashr_i32 s5, s4, 31
	v_cmp_ge_i64_e64 s3, s[4:5], s[18:19]
	s_delay_alu instid0(VALU_DEP_1) | instskip(NEXT) | instid1(VALU_DEP_3)
	s_and_b32 vcc_lo, exec_lo, s3
	v_mul_f64 v[14:15], v[14:15], v[18:19]
	s_delay_alu instid0(VALU_DEP_1)
	v_fma_f64 v[2:3], s[26:27], v[14:15], v[2:3]
	s_cbranch_vccnz .LBB24_23
.LBB24_19:                              ;   Parent Loop BB24_4 Depth=1
                                        ; =>  This Inner Loop Header: Depth=2
	v_add_nc_u32_e32 v14, s4, v8
	s_delay_alu instid0(VALU_DEP_1) | instskip(NEXT) | instid1(VALU_DEP_1)
	v_ashrrev_i32_e32 v15, 31, v14
	v_cmp_gt_i64_e32 vcc_lo, s[18:19], v[14:15]
	v_lshlrev_b64 v[16:17], 3, v[14:15]
	v_dual_mov_b32 v15, v13 :: v_dual_mov_b32 v14, v12
	s_and_saveexec_b32 s5, vcc_lo
	s_cbranch_execz .LBB24_21
; %bb.20:                               ;   in Loop: Header=BB24_19 Depth=2
	s_delay_alu instid0(VALU_DEP_2) | instskip(NEXT) | instid1(VALU_DEP_1)
	v_add_co_u32 v14, s3, s7, v16
	v_add_co_ci_u32_e64 v15, s3, s40, v17, s3
	global_load_b64 v[14:15], v[14:15], off
.LBB24_21:                              ;   in Loop: Header=BB24_19 Depth=2
	s_or_b32 exec_lo, exec_lo, s5
	v_dual_mov_b32 v19, v13 :: v_dual_mov_b32 v18, v12
	s_and_saveexec_b32 s3, vcc_lo
	s_cbranch_execz .LBB24_18
; %bb.22:                               ;   in Loop: Header=BB24_19 Depth=2
	v_add_co_u32 v16, vcc_lo, s41, v16
	v_add_co_ci_u32_e32 v17, vcc_lo, s42, v17, vcc_lo
	global_load_b64 v[18:19], v[16:17], off
	s_branch .LBB24_18
.LBB24_23:                              ;   in Loop: Header=BB24_4 Depth=1
	s_set_inst_prefetch_distance 0x2
	s_and_not1_b32 vcc_lo, exec_lo, s36
	s_cbranch_vccnz .LBB24_26
; %bb.24:                               ;   in Loop: Header=BB24_4 Depth=1
	s_mov_b32 s3, s31
	.p2align	6
.LBB24_25:                              ;   Parent Loop BB24_4 Depth=1
                                        ; =>  This Inner Loop Header: Depth=2
	s_delay_alu instid0(SALU_CYCLE_1) | instskip(SKIP_3) | instid1(VALU_DEP_1)
	s_lshr_b32 s4, s3, 1
	s_cmp_lt_u32 s3, 4
	v_xor_b32_e32 v12, s4, v27
	s_mov_b32 s3, s4
	v_cmp_gt_i32_e32 vcc_lo, 32, v12
	v_cndmask_b32_e32 v12, v27, v12, vcc_lo
	s_delay_alu instid0(VALU_DEP_1)
	v_lshlrev_b32_e32 v15, 2, v12
	ds_bpermute_b32 v12, v15, v0
	ds_bpermute_b32 v13, v15, v1
	ds_bpermute_b32 v14, v15, v2
	ds_bpermute_b32 v15, v15, v3
	s_waitcnt lgkmcnt(0)
	v_add_f64 v[0:1], v[0:1], v[12:13]
	v_add_f64 v[2:3], v[2:3], v[14:15]
	s_cbranch_scc0 .LBB24_25
.LBB24_26:                              ;   in Loop: Header=BB24_4 Depth=1
	s_and_not1_b32 vcc_lo, exec_lo, s37
	s_mov_b32 s5, s33
	s_cbranch_vccnz .LBB24_38
	.p2align	6
.LBB24_27:                              ;   Parent Loop BB24_4 Depth=1
                                        ; =>  This Inner Loop Header: Depth=2
	s_lshr_b32 s43, s5, 1
	s_and_b32 s4, s5, 0xfffe
	v_cmp_le_u32_e64 s3, s43, v23
	v_cmp_gt_u32_e64 s4, s4, v23
	v_cmp_gt_u32_e32 vcc_lo, s43, v23
	s_delay_alu instid0(VALU_DEP_2) | instskip(NEXT) | instid1(SALU_CYCLE_1)
	s_and_b32 s4, s3, s4
	s_and_saveexec_b32 s3, s4
	s_cbranch_execz .LBB24_29
; %bb.28:                               ;   in Loop: Header=BB24_27 Depth=2
	v_subrev_nc_u32_e32 v12, s43, v23
	s_delay_alu instid0(VALU_DEP_1) | instskip(NEXT) | instid1(VALU_DEP_1)
	v_mad_i32_i24 v12, v12, s31, v22
	v_lshl_add_u32 v12, v12, 4, 0
	ds_store_2addr_b64 v12, v[0:1], v[2:3] offset1:1
.LBB24_29:                              ;   in Loop: Header=BB24_27 Depth=2
	s_or_b32 exec_lo, exec_lo, s3
	s_waitcnt lgkmcnt(0)
	s_barrier
	buffer_gl0_inv
	s_and_saveexec_b32 s3, vcc_lo
	s_cbranch_execz .LBB24_31
; %bb.30:                               ;   in Loop: Header=BB24_27 Depth=2
	ds_load_2addr_b64 v[12:15], v24 offset1:1
	s_waitcnt lgkmcnt(0)
	v_add_f64 v[0:1], v[0:1], v[12:13]
	v_add_f64 v[2:3], v[2:3], v[14:15]
.LBB24_31:                              ;   in Loop: Header=BB24_27 Depth=2
	s_or_b32 exec_lo, exec_lo, s3
	s_cmp_lt_u32 s5, 4
	s_barrier
	buffer_gl0_inv
	s_cbranch_scc1 .LBB24_33
; %bb.32:                               ;   in Loop: Header=BB24_27 Depth=2
	s_mov_b32 s5, s43
	s_branch .LBB24_27
.LBB24_33:                              ;   in Loop: Header=BB24_4 Depth=1
	s_and_saveexec_b32 s3, s0
	s_cbranch_execz .LBB24_35
; %bb.34:                               ;   in Loop: Header=BB24_4 Depth=1
	ds_store_2addr_b64 v25, v[0:1], v[2:3] offset1:1
.LBB24_35:                              ;   in Loop: Header=BB24_4 Depth=1
	s_or_b32 exec_lo, exec_lo, s3
	s_waitcnt lgkmcnt(0)
	s_barrier
	buffer_gl0_inv
	s_and_saveexec_b32 s3, s1
	s_cbranch_execz .LBB24_37
; %bb.36:                               ;   in Loop: Header=BB24_4 Depth=1
	ds_load_2addr_b64 v[0:3], v25 offset1:1
.LBB24_37:                              ;   in Loop: Header=BB24_4 Depth=1
	s_or_b32 exec_lo, exec_lo, s3
.LBB24_38:                              ;   in Loop: Header=BB24_4 Depth=1
	s_waitcnt lgkmcnt(0)
	v_mul_f64 v[12:13], v[6:7], s[26:27]
	s_add_u32 s4, s14, s28
	s_addc_u32 s5, s15, s29
	s_and_not1_b32 vcc_lo, exec_lo, s35
	s_cbranch_vccnz .LBB24_43
; %bb.39:                               ;   in Loop: Header=BB24_4 Depth=1
	s_and_saveexec_b32 s28, s2
	s_cbranch_execz .LBB24_42
; %bb.40:                               ;   in Loop: Header=BB24_4 Depth=1
	v_dual_mov_b32 v15, v11 :: v_dual_mov_b32 v14, v10
	v_dual_mov_b32 v17, v9 :: v_dual_mov_b32 v16, v8
	s_mov_b32 s29, 0
	s_set_inst_prefetch_distance 0x1
	.p2align	6
.LBB24_41:                              ;   Parent Loop BB24_4 Depth=1
                                        ; =>  This Inner Loop Header: Depth=2
	s_delay_alu instid0(VALU_DEP_1) | instskip(NEXT) | instid1(VALU_DEP_1)
	v_lshlrev_b64 v[18:19], 3, v[16:17]
	v_add_co_u32 v16, vcc_lo, s41, v18
	s_delay_alu instid0(VALU_DEP_2)
	v_add_co_ci_u32_e32 v17, vcc_lo, s42, v19, vcc_lo
	v_add_co_u32 v20, vcc_lo, s7, v18
	v_add_co_ci_u32_e32 v21, vcc_lo, s40, v19, vcc_lo
	v_add_co_u32 v28, vcc_lo, s12, v18
	global_load_b64 v[16:17], v[16:17], off
	global_load_b64 v[20:21], v[20:21], off
	v_add_co_ci_u32_e32 v29, vcc_lo, s13, v19, vcc_lo
	v_add_co_u32 v14, vcc_lo, v14, s34
	v_add_co_ci_u32_e32 v15, vcc_lo, s38, v15, vcc_lo
	global_load_b64 v[28:29], v[28:29], off
	v_add_co_u32 v18, s3, s4, v18
	v_cmp_le_i64_e32 vcc_lo, s[18:19], v[14:15]
	v_add_co_ci_u32_e64 v19, s3, s5, v19, s3
	s_or_b32 s29, vcc_lo, s29
	s_waitcnt vmcnt(2)
	v_mul_f64 v[16:17], v[16:17], v[4:5]
	s_waitcnt vmcnt(1)
	v_add_f64 v[20:21], v[20:21], -s[24:25]
	s_waitcnt vmcnt(0)
	s_delay_alu instid0(VALU_DEP_2) | instskip(NEXT) | instid1(VALU_DEP_2)
	v_fma_f64 v[16:17], v[16:17], v[28:29], -v[0:1]
	v_mul_f64 v[20:21], s[26:27], v[20:21]
	s_delay_alu instid0(VALU_DEP_1) | instskip(NEXT) | instid1(VALU_DEP_1)
	v_fma_f64 v[16:17], -v[2:3], v[20:21], v[16:17]
	v_mul_f64 v[20:21], v[12:13], v[16:17]
	v_ashrrev_i32_e32 v17, 31, v14
	v_mov_b32_e32 v16, v14
	global_store_b64 v[18:19], v[20:21], off
	s_and_not1_b32 exec_lo, exec_lo, s29
	s_cbranch_execnz .LBB24_41
.LBB24_42:                              ;   in Loop: Header=BB24_4 Depth=1
	s_set_inst_prefetch_distance 0x2
	s_or_b32 exec_lo, exec_lo, s28
	s_cbranch_execnz .LBB24_3
	s_branch .LBB24_44
.LBB24_43:                              ;   in Loop: Header=BB24_4 Depth=1
.LBB24_44:                              ;   in Loop: Header=BB24_4 Depth=1
	s_and_saveexec_b32 s28, s2
	s_cbranch_execz .LBB24_2
; %bb.45:                               ;   in Loop: Header=BB24_4 Depth=1
	v_dual_mov_b32 v15, v11 :: v_dual_mov_b32 v14, v10
	v_dual_mov_b32 v17, v9 :: v_dual_mov_b32 v16, v8
	s_mov_b32 s29, 0
	s_set_inst_prefetch_distance 0x1
	.p2align	6
.LBB24_46:                              ;   Parent Loop BB24_4 Depth=1
                                        ; =>  This Inner Loop Header: Depth=2
	s_delay_alu instid0(VALU_DEP_1) | instskip(NEXT) | instid1(VALU_DEP_1)
	v_lshlrev_b64 v[18:19], 3, v[16:17]
	v_add_co_u32 v16, vcc_lo, s7, v18
	s_delay_alu instid0(VALU_DEP_2)
	v_add_co_ci_u32_e32 v17, vcc_lo, s40, v19, vcc_lo
	v_add_co_u32 v20, vcc_lo, s41, v18
	v_add_co_ci_u32_e32 v21, vcc_lo, s42, v19, vcc_lo
	global_load_b64 v[16:17], v[16:17], off
	v_add_co_u32 v14, vcc_lo, v14, s34
	global_load_b64 v[20:21], v[20:21], off
	v_add_co_ci_u32_e32 v15, vcc_lo, s38, v15, vcc_lo
	v_add_co_u32 v18, s3, s4, v18
	s_delay_alu instid0(VALU_DEP_1) | instskip(NEXT) | instid1(VALU_DEP_3)
	v_add_co_ci_u32_e64 v19, s3, s5, v19, s3
	v_cmp_le_i64_e32 vcc_lo, s[18:19], v[14:15]
	s_or_b32 s29, vcc_lo, s29
	s_waitcnt vmcnt(1)
	v_add_f64 v[16:17], v[16:17], -s[24:25]
	s_waitcnt vmcnt(0)
	v_fma_f64 v[20:21], v[20:21], v[4:5], -v[0:1]
	s_delay_alu instid0(VALU_DEP_2) | instskip(NEXT) | instid1(VALU_DEP_1)
	v_mul_f64 v[16:17], s[26:27], v[16:17]
	v_fma_f64 v[16:17], -v[2:3], v[16:17], v[20:21]
	s_delay_alu instid0(VALU_DEP_1)
	v_mul_f64 v[20:21], v[12:13], v[16:17]
	v_ashrrev_i32_e32 v17, 31, v14
	v_mov_b32_e32 v16, v14
	global_store_b64 v[18:19], v[20:21], off
	s_and_not1_b32 exec_lo, exec_lo, s29
	s_cbranch_execnz .LBB24_46
	s_branch .LBB24_2
.LBB24_47:
	s_endpgm
	.section	.rodata,"a",@progbits
	.p2align	6, 0x0
	.amdhsa_kernel _ZN2at6native12_GLOBAL__N_118cuComputeGradInputIddLb0EEEvPKT_S5_llPKT0_S8_S5_PS3_
		.amdhsa_group_segment_fixed_size 0
		.amdhsa_private_segment_fixed_size 0
		.amdhsa_kernarg_size 320
		.amdhsa_user_sgpr_count 14
		.amdhsa_user_sgpr_dispatch_ptr 0
		.amdhsa_user_sgpr_queue_ptr 0
		.amdhsa_user_sgpr_kernarg_segment_ptr 1
		.amdhsa_user_sgpr_dispatch_id 0
		.amdhsa_user_sgpr_private_segment_size 0
		.amdhsa_wavefront_size32 1
		.amdhsa_uses_dynamic_stack 0
		.amdhsa_enable_private_segment 0
		.amdhsa_system_sgpr_workgroup_id_x 1
		.amdhsa_system_sgpr_workgroup_id_y 1
		.amdhsa_system_sgpr_workgroup_id_z 0
		.amdhsa_system_sgpr_workgroup_info 0
		.amdhsa_system_vgpr_workitem_id 1
		.amdhsa_next_free_vgpr 30
		.amdhsa_next_free_sgpr 44
		.amdhsa_reserve_vcc 1
		.amdhsa_float_round_mode_32 0
		.amdhsa_float_round_mode_16_64 0
		.amdhsa_float_denorm_mode_32 3
		.amdhsa_float_denorm_mode_16_64 3
		.amdhsa_dx10_clamp 1
		.amdhsa_ieee_mode 1
		.amdhsa_fp16_overflow 0
		.amdhsa_workgroup_processor_mode 1
		.amdhsa_memory_ordered 1
		.amdhsa_forward_progress 0
		.amdhsa_shared_vgpr_count 0
		.amdhsa_exception_fp_ieee_invalid_op 0
		.amdhsa_exception_fp_denorm_src 0
		.amdhsa_exception_fp_ieee_div_zero 0
		.amdhsa_exception_fp_ieee_overflow 0
		.amdhsa_exception_fp_ieee_underflow 0
		.amdhsa_exception_fp_ieee_inexact 0
		.amdhsa_exception_int_div_zero 0
	.end_amdhsa_kernel
	.section	.text._ZN2at6native12_GLOBAL__N_118cuComputeGradInputIddLb0EEEvPKT_S5_llPKT0_S8_S5_PS3_,"axG",@progbits,_ZN2at6native12_GLOBAL__N_118cuComputeGradInputIddLb0EEEvPKT_S5_llPKT0_S8_S5_PS3_,comdat
.Lfunc_end24:
	.size	_ZN2at6native12_GLOBAL__N_118cuComputeGradInputIddLb0EEEvPKT_S5_llPKT0_S8_S5_PS3_, .Lfunc_end24-_ZN2at6native12_GLOBAL__N_118cuComputeGradInputIddLb0EEEvPKT_S5_llPKT0_S8_S5_PS3_
                                        ; -- End function
	.section	.AMDGPU.csdata,"",@progbits
; Kernel info:
; codeLenInByte = 1952
; NumSgprs: 46
; NumVgprs: 30
; ScratchSize: 0
; MemoryBound: 0
; FloatMode: 240
; IeeeMode: 1
; LDSByteSize: 0 bytes/workgroup (compile time only)
; SGPRBlocks: 5
; VGPRBlocks: 3
; NumSGPRsForWavesPerEU: 46
; NumVGPRsForWavesPerEU: 30
; Occupancy: 16
; WaveLimiterHint : 0
; COMPUTE_PGM_RSRC2:SCRATCH_EN: 0
; COMPUTE_PGM_RSRC2:USER_SGPR: 14
; COMPUTE_PGM_RSRC2:TRAP_HANDLER: 0
; COMPUTE_PGM_RSRC2:TGID_X_EN: 1
; COMPUTE_PGM_RSRC2:TGID_Y_EN: 1
; COMPUTE_PGM_RSRC2:TGID_Z_EN: 0
; COMPUTE_PGM_RSRC2:TIDIG_COMP_CNT: 1
	.section	.text._ZN2at6native12_GLOBAL__N_128layer_norm_grad_input_kernelIddLb0EEEvPKT_S5_PKT0_S8_S5_PS3_i,"axG",@progbits,_ZN2at6native12_GLOBAL__N_128layer_norm_grad_input_kernelIddLb0EEEvPKT_S5_PKT0_S8_S5_PS3_i,comdat
	.globl	_ZN2at6native12_GLOBAL__N_128layer_norm_grad_input_kernelIddLb0EEEvPKT_S5_PKT0_S8_S5_PS3_i ; -- Begin function _ZN2at6native12_GLOBAL__N_128layer_norm_grad_input_kernelIddLb0EEEvPKT_S5_PKT0_S8_S5_PS3_i
	.p2align	8
	.type	_ZN2at6native12_GLOBAL__N_128layer_norm_grad_input_kernelIddLb0EEEvPKT_S5_PKT0_S8_S5_PS3_i,@function
_ZN2at6native12_GLOBAL__N_128layer_norm_grad_input_kernelIddLb0EEEvPKT_S5_PKT0_S8_S5_PS3_i: ; @_ZN2at6native12_GLOBAL__N_128layer_norm_grad_input_kernelIddLb0EEEvPKT_S5_PKT0_S8_S5_PS3_i
; %bb.0:
	s_clause 0x2
	s_load_b32 s16, s[0:1], 0x30
	s_load_b256 s[4:11], s[0:1], 0x0
	s_load_b64 s[12:13], s[0:1], 0x20
	s_mov_b32 s2, s15
	s_mov_b32 s3, 0
	v_lshlrev_b32_e32 v3, 2, v0
	v_mov_b32_e32 v5, 0
	v_mov_b32_e32 v6, 0
	s_delay_alu instid0(VALU_DEP_3)
	v_or_b32_e32 v1, 3, v3
	s_waitcnt lgkmcnt(0)
	s_ashr_i32 s14, s16, 31
	s_mul_hi_u32 s17, s16, s15
	s_mul_i32 s18, s14, s15
	s_lshl_b64 s[14:15], s[2:3], 3
	s_add_i32 s19, s17, s18
	s_add_u32 s8, s8, s14
	s_addc_u32 s9, s9, s15
	s_add_u32 s10, s10, s14
	s_addc_u32 s11, s11, s15
	s_load_b64 s[8:9], s[8:9], 0x0
	s_load_b64 s[10:11], s[10:11], 0x0
	s_mul_i32 s18, s16, s2
	v_cmp_gt_u32_e32 vcc_lo, s16, v1
	s_lshl_b64 s[14:15], s[18:19], 3
	v_dual_mov_b32 v1, v5 :: v_dual_mov_b32 v2, v6
	s_add_u32 s17, s6, s14
	s_addc_u32 s18, s7, s15
	s_add_u32 s19, s4, s14
	s_addc_u32 s20, s5, s15
	s_and_saveexec_b32 s2, vcc_lo
	s_cbranch_execz .LBB25_12
; %bb.1:
	s_load_b32 s22, s[0:1], 0x44
	s_cmp_lg_u64 s[12:13], 0
	v_dual_mov_b32 v5, 0 :: v_dual_mov_b32 v4, 0
	v_mov_b32_e32 v6, 0
	s_cselect_b32 s21, -1, 0
	s_delay_alu instid0(VALU_DEP_1) | instskip(SKIP_2) | instid1(SALU_CYCLE_1)
	v_dual_mov_b32 v1, v5 :: v_dual_mov_b32 v2, v6
	s_waitcnt lgkmcnt(0)
	s_and_b32 s22, s22, 0xffff
	s_lshl_b32 s22, s22, 2
	s_add_u32 s23, s12, 8
	s_addc_u32 s24, s13, 0
	s_add_u32 s25, s12, 16
	s_addc_u32 s26, s13, 0
	;; [unrolled: 2-line block ×3, first 2 shown]
	s_branch .LBB25_3
.LBB25_2:                               ;   in Loop: Header=BB25_3 Depth=1
	global_load_b64 v[17:18], v[17:18], off offset:24
	global_load_b64 v[11:12], v[11:12], off offset:24
	s_waitcnt vmcnt(6)
	v_mul_f64 v[19:20], v[9:10], v[13:14]
	v_add_f64 v[15:16], v[15:16], -s[8:9]
	s_waitcnt vmcnt(4)
	v_mul_f64 v[33:34], v[7:8], v[23:24]
	v_add_f64 v[27:28], v[27:28], -s[8:9]
	v_fma_f64 v[5:6], v[9:10], v[13:14], v[5:6]
	s_waitcnt vmcnt(2)
	v_mul_f64 v[9:10], v[25:26], v[29:30]
	v_add_f64 v[13:14], v[31:32], -s[8:9]
	v_add_nc_u32_e32 v3, s22, v3
	v_mul_f64 v[15:16], v[15:16], v[19:20]
	v_mul_f64 v[19:20], v[27:28], v[33:34]
	v_fma_f64 v[5:6], v[7:8], v[23:24], v[5:6]
	v_mul_f64 v[7:8], v[13:14], v[9:10]
	s_delay_alu instid0(VALU_DEP_4) | instskip(NEXT) | instid1(VALU_DEP_3)
	v_fma_f64 v[1:2], s[10:11], v[15:16], v[1:2]
	v_fma_f64 v[5:6], v[25:26], v[29:30], v[5:6]
	s_delay_alu instid0(VALU_DEP_2) | instskip(NEXT) | instid1(VALU_DEP_1)
	v_fma_f64 v[1:2], s[10:11], v[19:20], v[1:2]
	v_fma_f64 v[1:2], s[10:11], v[7:8], v[1:2]
	s_waitcnt vmcnt(1)
	v_mul_f64 v[9:10], v[21:22], v[17:18]
	s_waitcnt vmcnt(0)
	v_add_f64 v[11:12], v[11:12], -s[8:9]
	v_fma_f64 v[5:6], v[21:22], v[17:18], v[5:6]
	s_delay_alu instid0(VALU_DEP_2) | instskip(NEXT) | instid1(VALU_DEP_1)
	v_mul_f64 v[7:8], v[11:12], v[9:10]
	v_fma_f64 v[1:2], s[10:11], v[7:8], v[1:2]
	v_add_nc_u32_e32 v7, 3, v3
	s_delay_alu instid0(VALU_DEP_1) | instskip(SKIP_1) | instid1(SALU_CYCLE_1)
	v_cmp_le_u32_e32 vcc_lo, s16, v7
	s_or_b32 s3, vcc_lo, s3
	s_and_not1_b32 exec_lo, exec_lo, s3
	s_cbranch_execz .LBB25_11
.LBB25_3:                               ; =>This Inner Loop Header: Depth=1
	v_mov_b32_e32 v7, 0
	v_mov_b32_e32 v8, 0x3ff00000
	v_lshlrev_b64 v[19:20], 3, v[3:4]
	s_and_b32 vcc_lo, exec_lo, s21
	s_delay_alu instid0(VALU_DEP_2)
	v_dual_mov_b32 v10, v8 :: v_dual_mov_b32 v9, v7
	s_cbranch_vccz .LBB25_5
; %bb.4:                                ;   in Loop: Header=BB25_3 Depth=1
	s_delay_alu instid0(VALU_DEP_2) | instskip(NEXT) | instid1(VALU_DEP_3)
	v_add_co_u32 v9, vcc_lo, s12, v19
	v_add_co_ci_u32_e32 v10, vcc_lo, s13, v20, vcc_lo
	global_load_b64 v[9:10], v[9:10], off
.LBB25_5:                               ;   in Loop: Header=BB25_3 Depth=1
	s_delay_alu instid0(VALU_DEP_2) | instskip(NEXT) | instid1(VALU_DEP_3)
	v_add_co_u32 v11, vcc_lo, s17, v19
	v_add_co_ci_u32_e32 v12, vcc_lo, s18, v20, vcc_lo
	v_add_co_u32 v17, vcc_lo, s19, v19
	v_add_co_ci_u32_e32 v18, vcc_lo, s20, v20, vcc_lo
	s_and_not1_b32 vcc_lo, exec_lo, s21
	global_load_b64 v[15:16], v[11:12], off
	global_load_b64 v[13:14], v[17:18], off
	s_cbranch_vccnz .LBB25_7
; %bb.6:                                ;   in Loop: Header=BB25_3 Depth=1
	v_add_co_u32 v7, vcc_lo, s23, v19
	v_add_co_ci_u32_e32 v8, vcc_lo, s24, v20, vcc_lo
	global_load_b64 v[7:8], v[7:8], off
.LBB25_7:                               ;   in Loop: Header=BB25_3 Depth=1
	global_load_b64 v[27:28], v[11:12], off offset:8
	global_load_b64 v[23:24], v[17:18], off offset:8
	v_mov_b32_e32 v21, 0
	v_mov_b32_e32 v22, 0x3ff00000
	s_and_not1_b32 vcc_lo, exec_lo, s21
	s_delay_alu instid0(VALU_DEP_1)
	v_dual_mov_b32 v26, v22 :: v_dual_mov_b32 v25, v21
	s_cbranch_vccnz .LBB25_9
; %bb.8:                                ;   in Loop: Header=BB25_3 Depth=1
	v_add_co_u32 v25, vcc_lo, s25, v19
	v_add_co_ci_u32_e32 v26, vcc_lo, s26, v20, vcc_lo
	global_load_b64 v[25:26], v[25:26], off
.LBB25_9:                               ;   in Loop: Header=BB25_3 Depth=1
	global_load_b64 v[31:32], v[11:12], off offset:16
	global_load_b64 v[29:30], v[17:18], off offset:16
	s_and_not1_b32 vcc_lo, exec_lo, s21
	s_cbranch_vccnz .LBB25_2
; %bb.10:                               ;   in Loop: Header=BB25_3 Depth=1
	v_add_co_u32 v19, vcc_lo, s27, v19
	v_add_co_ci_u32_e32 v20, vcc_lo, s28, v20, vcc_lo
	global_load_b64 v[21:22], v[19:20], off
	s_branch .LBB25_2
.LBB25_11:
	s_or_b32 exec_lo, exec_lo, s3
.LBB25_12:
	s_delay_alu instid0(SALU_CYCLE_1) | instskip(NEXT) | instid1(SALU_CYCLE_1)
	s_or_b32 exec_lo, exec_lo, s2
	s_mov_b32 s3, exec_lo
	v_cmpx_gt_u32_e64 s16, v3
	s_cbranch_execz .LBB25_19
; %bb.13:
	v_mov_b32_e32 v4, 0
	s_cmp_lg_u64 s[12:13], 0
	s_delay_alu instid0(VALU_DEP_1) | instskip(NEXT) | instid1(VALU_DEP_1)
	v_lshlrev_b64 v[7:8], 3, v[3:4]
	v_add_co_u32 v4, vcc_lo, s14, v7
	s_delay_alu instid0(VALU_DEP_2) | instskip(SKIP_2) | instid1(VALU_DEP_4)
	v_add_co_ci_u32_e32 v12, vcc_lo, s15, v8, vcc_lo
	v_add_co_u32 v7, vcc_lo, s12, v7
	v_add_co_ci_u32_e32 v8, vcc_lo, s13, v8, vcc_lo
	v_add_co_u32 v9, vcc_lo, s6, v4
	s_delay_alu instid0(VALU_DEP_4)
	v_add_co_ci_u32_e32 v10, vcc_lo, s7, v12, vcc_lo
	v_add_co_u32 v11, vcc_lo, s4, v4
	v_add_co_ci_u32_e32 v12, vcc_lo, s5, v12, vcc_lo
	s_cselect_b32 s4, -1, 0
	s_mov_b32 s5, 0
	s_set_inst_prefetch_distance 0x1
	s_branch .LBB25_16
	.p2align	6
.LBB25_14:                              ;   in Loop: Header=BB25_16 Depth=1
	global_load_b64 v[13:14], v[7:8], off
.LBB25_15:                              ;   in Loop: Header=BB25_16 Depth=1
	global_load_b64 v[15:16], v[11:12], off
	global_load_b64 v[17:18], v[9:10], off
	v_add_co_u32 v7, vcc_lo, v7, 8
	v_add_nc_u32_e32 v3, 1, v3
	v_add_co_ci_u32_e32 v8, vcc_lo, 0, v8, vcc_lo
	v_add_co_u32 v9, vcc_lo, v9, 8
	v_add_co_ci_u32_e32 v10, vcc_lo, 0, v10, vcc_lo
	s_delay_alu instid0(VALU_DEP_4) | instskip(SKIP_1) | instid1(VALU_DEP_1)
	v_cmp_le_u32_e32 vcc_lo, s16, v3
	v_add_co_u32 v11, s2, v11, 8
	v_add_co_ci_u32_e64 v12, s2, 0, v12, s2
	s_or_b32 s5, vcc_lo, s5
	s_waitcnt vmcnt(1)
	v_mul_f64 v[19:20], v[13:14], v[15:16]
	s_waitcnt vmcnt(0) lgkmcnt(0)
	v_add_f64 v[17:18], v[17:18], -s[8:9]
	v_fma_f64 v[5:6], v[13:14], v[15:16], v[5:6]
	s_delay_alu instid0(VALU_DEP_2) | instskip(NEXT) | instid1(VALU_DEP_1)
	v_mul_f64 v[17:18], v[17:18], v[19:20]
	v_fma_f64 v[1:2], s[10:11], v[17:18], v[1:2]
	s_and_not1_b32 exec_lo, exec_lo, s5
	s_cbranch_execz .LBB25_18
.LBB25_16:                              ; =>This Inner Loop Header: Depth=1
	s_and_not1_b32 vcc_lo, exec_lo, s4
	s_cbranch_vccz .LBB25_14
; %bb.17:                               ;   in Loop: Header=BB25_16 Depth=1
	v_mov_b32_e32 v13, 0
	v_mov_b32_e32 v14, 0x3ff00000
	s_branch .LBB25_15
.LBB25_18:
	s_set_inst_prefetch_distance 0x2
	s_or_b32 exec_lo, exec_lo, s5
.LBB25_19:
	s_delay_alu instid0(SALU_CYCLE_1)
	s_or_b32 exec_lo, exec_lo, s3
	v_mbcnt_lo_u32_b32 v11, -1, 0
	v_and_b32_e32 v13, 31, v0
	v_lshrrev_b32_e32 v12, 2, v0
	s_waitcnt lgkmcnt(0)
	s_barrier
	v_cmp_gt_u32_e32 vcc_lo, 16, v11
	buffer_gl0_inv
	v_cndmask_b32_e64 v3, 0, 1, vcc_lo
	v_cmp_gt_u32_e32 vcc_lo, 24, v11
	s_delay_alu instid0(VALU_DEP_2) | instskip(NEXT) | instid1(VALU_DEP_1)
	v_lshlrev_b32_e32 v3, 4, v3
	v_add_lshl_u32 v7, v3, v11, 2
	ds_bpermute_b32 v3, v7, v5
	ds_bpermute_b32 v4, v7, v6
	s_waitcnt lgkmcnt(0)
	v_add_f64 v[3:4], v[5:6], v[3:4]
	v_cndmask_b32_e64 v5, 0, 1, vcc_lo
	v_cmp_gt_u32_e32 vcc_lo, 28, v11
	s_delay_alu instid0(VALU_DEP_2) | instskip(NEXT) | instid1(VALU_DEP_1)
	v_lshlrev_b32_e32 v5, 3, v5
	v_add_lshl_u32 v8, v5, v11, 2
	ds_bpermute_b32 v5, v8, v3
	ds_bpermute_b32 v6, v8, v4
	s_waitcnt lgkmcnt(0)
	v_add_f64 v[3:4], v[3:4], v[5:6]
	;; [unrolled: 9-line block ×3, first 2 shown]
	v_cndmask_b32_e64 v5, 0, 1, vcc_lo
	v_cmp_ne_u32_e32 vcc_lo, 31, v11
	s_delay_alu instid0(VALU_DEP_2) | instskip(NEXT) | instid1(VALU_DEP_1)
	v_lshlrev_b32_e32 v5, 1, v5
	v_add_lshl_u32 v10, v5, v11, 2
	ds_bpermute_b32 v5, v10, v3
	ds_bpermute_b32 v6, v10, v4
	s_waitcnt lgkmcnt(0)
	v_add_f64 v[3:4], v[3:4], v[5:6]
	v_add_co_ci_u32_e32 v5, vcc_lo, 0, v11, vcc_lo
	v_cmp_eq_u32_e32 vcc_lo, 0, v13
	s_delay_alu instid0(VALU_DEP_2)
	v_lshlrev_b32_e32 v11, 2, v5
	ds_bpermute_b32 v5, v11, v3
	ds_bpermute_b32 v6, v11, v4
	s_and_saveexec_b32 s2, vcc_lo
	s_cbranch_execz .LBB25_21
; %bb.20:
	s_waitcnt lgkmcnt(0)
	v_add_f64 v[3:4], v[3:4], v[5:6]
	v_add_nc_u32_e32 v5, 0, v12
	ds_store_b64 v5, v[3:4]
.LBB25_21:
	s_or_b32 exec_lo, exec_lo, s2
	s_waitcnt lgkmcnt(0)
	s_barrier
	buffer_gl0_inv
	s_load_b32 s4, s[0:1], 0x44
	v_mov_b32_e32 v3, 0
	v_mov_b32_e32 v4, 0
	v_lshl_add_u32 v13, v13, 3, 0
	s_waitcnt lgkmcnt(0)
	s_bfe_u32 s2, s4, 0xb0005
	s_delay_alu instid0(SALU_CYCLE_1) | instskip(NEXT) | instid1(VALU_DEP_1)
	v_cmp_gt_u32_e64 s2, s2, v0
	s_and_saveexec_b32 s3, s2
	s_cbranch_execz .LBB25_23
; %bb.22:
	ds_load_b64 v[3:4], v13
.LBB25_23:
	s_or_b32 exec_lo, exec_lo, s3
	v_cmp_gt_u32_e64 s3, 32, v0
	s_delay_alu instid0(VALU_DEP_1)
	s_and_saveexec_b32 s5, s3
	s_cbranch_execz .LBB25_25
; %bb.24:
	s_waitcnt lgkmcnt(0)
	ds_bpermute_b32 v5, v7, v3
	ds_bpermute_b32 v6, v7, v4
	s_waitcnt lgkmcnt(0)
	v_add_f64 v[3:4], v[3:4], v[5:6]
	ds_bpermute_b32 v5, v8, v3
	ds_bpermute_b32 v6, v8, v4
	s_waitcnt lgkmcnt(0)
	v_add_f64 v[3:4], v[3:4], v[5:6]
	;; [unrolled: 4-line block ×5, first 2 shown]
.LBB25_25:
	s_or_b32 exec_lo, exec_lo, s5
	ds_bpermute_b32 v5, v7, v1
	ds_bpermute_b32 v6, v7, v2
	s_waitcnt lgkmcnt(0)
	s_barrier
	buffer_gl0_inv
	v_add_f64 v[1:2], v[1:2], v[5:6]
	ds_bpermute_b32 v5, v8, v1
	ds_bpermute_b32 v6, v8, v2
	s_waitcnt lgkmcnt(0)
	v_add_f64 v[1:2], v[1:2], v[5:6]
	ds_bpermute_b32 v5, v9, v1
	ds_bpermute_b32 v6, v9, v2
	s_waitcnt lgkmcnt(0)
	;; [unrolled: 4-line block ×3, first 2 shown]
	v_add_f64 v[1:2], v[1:2], v[5:6]
	ds_bpermute_b32 v5, v11, v1
	ds_bpermute_b32 v6, v11, v2
	s_and_saveexec_b32 s5, vcc_lo
	s_cbranch_execz .LBB25_27
; %bb.26:
	s_waitcnt lgkmcnt(0)
	v_add_f64 v[1:2], v[1:2], v[5:6]
	v_add_nc_u32_e32 v5, 0, v12
	ds_store_b64 v5, v[1:2]
.LBB25_27:
	s_or_b32 exec_lo, exec_lo, s5
	v_mov_b32_e32 v1, 0
	v_mov_b32_e32 v2, 0
	s_waitcnt lgkmcnt(0)
	s_barrier
	buffer_gl0_inv
	s_and_saveexec_b32 s5, s2
	s_cbranch_execz .LBB25_29
; %bb.28:
	ds_load_b64 v[1:2], v13
.LBB25_29:
	s_or_b32 exec_lo, exec_lo, s5
	s_and_saveexec_b32 s2, s3
	s_cbranch_execz .LBB25_31
; %bb.30:
	s_waitcnt lgkmcnt(0)
	ds_bpermute_b32 v5, v7, v1
	ds_bpermute_b32 v6, v7, v2
	s_waitcnt lgkmcnt(0)
	v_add_f64 v[1:2], v[1:2], v[5:6]
	ds_bpermute_b32 v5, v8, v1
	ds_bpermute_b32 v6, v8, v2
	s_waitcnt lgkmcnt(0)
	v_add_f64 v[1:2], v[1:2], v[5:6]
	;; [unrolled: 4-line block ×5, first 2 shown]
.LBB25_31:
	s_or_b32 exec_lo, exec_lo, s2
	s_delay_alu instid0(SALU_CYCLE_1)
	s_mov_b32 s2, exec_lo
	v_cmpx_eq_u32_e32 0, v0
	s_cbranch_execz .LBB25_33
; %bb.32:
	v_mov_b32_e32 v5, 0
	s_waitcnt lgkmcnt(0)
	ds_store_2addr_b64 v5, v[3:4], v[1:2] offset1:1
.LBB25_33:
	s_or_b32 exec_lo, exec_lo, s2
	s_waitcnt lgkmcnt(0)
	s_barrier
	buffer_gl0_inv
	s_mov_b32 s2, exec_lo
	v_cmpx_gt_i32_e64 s16, v0
	s_cbranch_execz .LBB25_39
; %bb.34:
	v_cvt_f64_i32_e32 v[6:7], s16
	s_load_b64 s[2:3], s[0:1], 0x28
	s_and_b32 s1, s4, 0xffff
	s_mov_b32 s5, 0
	s_waitcnt lgkmcnt(0)
	s_add_u32 s2, s2, s14
	s_addc_u32 s3, s3, s15
	s_cmp_lg_u64 s[12:13], 0
	s_cselect_b32 s4, -1, 0
	s_delay_alu instid0(VALU_DEP_1) | instskip(NEXT) | instid1(VALU_DEP_1)
	v_div_scale_f64 v[1:2], null, v[6:7], v[6:7], 1.0
	v_rcp_f64_e32 v[3:4], v[1:2]
	s_waitcnt_depctr 0xfff
	v_fma_f64 v[8:9], -v[1:2], v[3:4], 1.0
	s_delay_alu instid0(VALU_DEP_1) | instskip(NEXT) | instid1(VALU_DEP_1)
	v_fma_f64 v[3:4], v[3:4], v[8:9], v[3:4]
	v_fma_f64 v[8:9], -v[1:2], v[3:4], 1.0
	s_delay_alu instid0(VALU_DEP_1) | instskip(SKIP_1) | instid1(VALU_DEP_1)
	v_fma_f64 v[3:4], v[3:4], v[8:9], v[3:4]
	v_div_scale_f64 v[8:9], vcc_lo, 1.0, v[6:7], 1.0
	v_mul_f64 v[10:11], v[8:9], v[3:4]
	s_delay_alu instid0(VALU_DEP_1) | instskip(NEXT) | instid1(VALU_DEP_1)
	v_fma_f64 v[1:2], -v[1:2], v[10:11], v[8:9]
	v_div_fmas_f64 v[1:2], v[1:2], v[3:4], v[10:11]
	s_delay_alu instid0(VALU_DEP_1) | instskip(NEXT) | instid1(VALU_DEP_1)
	v_div_fixup_f64 v[1:2], v[1:2], v[6:7], 1.0
	v_mul_f64 v[8:9], v[1:2], s[10:11]
	v_mov_b32_e32 v1, 0
	ds_load_2addr_b64 v[2:5], v1 offset1:1
	s_branch .LBB25_37
.LBB25_35:                              ;   in Loop: Header=BB25_37 Depth=1
	v_add_co_u32 v16, vcc_lo, s12, v10
	v_add_co_ci_u32_e32 v17, vcc_lo, s13, v11, vcc_lo
	global_load_b64 v[16:17], v[16:17], off
.LBB25_36:                              ;   in Loop: Header=BB25_37 Depth=1
	s_waitcnt vmcnt(1)
	v_add_f64 v[14:15], v[14:15], -s[8:9]
	s_waitcnt vmcnt(0)
	v_mul_f64 v[16:17], v[16:17], v[6:7]
	v_add_nc_u32_e32 v0, s1, v0
	v_add_co_u32 v10, s0, s2, v10
	s_delay_alu instid0(VALU_DEP_1) | instskip(NEXT) | instid1(VALU_DEP_3)
	v_add_co_ci_u32_e64 v11, s0, s3, v11, s0
	v_cmp_le_i32_e32 vcc_lo, s16, v0
	s_or_b32 s5, vcc_lo, s5
	v_mul_f64 v[14:15], s[10:11], v[14:15]
	s_waitcnt lgkmcnt(0)
	s_delay_alu instid0(VALU_DEP_1) | instskip(NEXT) | instid1(VALU_DEP_1)
	v_mul_f64 v[14:15], v[4:5], v[14:15]
	v_fma_f64 v[12:13], v[12:13], v[16:17], -v[14:15]
	s_delay_alu instid0(VALU_DEP_1) | instskip(NEXT) | instid1(VALU_DEP_1)
	v_add_f64 v[12:13], v[12:13], -v[2:3]
	v_mul_f64 v[12:13], v[8:9], v[12:13]
	global_store_b64 v[10:11], v[12:13], off
	s_and_not1_b32 exec_lo, exec_lo, s5
	s_cbranch_execz .LBB25_39
.LBB25_37:                              ; =>This Inner Loop Header: Depth=1
	v_ashrrev_i32_e32 v1, 31, v0
	s_delay_alu instid0(VALU_DEP_1) | instskip(NEXT) | instid1(VALU_DEP_1)
	v_lshlrev_b64 v[10:11], 3, v[0:1]
	v_add_co_u32 v12, vcc_lo, s17, v10
	s_delay_alu instid0(VALU_DEP_2)
	v_add_co_ci_u32_e32 v13, vcc_lo, s18, v11, vcc_lo
	v_add_co_u32 v16, vcc_lo, s19, v10
	v_add_co_ci_u32_e32 v17, vcc_lo, s20, v11, vcc_lo
	s_and_not1_b32 vcc_lo, exec_lo, s4
	global_load_b64 v[14:15], v[12:13], off
	global_load_b64 v[12:13], v[16:17], off
	s_cbranch_vccz .LBB25_35
; %bb.38:                               ;   in Loop: Header=BB25_37 Depth=1
	v_mov_b32_e32 v16, 0
	v_mov_b32_e32 v17, 0x3ff00000
	s_branch .LBB25_36
.LBB25_39:
	s_nop 0
	s_sendmsg sendmsg(MSG_DEALLOC_VGPRS)
	s_endpgm
	.section	.rodata,"a",@progbits
	.p2align	6, 0x0
	.amdhsa_kernel _ZN2at6native12_GLOBAL__N_128layer_norm_grad_input_kernelIddLb0EEEvPKT_S5_PKT0_S8_S5_PS3_i
		.amdhsa_group_segment_fixed_size 0
		.amdhsa_private_segment_fixed_size 0
		.amdhsa_kernarg_size 312
		.amdhsa_user_sgpr_count 15
		.amdhsa_user_sgpr_dispatch_ptr 0
		.amdhsa_user_sgpr_queue_ptr 0
		.amdhsa_user_sgpr_kernarg_segment_ptr 1
		.amdhsa_user_sgpr_dispatch_id 0
		.amdhsa_user_sgpr_private_segment_size 0
		.amdhsa_wavefront_size32 1
		.amdhsa_uses_dynamic_stack 0
		.amdhsa_enable_private_segment 0
		.amdhsa_system_sgpr_workgroup_id_x 1
		.amdhsa_system_sgpr_workgroup_id_y 0
		.amdhsa_system_sgpr_workgroup_id_z 0
		.amdhsa_system_sgpr_workgroup_info 0
		.amdhsa_system_vgpr_workitem_id 0
		.amdhsa_next_free_vgpr 35
		.amdhsa_next_free_sgpr 29
		.amdhsa_reserve_vcc 1
		.amdhsa_float_round_mode_32 0
		.amdhsa_float_round_mode_16_64 0
		.amdhsa_float_denorm_mode_32 3
		.amdhsa_float_denorm_mode_16_64 3
		.amdhsa_dx10_clamp 1
		.amdhsa_ieee_mode 1
		.amdhsa_fp16_overflow 0
		.amdhsa_workgroup_processor_mode 1
		.amdhsa_memory_ordered 1
		.amdhsa_forward_progress 0
		.amdhsa_shared_vgpr_count 0
		.amdhsa_exception_fp_ieee_invalid_op 0
		.amdhsa_exception_fp_denorm_src 0
		.amdhsa_exception_fp_ieee_div_zero 0
		.amdhsa_exception_fp_ieee_overflow 0
		.amdhsa_exception_fp_ieee_underflow 0
		.amdhsa_exception_fp_ieee_inexact 0
		.amdhsa_exception_int_div_zero 0
	.end_amdhsa_kernel
	.section	.text._ZN2at6native12_GLOBAL__N_128layer_norm_grad_input_kernelIddLb0EEEvPKT_S5_PKT0_S8_S5_PS3_i,"axG",@progbits,_ZN2at6native12_GLOBAL__N_128layer_norm_grad_input_kernelIddLb0EEEvPKT_S5_PKT0_S8_S5_PS3_i,comdat
.Lfunc_end25:
	.size	_ZN2at6native12_GLOBAL__N_128layer_norm_grad_input_kernelIddLb0EEEvPKT_S5_PKT0_S8_S5_PS3_i, .Lfunc_end25-_ZN2at6native12_GLOBAL__N_128layer_norm_grad_input_kernelIddLb0EEEvPKT_S5_PKT0_S8_S5_PS3_i
                                        ; -- End function
	.section	.AMDGPU.csdata,"",@progbits
; Kernel info:
; codeLenInByte = 2468
; NumSgprs: 31
; NumVgprs: 35
; ScratchSize: 0
; MemoryBound: 0
; FloatMode: 240
; IeeeMode: 1
; LDSByteSize: 0 bytes/workgroup (compile time only)
; SGPRBlocks: 3
; VGPRBlocks: 4
; NumSGPRsForWavesPerEU: 31
; NumVGPRsForWavesPerEU: 35
; Occupancy: 16
; WaveLimiterHint : 0
; COMPUTE_PGM_RSRC2:SCRATCH_EN: 0
; COMPUTE_PGM_RSRC2:USER_SGPR: 15
; COMPUTE_PGM_RSRC2:TRAP_HANDLER: 0
; COMPUTE_PGM_RSRC2:TGID_X_EN: 1
; COMPUTE_PGM_RSRC2:TGID_Y_EN: 0
; COMPUTE_PGM_RSRC2:TGID_Z_EN: 0
; COMPUTE_PGM_RSRC2:TIDIG_COMP_CNT: 0
	.section	.text._ZN2at6native12_GLOBAL__N_133GammaBetaBackwardSimpleCUDAKernelIddLb0EEEvllPKT_S5_PKT0_S8_PS3_S9_,"axG",@progbits,_ZN2at6native12_GLOBAL__N_133GammaBetaBackwardSimpleCUDAKernelIddLb0EEEvllPKT_S5_PKT0_S8_PS3_S9_,comdat
	.globl	_ZN2at6native12_GLOBAL__N_133GammaBetaBackwardSimpleCUDAKernelIddLb0EEEvllPKT_S5_PKT0_S8_PS3_S9_ ; -- Begin function _ZN2at6native12_GLOBAL__N_133GammaBetaBackwardSimpleCUDAKernelIddLb0EEEvllPKT_S5_PKT0_S8_PS3_S9_
	.p2align	8
	.type	_ZN2at6native12_GLOBAL__N_133GammaBetaBackwardSimpleCUDAKernelIddLb0EEEvllPKT_S5_PKT0_S8_PS3_S9_,@function
_ZN2at6native12_GLOBAL__N_133GammaBetaBackwardSimpleCUDAKernelIddLb0EEEvllPKT_S5_PKT0_S8_PS3_S9_: ; @_ZN2at6native12_GLOBAL__N_133GammaBetaBackwardSimpleCUDAKernelIddLb0EEEvllPKT_S5_PKT0_S8_PS3_S9_
; %bb.0:
	s_clause 0x1
	s_load_b32 s2, s[0:1], 0x4c
	s_load_b512 s[16:31], s[0:1], 0x0
	v_mov_b32_e32 v1, 0
	s_waitcnt lgkmcnt(0)
	s_and_b32 s0, s2, 0xffff
	s_delay_alu instid0(VALU_DEP_1) | instid1(SALU_CYCLE_1)
	v_mad_u64_u32 v[2:3], null, s0, s15, v[0:1]
	s_mov_b32 s0, exec_lo
	s_delay_alu instid0(VALU_DEP_1)
	v_cmpx_gt_i64_e64 s[18:19], v[2:3]
	s_cbranch_execz .LBB26_12
; %bb.1:
	v_mov_b32_e32 v4, 0
	v_mov_b32_e32 v5, 0
	v_cmp_lt_i64_e64 s0, s[16:17], 1
	v_lshlrev_b64 v[0:1], 3, v[2:3]
	s_delay_alu instid0(VALU_DEP_3) | instskip(NEXT) | instid1(VALU_DEP_3)
	v_dual_mov_b32 v2, v4 :: v_dual_mov_b32 v3, v5
	s_and_b32 vcc_lo, exec_lo, s0
	s_cbranch_vccnz .LBB26_8
; %bb.2:
	s_delay_alu instid0(VALU_DEP_2) | instskip(NEXT) | instid1(VALU_DEP_3)
	v_dual_mov_b32 v6, 0 :: v_dual_mov_b32 v9, v1
	v_dual_mov_b32 v7, 0 :: v_dual_mov_b32 v8, v0
	s_cmp_lg_u64 s[28:29], 0
	s_delay_alu instid0(VALU_DEP_2) | instskip(NEXT) | instid1(VALU_DEP_2)
	v_mov_b32_e32 v4, v6
	v_dual_mov_b32 v2, v6 :: v_dual_mov_b32 v3, v7
	v_mov_b32_e32 v5, v7
	s_cselect_b32 s2, -1, 0
	s_cmp_lg_u64 s[30:31], 0
	s_cselect_b32 s3, -1, 0
	s_lshl_b64 s[0:1], s[18:19], 3
	s_branch .LBB26_4
.LBB26_3:                               ;   in Loop: Header=BB26_4 Depth=1
	s_delay_alu instid0(VALU_DEP_2)
	v_add_f64 v[4:5], v[4:5], v[10:11]
	s_waitcnt vmcnt(0)
	v_add_f64 v[2:3], v[2:3], v[12:13]
	s_add_u32 s16, s16, -1
	s_addc_u32 s17, s17, -1
	v_add_co_u32 v8, vcc_lo, v8, s0
	s_add_u32 s26, s26, 8
	v_add_co_ci_u32_e32 v9, vcc_lo, s1, v9, vcc_lo
	s_addc_u32 s27, s27, 0
	s_add_u32 s24, s24, 8
	s_addc_u32 s25, s25, 0
	s_cmp_eq_u64 s[16:17], 0
	s_cbranch_scc1 .LBB26_8
.LBB26_4:                               ; =>This Inner Loop Header: Depth=1
	v_dual_mov_b32 v11, v7 :: v_dual_mov_b32 v10, v6
	s_and_not1_b32 vcc_lo, exec_lo, s2
	s_cbranch_vccnz .LBB26_6
; %bb.5:                                ;   in Loop: Header=BB26_4 Depth=1
	v_add_co_u32 v10, vcc_lo, s22, v8
	v_add_co_ci_u32_e32 v11, vcc_lo, s23, v9, vcc_lo
	v_add_co_u32 v12, vcc_lo, s20, v8
	v_add_co_ci_u32_e32 v13, vcc_lo, s21, v9, vcc_lo
	global_load_b64 v[10:11], v[10:11], off
	s_load_b64 s[4:5], s[24:25], 0x0
	global_load_b64 v[12:13], v[12:13], off
	s_waitcnt vmcnt(1) lgkmcnt(0)
	v_add_f64 v[10:11], v[10:11], -s[4:5]
	s_load_b64 s[4:5], s[26:27], 0x0
	s_waitcnt vmcnt(0)
	s_delay_alu instid0(VALU_DEP_1) | instskip(SKIP_1) | instid1(VALU_DEP_1)
	v_mul_f64 v[10:11], v[12:13], v[10:11]
	s_waitcnt lgkmcnt(0)
	v_mul_f64 v[10:11], s[4:5], v[10:11]
.LBB26_6:                               ;   in Loop: Header=BB26_4 Depth=1
	v_dual_mov_b32 v13, v7 :: v_dual_mov_b32 v12, v6
	s_and_not1_b32 vcc_lo, exec_lo, s3
	s_cbranch_vccnz .LBB26_3
; %bb.7:                                ;   in Loop: Header=BB26_4 Depth=1
	v_add_co_u32 v12, vcc_lo, s20, v8
	v_add_co_ci_u32_e32 v13, vcc_lo, s21, v9, vcc_lo
	global_load_b64 v[12:13], v[12:13], off
	s_branch .LBB26_3
.LBB26_8:
	s_cmp_lg_u64 s[28:29], 0
	s_cbranch_scc0 .LBB26_10
; %bb.9:
	v_add_co_u32 v6, vcc_lo, s28, v0
	v_add_co_ci_u32_e32 v7, vcc_lo, s29, v1, vcc_lo
	global_store_b64 v[6:7], v[4:5], off
.LBB26_10:
	s_cmp_eq_u64 s[30:31], 0
	s_cbranch_scc1 .LBB26_12
; %bb.11:
	v_add_co_u32 v0, vcc_lo, s30, v0
	v_add_co_ci_u32_e32 v1, vcc_lo, s31, v1, vcc_lo
	global_store_b64 v[0:1], v[2:3], off
.LBB26_12:
	s_nop 0
	s_sendmsg sendmsg(MSG_DEALLOC_VGPRS)
	s_endpgm
	.section	.rodata,"a",@progbits
	.p2align	6, 0x0
	.amdhsa_kernel _ZN2at6native12_GLOBAL__N_133GammaBetaBackwardSimpleCUDAKernelIddLb0EEEvllPKT_S5_PKT0_S8_PS3_S9_
		.amdhsa_group_segment_fixed_size 0
		.amdhsa_private_segment_fixed_size 0
		.amdhsa_kernarg_size 320
		.amdhsa_user_sgpr_count 15
		.amdhsa_user_sgpr_dispatch_ptr 0
		.amdhsa_user_sgpr_queue_ptr 0
		.amdhsa_user_sgpr_kernarg_segment_ptr 1
		.amdhsa_user_sgpr_dispatch_id 0
		.amdhsa_user_sgpr_private_segment_size 0
		.amdhsa_wavefront_size32 1
		.amdhsa_uses_dynamic_stack 0
		.amdhsa_enable_private_segment 0
		.amdhsa_system_sgpr_workgroup_id_x 1
		.amdhsa_system_sgpr_workgroup_id_y 0
		.amdhsa_system_sgpr_workgroup_id_z 0
		.amdhsa_system_sgpr_workgroup_info 0
		.amdhsa_system_vgpr_workitem_id 0
		.amdhsa_next_free_vgpr 14
		.amdhsa_next_free_sgpr 32
		.amdhsa_reserve_vcc 1
		.amdhsa_float_round_mode_32 0
		.amdhsa_float_round_mode_16_64 0
		.amdhsa_float_denorm_mode_32 3
		.amdhsa_float_denorm_mode_16_64 3
		.amdhsa_dx10_clamp 1
		.amdhsa_ieee_mode 1
		.amdhsa_fp16_overflow 0
		.amdhsa_workgroup_processor_mode 1
		.amdhsa_memory_ordered 1
		.amdhsa_forward_progress 0
		.amdhsa_shared_vgpr_count 0
		.amdhsa_exception_fp_ieee_invalid_op 0
		.amdhsa_exception_fp_denorm_src 0
		.amdhsa_exception_fp_ieee_div_zero 0
		.amdhsa_exception_fp_ieee_overflow 0
		.amdhsa_exception_fp_ieee_underflow 0
		.amdhsa_exception_fp_ieee_inexact 0
		.amdhsa_exception_int_div_zero 0
	.end_amdhsa_kernel
	.section	.text._ZN2at6native12_GLOBAL__N_133GammaBetaBackwardSimpleCUDAKernelIddLb0EEEvllPKT_S5_PKT0_S8_PS3_S9_,"axG",@progbits,_ZN2at6native12_GLOBAL__N_133GammaBetaBackwardSimpleCUDAKernelIddLb0EEEvllPKT_S5_PKT0_S8_PS3_S9_,comdat
.Lfunc_end26:
	.size	_ZN2at6native12_GLOBAL__N_133GammaBetaBackwardSimpleCUDAKernelIddLb0EEEvllPKT_S5_PKT0_S8_PS3_S9_, .Lfunc_end26-_ZN2at6native12_GLOBAL__N_133GammaBetaBackwardSimpleCUDAKernelIddLb0EEEvllPKT_S5_PKT0_S8_PS3_S9_
                                        ; -- End function
	.section	.AMDGPU.csdata,"",@progbits
; Kernel info:
; codeLenInByte = 464
; NumSgprs: 34
; NumVgprs: 14
; ScratchSize: 0
; MemoryBound: 1
; FloatMode: 240
; IeeeMode: 1
; LDSByteSize: 0 bytes/workgroup (compile time only)
; SGPRBlocks: 4
; VGPRBlocks: 1
; NumSGPRsForWavesPerEU: 34
; NumVGPRsForWavesPerEU: 14
; Occupancy: 16
; WaveLimiterHint : 0
; COMPUTE_PGM_RSRC2:SCRATCH_EN: 0
; COMPUTE_PGM_RSRC2:USER_SGPR: 15
; COMPUTE_PGM_RSRC2:TRAP_HANDLER: 0
; COMPUTE_PGM_RSRC2:TGID_X_EN: 1
; COMPUTE_PGM_RSRC2:TGID_Y_EN: 0
; COMPUTE_PGM_RSRC2:TGID_Z_EN: 0
; COMPUTE_PGM_RSRC2:TIDIG_COMP_CNT: 0
	.section	.text._ZN2at6native12_GLOBAL__N_135GammaBetaBackwardCUDAKernelTemplateIddLj64ELj1ELj32ELb1ELb1ELb0EEEvllPKT_S5_PKT0_S8_PS3_S9_,"axG",@progbits,_ZN2at6native12_GLOBAL__N_135GammaBetaBackwardCUDAKernelTemplateIddLj64ELj1ELj32ELb1ELb1ELb0EEEvllPKT_S5_PKT0_S8_PS3_S9_,comdat
	.globl	_ZN2at6native12_GLOBAL__N_135GammaBetaBackwardCUDAKernelTemplateIddLj64ELj1ELj32ELb1ELb1ELb0EEEvllPKT_S5_PKT0_S8_PS3_S9_ ; -- Begin function _ZN2at6native12_GLOBAL__N_135GammaBetaBackwardCUDAKernelTemplateIddLj64ELj1ELj32ELb1ELb1ELb0EEEvllPKT_S5_PKT0_S8_PS3_S9_
	.p2align	8
	.type	_ZN2at6native12_GLOBAL__N_135GammaBetaBackwardCUDAKernelTemplateIddLj64ELj1ELj32ELb1ELb1ELb0EEEvllPKT_S5_PKT0_S8_PS3_S9_,@function
_ZN2at6native12_GLOBAL__N_135GammaBetaBackwardCUDAKernelTemplateIddLj64ELj1ELj32ELb1ELb1ELb0EEEvllPKT_S5_PKT0_S8_PS3_S9_: ; @_ZN2at6native12_GLOBAL__N_135GammaBetaBackwardCUDAKernelTemplateIddLj64ELj1ELj32ELb1ELb1ELb0EEEvllPKT_S5_PKT0_S8_PS3_S9_
; %bb.0:
	s_load_b128 s[16:19], s[0:1], 0x0
	s_mov_b32 s13, 0
	s_lshl_b32 s12, s15, 5
	v_bfe_u32 v16, v0, 10, 10
	s_mov_b32 s2, s15
	s_waitcnt lgkmcnt(0)
	v_cmp_lt_i64_e64 s3, s[12:13], s[16:17]
	s_delay_alu instid0(VALU_DEP_1)
	s_and_b32 vcc_lo, exec_lo, s3
	s_cbranch_vccnz .LBB27_2
; %bb.1:
	v_bfe_u32 v1, v0, 10, 10
	s_add_u32 s24, s0, 64
	s_addc_u32 s25, s1, 0
	s_mov_b64 s[4:5], 0
	s_mov_b32 s3, s13
	s_branch .LBB27_3
.LBB27_2:
	s_mov_b32 s3, -1
                                        ; implicit-def: $sgpr4_sgpr5
                                        ; implicit-def: $sgpr24_sgpr25
                                        ; implicit-def: $vgpr1
.LBB27_3:
	s_load_b128 s[20:23], s[0:1], 0x30
	v_mov_b32_e32 v15, s5
	v_dual_mov_b32 v13, s5 :: v_dual_mov_b32 v12, s4
	v_dual_mov_b32 v14, s4 :: v_dual_and_b32 v17, 0x3ff, v0
	s_and_not1_b32 vcc_lo, exec_lo, s3
	s_cbranch_vccnz .LBB27_9
; %bb.4:
	s_clause 0x2
	s_load_b32 s3, s[0:1], 0x4c
	s_load_b32 s15, s[0:1], 0x44
	s_load_b256 s[4:11], s[0:1], 0x10
	v_dual_mov_b32 v1, 0 :: v_dual_lshlrev_b32 v2, 5, v16
	s_add_u32 s24, s0, 64
	s_addc_u32 s25, s1, 0
	v_lshl_add_u32 v0, s14, 6, v17
	v_mov_b32_e32 v37, 0x50
	v_mov_b32_e32 v34, 0x44
	v_dual_mov_b32 v18, 4 :: v_dual_mov_b32 v19, 8
	s_delay_alu instid0(VALU_DEP_4)
	v_lshlrev_b64 v[8:9], 3, v[0:1]
	v_dual_mov_b32 v20, 12 :: v_dual_mov_b32 v21, 16
	v_dual_mov_b32 v22, 20 :: v_dual_mov_b32 v23, 24
	;; [unrolled: 1-line block ×4, first 2 shown]
	s_waitcnt lgkmcnt(0)
	s_and_b32 s0, s3, 0xffff
	s_lshl_b32 s26, s15, 5
	v_mad_u32_u24 v3, v16, s0, v17
	v_add_co_u32 v5, s0, v2, s12
	s_delay_alu instid0(VALU_DEP_1) | instskip(NEXT) | instid1(VALU_DEP_3)
	v_add_co_ci_u32_e64 v10, null, 0, 0, s0
	v_dual_mov_b32 v35, 0x48 :: v_dual_and_b32 v4, 31, v3
	s_delay_alu instid0(VALU_DEP_3) | instskip(NEXT) | instid1(VALU_DEP_3)
	v_mul_lo_u32 v6, s19, v5
	v_mul_lo_u32 v7, s18, v10
	v_mad_u64_u32 v[2:3], null, s18, v5, 0
	s_mul_i32 s0, s19, s26
	s_mul_hi_u32 s1, s18, s26
	v_dual_mov_b32 v28, 44 :: v_dual_mov_b32 v29, 48
	v_dual_mov_b32 v30, 52 :: v_dual_mov_b32 v31, 56
	s_delay_alu instid0(VALU_DEP_3) | instskip(SKIP_3) | instid1(VALU_DEP_4)
	v_add3_u32 v3, v3, v7, v6
	v_dual_mov_b32 v32, 60 :: v_dual_mov_b32 v33, 64
	v_mov_b32_e32 v40, 0x5c
	v_mov_b32_e32 v42, 0x64
	v_lshlrev_b64 v[6:7], 3, v[2:3]
	v_add_co_u32 v2, vcc_lo, v5, v4
	v_mov_b32_e32 v4, 0
	v_add_co_ci_u32_e32 v3, vcc_lo, 0, v10, vcc_lo
	v_mov_b32_e32 v5, 0
	v_add_co_u32 v0, vcc_lo, v6, v8
	v_mov_b32_e32 v36, 0x4c
	s_delay_alu instid0(VALU_DEP_3)
	v_dual_mov_b32 v38, 0x54 :: v_dual_mov_b32 v13, v5
	v_add_co_ci_u32_e32 v49, vcc_lo, v7, v9, vcc_lo
	v_lshlrev_b64 v[6:7], 3, v[2:3]
	v_mov_b32_e32 v15, v5
	v_dual_mov_b32 v39, 0x58 :: v_dual_mov_b32 v14, v4
	v_dual_mov_b32 v41, 0x60 :: v_dual_mov_b32 v12, v4
	v_mov_b32_e32 v43, 0x68
	v_mov_b32_e32 v44, 0x6c
	;; [unrolled: 1-line block ×6, first 2 shown]
	s_mov_b32 s27, 0
	s_add_i32 s1, s1, s0
	s_mul_i32 s0, s18, s26
	s_lshl_b64 s[28:29], s[26:27], 3
	s_lshl_b64 s[0:1], s[0:1], 3
	s_lshl_b64 s[30:31], s[18:19], 3
	s_branch .LBB27_6
.LBB27_5:                               ;   in Loop: Header=BB27_6 Depth=1
	s_or_b32 exec_lo, exec_lo, s3
	v_add_co_u32 v50, vcc_lo, s6, v0
	v_add_co_ci_u32_e32 v51, vcc_lo, s7, v49, vcc_lo
	s_waitcnt vmcnt(1)
	ds_bpermute_b32 v82, v1, v10
	ds_bpermute_b32 v83, v1, v11
	s_waitcnt vmcnt(0)
	ds_bpermute_b32 v90, v1, v8
	global_load_b64 v[52:53], v[50:51], off
	v_add_co_u32 v50, vcc_lo, v50, s30
	v_add_co_ci_u32_e32 v51, vcc_lo, s31, v51, vcc_lo
	v_add_co_u32 v54, vcc_lo, s4, v0
	v_add_co_ci_u32_e32 v55, vcc_lo, s5, v49, vcc_lo
	global_load_b64 v[56:57], v[50:51], off
	global_load_b64 v[58:59], v[54:55], off
	v_add_co_u32 v50, vcc_lo, v50, s30
	v_add_co_ci_u32_e32 v51, vcc_lo, s31, v51, vcc_lo
	v_add_co_u32 v54, vcc_lo, v54, s30
	v_add_co_ci_u32_e32 v55, vcc_lo, s31, v55, vcc_lo
	global_load_b64 v[60:61], v[50:51], off
	;; [unrolled: 6-line block ×3, first 2 shown]
	v_add_co_u32 v54, vcc_lo, v54, s30
	global_load_b64 v[66:67], v[50:51], off
	v_add_co_ci_u32_e32 v55, vcc_lo, s31, v55, vcc_lo
	v_add_co_u32 v50, vcc_lo, v50, s30
	v_add_co_ci_u32_e32 v51, vcc_lo, s31, v51, vcc_lo
	global_load_b64 v[68:69], v[54:55], off
	v_add_co_u32 v54, vcc_lo, v54, s30
	global_load_b64 v[70:71], v[50:51], off
	v_add_co_ci_u32_e32 v55, vcc_lo, s31, v55, vcc_lo
	v_add_co_u32 v50, vcc_lo, v50, s30
	v_add_co_ci_u32_e32 v51, vcc_lo, s31, v51, vcc_lo
	global_load_b64 v[72:73], v[54:55], off
	ds_bpermute_b32 v91, v1, v9
	ds_bpermute_b32 v88, v19, v10
	global_load_b64 v[74:75], v[50:51], off
	v_add_co_u32 v50, vcc_lo, v50, s30
	v_add_co_ci_u32_e32 v51, vcc_lo, s31, v51, vcc_lo
	v_add_co_u32 v54, vcc_lo, v54, s30
	v_add_co_ci_u32_e32 v55, vcc_lo, s31, v55, vcc_lo
	global_load_b64 v[76:77], v[50:51], off
	global_load_b64 v[78:79], v[54:55], off
	v_add_co_u32 v50, vcc_lo, v50, s30
	v_add_co_ci_u32_e32 v51, vcc_lo, s31, v51, vcc_lo
	v_add_co_u32 v54, vcc_lo, v54, s30
	v_add_co_ci_u32_e32 v55, vcc_lo, s31, v55, vcc_lo
	global_load_b64 v[80:81], v[50:51], off
	ds_bpermute_b32 v89, v19, v11
	ds_bpermute_b32 v92, v20, v10
	global_load_b64 v[84:85], v[54:55], off
	v_add_co_u32 v54, vcc_lo, v54, s30
	v_add_co_ci_u32_e32 v55, vcc_lo, s31, v55, vcc_lo
	v_add_co_u32 v50, vcc_lo, v50, s30
	v_add_co_ci_u32_e32 v51, vcc_lo, s31, v51, vcc_lo
	global_load_b64 v[86:87], v[54:55], off
	ds_bpermute_b32 v93, v20, v11
	s_add_u32 s12, s12, s26
	s_addc_u32 s13, s13, 0
	s_delay_alu instid0(SALU_CYCLE_1)
	v_cmp_lt_i64_e64 s3, s[12:13], s[16:17]
	s_waitcnt vmcnt(15) lgkmcnt(6)
	v_add_f64 v[52:53], v[52:53], -v[82:83]
	ds_bpermute_b32 v82, v18, v10
	ds_bpermute_b32 v83, v18, v11
	s_waitcnt vmcnt(13)
	v_add_f64 v[12:13], v[12:13], v[58:59]
	s_waitcnt vmcnt(12) lgkmcnt(4)
	v_add_f64 v[60:61], v[60:61], -v[88:89]
	s_waitcnt lgkmcnt(0)
	v_add_f64 v[56:57], v[56:57], -v[82:83]
	global_load_b64 v[82:83], v[50:51], off
	ds_bpermute_b32 v88, v18, v8
	ds_bpermute_b32 v89, v18, v9
	v_mul_f64 v[52:53], v[58:59], v[52:53]
	ds_bpermute_b32 v58, v21, v8
	ds_bpermute_b32 v59, v21, v9
	s_waitcnt vmcnt(12)
	v_add_f64 v[12:13], v[12:13], v[62:63]
	s_waitcnt vmcnt(11)
	v_mul_f64 v[60:61], v[64:65], v[60:61]
	v_mul_f64 v[56:57], v[62:63], v[56:57]
	ds_bpermute_b32 v62, v24, v10
	ds_bpermute_b32 v63, v24, v11
	v_fma_f64 v[14:15], v[52:53], v[90:91], v[14:15]
	v_add_co_u32 v52, vcc_lo, v54, s30
	v_add_co_ci_u32_e32 v53, vcc_lo, s31, v55, vcc_lo
	v_add_co_u32 v50, vcc_lo, v50, s30
	v_add_co_ci_u32_e32 v51, vcc_lo, s31, v51, vcc_lo
	global_load_b64 v[54:55], v[52:53], off
	v_add_co_u32 v52, vcc_lo, v52, s30
	global_load_b64 v[90:91], v[50:51], off
	v_add_co_ci_u32_e32 v53, vcc_lo, s31, v53, vcc_lo
	v_add_co_u32 v50, vcc_lo, v50, s30
	v_add_co_ci_u32_e32 v51, vcc_lo, s31, v51, vcc_lo
	s_waitcnt vmcnt(5) lgkmcnt(0)
	v_add_f64 v[62:63], v[80:81], -v[62:63]
	ds_bpermute_b32 v80, v22, v8
	ds_bpermute_b32 v81, v22, v9
	v_add_f64 v[12:13], v[12:13], v[64:65]
	v_fma_f64 v[14:15], v[56:57], v[88:89], v[14:15]
	v_add_f64 v[56:57], v[66:67], -v[92:93]
	ds_bpermute_b32 v66, v19, v8
	ds_bpermute_b32 v67, v19, v9
	global_load_b64 v[88:89], v[52:53], off
	global_load_b64 v[92:93], v[50:51], off
	v_add_co_u32 v52, vcc_lo, v52, s30
	v_add_co_ci_u32_e32 v53, vcc_lo, s31, v53, vcc_lo
	v_add_co_u32 v50, vcc_lo, v50, s30
	v_add_co_ci_u32_e32 v51, vcc_lo, s31, v51, vcc_lo
	s_waitcnt vmcnt(5)
	v_mul_f64 v[62:63], v[86:87], v[62:63]
	v_add_f64 v[12:13], v[12:13], v[68:69]
	s_waitcnt lgkmcnt(0)
	v_fma_f64 v[14:15], v[60:61], v[66:67], v[14:15]
	ds_bpermute_b32 v60, v21, v10
	ds_bpermute_b32 v61, v21, v11
	v_mul_f64 v[56:57], v[68:69], v[56:57]
	ds_bpermute_b32 v66, v20, v8
	ds_bpermute_b32 v67, v20, v9
	;; [unrolled: 1-line block ×4, first 2 shown]
	v_add_f64 v[12:13], v[12:13], v[72:73]
	s_waitcnt lgkmcnt(4)
	v_add_f64 v[60:61], v[70:71], -v[60:61]
	global_load_b64 v[70:71], v[52:53], off
	v_add_co_u32 v52, vcc_lo, v52, s30
	v_add_co_ci_u32_e32 v53, vcc_lo, s31, v53, vcc_lo
	s_waitcnt lgkmcnt(2)
	v_fma_f64 v[14:15], v[56:57], v[66:67], v[14:15]
	global_load_b64 v[56:57], v[50:51], off
	ds_bpermute_b32 v66, v22, v10
	ds_bpermute_b32 v67, v22, v11
	v_add_co_u32 v50, vcc_lo, v50, s30
	v_add_co_ci_u32_e32 v51, vcc_lo, s31, v51, vcc_lo
	v_add_f64 v[12:13], v[12:13], v[78:79]
	v_mul_f64 v[60:61], v[72:73], v[60:61]
	ds_bpermute_b32 v72, v26, v10
	ds_bpermute_b32 v73, v26, v11
	s_waitcnt lgkmcnt(2)
	v_add_f64 v[66:67], v[74:75], -v[66:67]
	global_load_b64 v[74:75], v[52:53], off
	v_add_co_u32 v52, vcc_lo, v52, s30
	v_add_co_ci_u32_e32 v53, vcc_lo, s31, v53, vcc_lo
	v_add_f64 v[12:13], v[12:13], v[84:85]
	v_fma_f64 v[14:15], v[60:61], v[58:59], v[14:15]
	global_load_b64 v[58:59], v[50:51], off
	ds_bpermute_b32 v60, v23, v10
	ds_bpermute_b32 v61, v23, v11
	v_mul_f64 v[66:67], v[78:79], v[66:67]
	v_add_co_u32 v50, vcc_lo, v50, s30
	v_add_co_ci_u32_e32 v51, vcc_lo, s31, v51, vcc_lo
	global_load_b64 v[64:65], v[50:51], off
	s_waitcnt lgkmcnt(0)
	v_add_f64 v[60:61], v[76:77], -v[60:61]
	global_load_b64 v[76:77], v[52:53], off
	v_add_co_u32 v52, vcc_lo, v52, s30
	v_add_co_ci_u32_e32 v53, vcc_lo, s31, v53, vcc_lo
	v_add_co_u32 v50, vcc_lo, v50, s30
	v_add_co_ci_u32_e32 v51, vcc_lo, s31, v51, vcc_lo
	v_add_f64 v[12:13], v[12:13], v[86:87]
	v_fma_f64 v[14:15], v[66:67], v[80:81], v[14:15]
	ds_bpermute_b32 v66, v23, v8
	ds_bpermute_b32 v67, v23, v9
	;; [unrolled: 1-line block ×4, first 2 shown]
	v_mul_f64 v[60:61], v[84:85], v[60:61]
	s_waitcnt vmcnt(10) lgkmcnt(0)
	v_add_f64 v[80:81], v[82:83], -v[80:81]
	s_delay_alu instid0(VALU_DEP_2)
	v_fma_f64 v[14:15], v[60:61], v[66:67], v[14:15]
	global_load_b64 v[60:61], v[50:51], off
	global_load_b64 v[66:67], v[52:53], off
	v_add_co_u32 v50, vcc_lo, v50, s30
	v_add_co_ci_u32_e32 v51, vcc_lo, s31, v51, vcc_lo
	v_add_co_u32 v52, vcc_lo, v52, s30
	v_add_co_ci_u32_e32 v53, vcc_lo, s31, v53, vcc_lo
	global_load_b64 v[82:83], v[50:51], off
	v_add_co_u32 v50, vcc_lo, v50, s30
	v_add_co_ci_u32_e32 v51, vcc_lo, s31, v51, vcc_lo
	v_fma_f64 v[14:15], v[62:63], v[68:69], v[14:15]
	global_load_b64 v[62:63], v[52:53], off
	v_add_co_u32 v52, vcc_lo, v52, s30
	v_add_co_ci_u32_e32 v53, vcc_lo, s31, v53, vcc_lo
	s_waitcnt vmcnt(13)
	v_mul_f64 v[68:69], v[54:55], v[80:81]
	ds_bpermute_b32 v80, v25, v8
	ds_bpermute_b32 v81, v25, v9
	s_waitcnt vmcnt(12)
	v_add_f64 v[72:73], v[90:91], -v[72:73]
	global_load_b64 v[78:79], v[50:51], off
	global_load_b64 v[90:91], v[52:53], off
	v_add_co_u32 v50, vcc_lo, v50, s30
	v_add_co_ci_u32_e32 v51, vcc_lo, s31, v51, vcc_lo
	v_add_co_u32 v52, vcc_lo, v52, s30
	v_add_co_ci_u32_e32 v53, vcc_lo, s31, v53, vcc_lo
	global_load_b64 v[84:85], v[50:51], off
	v_add_f64 v[12:13], v[12:13], v[54:55]
	s_waitcnt lgkmcnt(0)
	v_fma_f64 v[14:15], v[68:69], v[80:81], v[14:15]
	ds_bpermute_b32 v68, v27, v10
	ds_bpermute_b32 v69, v27, v11
	s_waitcnt vmcnt(14)
	v_mul_f64 v[72:73], v[88:89], v[72:73]
	ds_bpermute_b32 v80, v26, v8
	ds_bpermute_b32 v81, v26, v9
	v_add_f64 v[12:13], v[12:13], v[88:89]
	s_waitcnt vmcnt(13) lgkmcnt(2)
	v_add_f64 v[68:69], v[92:93], -v[68:69]
	global_load_b64 v[92:93], v[52:53], off
	v_add_co_u32 v52, vcc_lo, v52, s30
	v_add_co_ci_u32_e32 v53, vcc_lo, s31, v53, vcc_lo
	v_add_co_u32 v50, vcc_lo, v50, s30
	v_add_co_ci_u32_e32 v51, vcc_lo, s31, v51, vcc_lo
	s_waitcnt lgkmcnt(0)
	v_fma_f64 v[14:15], v[72:73], v[80:81], v[14:15]
	ds_bpermute_b32 v72, v28, v10
	ds_bpermute_b32 v73, v28, v11
	v_add_co_u32 v80, vcc_lo, v52, s30
	v_add_co_ci_u32_e32 v81, vcc_lo, s31, v53, vcc_lo
	global_load_b64 v[86:87], v[50:51], off
	global_load_b64 v[52:53], v[52:53], off
	v_add_co_u32 v50, vcc_lo, v50, s30
	global_load_b64 v[54:55], v[80:81], off
	v_add_co_ci_u32_e32 v51, vcc_lo, s31, v51, vcc_lo
	s_waitcnt vmcnt(16)
	v_add_f64 v[12:13], v[12:13], v[70:71]
	v_mul_f64 v[68:69], v[70:71], v[68:69]
	ds_bpermute_b32 v70, v29, v8
	ds_bpermute_b32 v71, v29, v9
	s_waitcnt vmcnt(15) lgkmcnt(2)
	v_add_f64 v[56:57], v[56:57], -v[72:73]
	ds_bpermute_b32 v72, v27, v8
	ds_bpermute_b32 v73, v27, v9
	s_waitcnt vmcnt(14)
	v_add_f64 v[12:13], v[12:13], v[74:75]
	s_waitcnt lgkmcnt(0)
	v_fma_f64 v[14:15], v[68:69], v[72:73], v[14:15]
	ds_bpermute_b32 v68, v29, v10
	global_load_b64 v[72:73], v[50:51], off
	ds_bpermute_b32 v69, v29, v11
	v_mul_f64 v[56:57], v[74:75], v[56:57]
	ds_bpermute_b32 v74, v32, v10
	ds_bpermute_b32 v75, v32, v11
	s_waitcnt vmcnt(14) lgkmcnt(2)
	v_add_f64 v[58:59], v[58:59], -v[68:69]
	v_add_co_u32 v68, vcc_lo, v80, s30
	v_add_co_ci_u32_e32 v69, vcc_lo, s31, v81, vcc_lo
	ds_bpermute_b32 v80, v28, v8
	ds_bpermute_b32 v81, v28, v9
	v_add_co_u32 v50, vcc_lo, v50, s30
	v_add_co_ci_u32_e32 v51, vcc_lo, s31, v51, vcc_lo
	global_load_b64 v[88:89], v[68:69], off
	v_add_co_u32 v68, vcc_lo, v68, s30
	v_add_co_ci_u32_e32 v69, vcc_lo, s31, v69, vcc_lo
	s_waitcnt vmcnt(13)
	v_add_f64 v[12:13], v[12:13], v[76:77]
	s_waitcnt lgkmcnt(0)
	v_fma_f64 v[14:15], v[56:57], v[80:81], v[14:15]
	global_load_b64 v[56:57], v[50:51], off
	ds_bpermute_b32 v80, v30, v10
	ds_bpermute_b32 v81, v30, v11
	v_add_co_u32 v50, vcc_lo, v50, s30
	v_add_co_ci_u32_e32 v51, vcc_lo, s31, v51, vcc_lo
	v_mul_f64 v[58:59], v[76:77], v[58:59]
	s_waitcnt lgkmcnt(0)
	v_add_f64 v[64:65], v[64:65], -v[80:81]
	global_load_b64 v[80:81], v[68:69], off
	v_add_co_u32 v68, vcc_lo, v68, s30
	v_add_co_ci_u32_e32 v69, vcc_lo, s31, v69, vcc_lo
	v_fma_f64 v[14:15], v[58:59], v[70:71], v[14:15]
	global_load_b64 v[58:59], v[50:51], off
	ds_bpermute_b32 v70, v31, v10
	ds_bpermute_b32 v71, v31, v11
	v_add_co_u32 v50, vcc_lo, v50, s30
	v_add_co_ci_u32_e32 v51, vcc_lo, s31, v51, vcc_lo
	global_load_b64 v[76:77], v[50:51], off
	v_add_co_u32 v50, vcc_lo, v50, s30
	v_add_co_ci_u32_e32 v51, vcc_lo, s31, v51, vcc_lo
	s_waitcnt vmcnt(16) lgkmcnt(0)
	v_add_f64 v[60:61], v[60:61], -v[70:71]
	s_waitcnt vmcnt(15)
	v_mul_f64 v[64:65], v[66:67], v[64:65]
	global_load_b64 v[70:71], v[68:69], off
	v_add_f64 v[12:13], v[12:13], v[66:67]
	v_add_co_u32 v66, vcc_lo, v68, s30
	v_add_co_ci_u32_e32 v67, vcc_lo, s31, v69, vcc_lo
	s_waitcnt vmcnt(15)
	v_add_f64 v[74:75], v[82:83], -v[74:75]
	ds_bpermute_b32 v82, v30, v8
	ds_bpermute_b32 v83, v30, v9
	s_waitcnt vmcnt(14)
	v_mul_f64 v[60:61], v[62:63], v[60:61]
	s_waitcnt lgkmcnt(0)
	v_fma_f64 v[14:15], v[64:65], v[82:83], v[14:15]
	ds_bpermute_b32 v64, v33, v10
	ds_bpermute_b32 v65, v33, v11
	;; [unrolled: 1-line block ×4, first 2 shown]
	v_add_f64 v[12:13], v[12:13], v[62:63]
	s_waitcnt vmcnt(12)
	v_mul_f64 v[68:69], v[90:91], v[74:75]
	s_waitcnt lgkmcnt(2)
	v_add_f64 v[64:65], v[78:79], -v[64:65]
	ds_bpermute_b32 v78, v34, v10
	ds_bpermute_b32 v79, v34, v11
	s_waitcnt lgkmcnt(2)
	v_fma_f64 v[14:15], v[60:61], v[82:83], v[14:15]
	global_load_b64 v[60:61], v[50:51], off
	global_load_b64 v[74:75], v[66:67], off
	ds_bpermute_b32 v82, v32, v8
	ds_bpermute_b32 v83, v32, v9
	v_add_co_u32 v66, vcc_lo, v66, s30
	v_add_co_ci_u32_e32 v67, vcc_lo, s31, v67, vcc_lo
	v_add_co_u32 v50, vcc_lo, v50, s30
	v_add_co_ci_u32_e32 v51, vcc_lo, s31, v51, vcc_lo
	s_waitcnt vmcnt(13) lgkmcnt(2)
	v_add_f64 v[78:79], v[84:85], -v[78:79]
	ds_bpermute_b32 v84, v33, v8
	ds_bpermute_b32 v85, v33, v9
	global_load_b64 v[62:63], v[50:51], off
	v_add_f64 v[12:13], v[12:13], v[90:91]
	s_waitcnt lgkmcnt(2)
	v_fma_f64 v[14:15], v[68:69], v[82:83], v[14:15]
	s_waitcnt vmcnt(13)
	v_mul_f64 v[64:65], v[92:93], v[64:65]
	global_load_b64 v[68:69], v[66:67], off
	ds_bpermute_b32 v82, v35, v10
	ds_bpermute_b32 v83, v35, v11
	v_add_co_u32 v66, vcc_lo, v66, s30
	v_add_co_ci_u32_e32 v67, vcc_lo, s31, v67, vcc_lo
	v_add_co_u32 v50, vcc_lo, v50, s30
	v_add_co_ci_u32_e32 v51, vcc_lo, s31, v51, vcc_lo
	global_load_b64 v[90:91], v[50:51], off
	v_add_f64 v[12:13], v[12:13], v[92:93]
	s_waitcnt vmcnt(14) lgkmcnt(0)
	v_add_f64 v[82:83], v[86:87], -v[82:83]
	s_waitcnt vmcnt(13)
	v_mul_f64 v[78:79], v[52:53], v[78:79]
	ds_bpermute_b32 v86, v36, v10
	ds_bpermute_b32 v87, v36, v11
	v_fma_f64 v[14:15], v[64:65], v[84:85], v[14:15]
	global_load_b64 v[64:65], v[66:67], off
	ds_bpermute_b32 v84, v34, v8
	ds_bpermute_b32 v85, v34, v9
	v_add_co_u32 v66, vcc_lo, v66, s30
	v_add_co_ci_u32_e32 v67, vcc_lo, s31, v67, vcc_lo
	v_add_co_u32 v50, vcc_lo, v50, s30
	v_add_co_ci_u32_e32 v51, vcc_lo, s31, v51, vcc_lo
	global_load_b64 v[92:93], v[50:51], off
	v_add_f64 v[12:13], v[12:13], v[52:53]
	s_waitcnt vmcnt(14)
	v_mul_f64 v[82:83], v[54:55], v[82:83]
	s_waitcnt lgkmcnt(0)
	v_fma_f64 v[14:15], v[78:79], v[84:85], v[14:15]
	global_load_b64 v[78:79], v[66:67], off
	s_waitcnt vmcnt(14)
	v_add_f64 v[72:73], v[72:73], -v[86:87]
	ds_bpermute_b32 v84, v35, v8
	ds_bpermute_b32 v85, v35, v9
	v_add_co_u32 v66, vcc_lo, v66, s30
	v_add_co_ci_u32_e32 v67, vcc_lo, s31, v67, vcc_lo
	v_add_co_u32 v50, vcc_lo, v50, s30
	v_add_co_ci_u32_e32 v51, vcc_lo, s31, v51, vcc_lo
	ds_bpermute_b32 v86, v37, v10
	ds_bpermute_b32 v87, v37, v11
	global_load_b64 v[52:53], v[50:51], off
	v_add_co_u32 v50, vcc_lo, v50, s30
	v_add_co_ci_u32_e32 v51, vcc_lo, s31, v51, vcc_lo
	v_add_f64 v[12:13], v[12:13], v[54:55]
	s_waitcnt lgkmcnt(2)
	v_fma_f64 v[14:15], v[82:83], v[84:85], v[14:15]
	global_load_b64 v[82:83], v[66:67], off
	s_waitcnt vmcnt(15)
	v_mul_f64 v[72:73], v[88:89], v[72:73]
	v_add_co_u32 v66, vcc_lo, v66, s30
	ds_bpermute_b32 v84, v36, v8
	ds_bpermute_b32 v85, v36, v9
	v_add_co_ci_u32_e32 v67, vcc_lo, s31, v67, vcc_lo
	global_load_b64 v[54:55], v[66:67], off
	s_waitcnt vmcnt(15) lgkmcnt(2)
	v_add_f64 v[56:57], v[56:57], -v[86:87]
	global_load_b64 v[86:87], v[50:51], off
	v_add_co_u32 v50, vcc_lo, v50, s30
	v_add_co_ci_u32_e32 v51, vcc_lo, s31, v51, vcc_lo
	v_add_co_u32 v66, vcc_lo, v66, s30
	v_add_co_ci_u32_e32 v67, vcc_lo, s31, v67, vcc_lo
	v_add_f64 v[12:13], v[12:13], v[88:89]
	global_load_b64 v[88:89], v[66:67], off
	s_waitcnt lgkmcnt(0)
	v_fma_f64 v[14:15], v[72:73], v[84:85], v[14:15]
	ds_bpermute_b32 v72, v38, v10
	ds_bpermute_b32 v73, v38, v11
	;; [unrolled: 1-line block ×4, first 2 shown]
	s_waitcnt vmcnt(16)
	v_mul_f64 v[56:57], v[80:81], v[56:57]
	v_add_f64 v[12:13], v[12:13], v[80:81]
	ds_bpermute_b32 v80, v38, v8
	s_waitcnt vmcnt(15) lgkmcnt(3)
	v_add_f64 v[58:59], v[58:59], -v[72:73]
	global_load_b64 v[72:73], v[50:51], off
	v_add_co_u32 v50, vcc_lo, v50, s30
	v_add_co_ci_u32_e32 v51, vcc_lo, s31, v51, vcc_lo
	v_add_co_u32 v66, vcc_lo, v66, s30
	v_add_co_ci_u32_e32 v67, vcc_lo, s31, v67, vcc_lo
	ds_bpermute_b32 v81, v38, v9
	s_waitcnt lgkmcnt(2)
	v_fma_f64 v[14:15], v[56:57], v[84:85], v[14:15]
	ds_bpermute_b32 v56, v39, v10
	ds_bpermute_b32 v57, v39, v11
	global_load_b64 v[84:85], v[50:51], off
	v_add_co_u32 v50, vcc_lo, v50, s30
	v_add_co_ci_u32_e32 v51, vcc_lo, s31, v51, vcc_lo
	s_waitcnt vmcnt(15)
	v_add_f64 v[12:13], v[12:13], v[70:71]
	v_mul_f64 v[58:59], v[70:71], v[58:59]
	ds_bpermute_b32 v70, v39, v8
	ds_bpermute_b32 v71, v39, v9
	s_waitcnt lgkmcnt(2)
	v_add_f64 v[56:57], v[76:77], -v[56:57]
	global_load_b64 v[76:77], v[66:67], off
	v_add_co_u32 v66, vcc_lo, v66, s30
	v_add_co_ci_u32_e32 v67, vcc_lo, s31, v67, vcc_lo
	v_fma_f64 v[14:15], v[58:59], v[80:81], v[14:15]
	ds_bpermute_b32 v58, v40, v10
	ds_bpermute_b32 v59, v40, v11
	global_load_b64 v[50:51], v[50:51], off
	global_load_b64 v[80:81], v[66:67], off
	v_add_co_u32 v66, vcc_lo, v66, s30
	v_add_co_ci_u32_e32 v67, vcc_lo, s31, v67, vcc_lo
	v_add_co_u32 v0, vcc_lo, v0, s0
	v_add_co_ci_u32_e32 v49, vcc_lo, s1, v49, vcc_lo
	global_load_b64 v[66:67], v[66:67], off
	v_add_co_u32 v6, vcc_lo, v6, s28
	v_add_co_ci_u32_e32 v7, vcc_lo, s29, v7, vcc_lo
	v_add_co_u32 v2, vcc_lo, v2, s26
	v_add_co_ci_u32_e32 v3, vcc_lo, 0, v3, vcc_lo
	s_and_b32 vcc_lo, exec_lo, s3
	s_waitcnt vmcnt(18) lgkmcnt(0)
	v_add_f64 v[58:59], v[60:61], -v[58:59]
	s_waitcnt vmcnt(17)
	v_mul_f64 v[56:57], v[74:75], v[56:57]
	ds_bpermute_b32 v60, v41, v10
	ds_bpermute_b32 v61, v41, v11
	v_add_f64 v[12:13], v[12:13], v[74:75]
	s_waitcnt vmcnt(16) lgkmcnt(0)
	v_add_f64 v[60:61], v[62:63], -v[60:61]
	ds_bpermute_b32 v62, v40, v8
	ds_bpermute_b32 v63, v40, v9
	v_fma_f64 v[14:15], v[56:57], v[70:71], v[14:15]
	s_waitcnt vmcnt(15)
	v_mul_f64 v[58:59], v[68:69], v[58:59]
	ds_bpermute_b32 v56, v42, v10
	ds_bpermute_b32 v57, v42, v11
	v_add_f64 v[12:13], v[12:13], v[68:69]
	s_waitcnt vmcnt(14) lgkmcnt(0)
	v_add_f64 v[56:57], v[90:91], -v[56:57]
	v_fma_f64 v[14:15], v[58:59], v[62:63], v[14:15]
	s_waitcnt vmcnt(13)
	v_mul_f64 v[60:61], v[64:65], v[60:61]
	ds_bpermute_b32 v58, v43, v10
	ds_bpermute_b32 v59, v43, v11
	ds_bpermute_b32 v62, v41, v8
	ds_bpermute_b32 v63, v41, v9
	v_add_f64 v[12:13], v[12:13], v[64:65]
	s_waitcnt vmcnt(12) lgkmcnt(2)
	v_add_f64 v[58:59], v[92:93], -v[58:59]
	s_waitcnt vmcnt(11)
	v_mul_f64 v[56:57], v[78:79], v[56:57]
	s_waitcnt lgkmcnt(0)
	v_fma_f64 v[14:15], v[60:61], v[62:63], v[14:15]
	ds_bpermute_b32 v60, v44, v10
	ds_bpermute_b32 v61, v44, v11
	;; [unrolled: 1-line block ×4, first 2 shown]
	v_add_f64 v[12:13], v[12:13], v[78:79]
	s_waitcnt vmcnt(10) lgkmcnt(2)
	v_add_f64 v[52:53], v[52:53], -v[60:61]
	ds_bpermute_b32 v60, v43, v8
	ds_bpermute_b32 v61, v43, v9
	s_waitcnt vmcnt(9)
	v_mul_f64 v[58:59], v[82:83], v[58:59]
	s_waitcnt lgkmcnt(2)
	v_fma_f64 v[14:15], v[56:57], v[62:63], v[14:15]
	ds_bpermute_b32 v56, v45, v10
	ds_bpermute_b32 v57, v45, v11
	v_add_f64 v[12:13], v[12:13], v[82:83]
	s_waitcnt vmcnt(7) lgkmcnt(0)
	v_add_f64 v[56:57], v[86:87], -v[56:57]
	v_mul_f64 v[52:53], v[54:55], v[52:53]
	v_fma_f64 v[14:15], v[58:59], v[60:61], v[14:15]
	ds_bpermute_b32 v58, v46, v10
	ds_bpermute_b32 v59, v46, v11
	;; [unrolled: 1-line block ×4, first 2 shown]
	v_add_f64 v[12:13], v[12:13], v[54:55]
	ds_bpermute_b32 v54, v45, v8
	ds_bpermute_b32 v55, v45, v9
	s_waitcnt vmcnt(6)
	v_mul_f64 v[56:57], v[88:89], v[56:57]
	s_waitcnt vmcnt(5) lgkmcnt(4)
	v_add_f64 v[58:59], v[72:73], -v[58:59]
	s_waitcnt lgkmcnt(2)
	v_fma_f64 v[14:15], v[52:53], v[60:61], v[14:15]
	ds_bpermute_b32 v52, v47, v10
	ds_bpermute_b32 v53, v47, v11
	;; [unrolled: 1-line block ×4, first 2 shown]
	v_add_f64 v[12:13], v[12:13], v[88:89]
	s_waitcnt vmcnt(4) lgkmcnt(2)
	v_add_f64 v[52:53], v[84:85], -v[52:53]
	v_fma_f64 v[14:15], v[56:57], v[54:55], v[14:15]
	s_waitcnt vmcnt(3)
	v_mul_f64 v[58:59], v[76:77], v[58:59]
	ds_bpermute_b32 v54, v46, v8
	ds_bpermute_b32 v55, v46, v9
	v_add_f64 v[12:13], v[12:13], v[76:77]
	s_waitcnt vmcnt(2) lgkmcnt(2)
	v_add_f64 v[10:11], v[50:51], -v[10:11]
	s_waitcnt vmcnt(1)
	v_mul_f64 v[50:51], v[80:81], v[52:53]
	ds_bpermute_b32 v52, v47, v8
	ds_bpermute_b32 v53, v47, v9
	;; [unrolled: 1-line block ×4, first 2 shown]
	s_waitcnt lgkmcnt(4)
	v_fma_f64 v[14:15], v[58:59], v[54:55], v[14:15]
	v_add_f64 v[12:13], v[12:13], v[80:81]
	s_waitcnt vmcnt(0)
	v_mul_f64 v[10:11], v[66:67], v[10:11]
	s_waitcnt lgkmcnt(2)
	s_delay_alu instid0(VALU_DEP_3) | instskip(NEXT) | instid1(VALU_DEP_3)
	v_fma_f64 v[14:15], v[50:51], v[52:53], v[14:15]
	v_add_f64 v[12:13], v[12:13], v[66:67]
	s_waitcnt lgkmcnt(0)
	s_delay_alu instid0(VALU_DEP_2)
	v_fma_f64 v[14:15], v[10:11], v[8:9], v[14:15]
	s_cbranch_vccz .LBB27_8
.LBB27_6:                               ; =>This Inner Loop Header: Depth=1
	v_dual_mov_b32 v9, v5 :: v_dual_mov_b32 v8, v4
	v_dual_mov_b32 v11, v5 :: v_dual_mov_b32 v10, v4
	s_mov_b32 s3, exec_lo
	v_cmpx_gt_i64_e64 s[16:17], v[2:3]
	s_cbranch_execz .LBB27_5
; %bb.7:                                ;   in Loop: Header=BB27_6 Depth=1
	v_add_co_u32 v8, vcc_lo, s8, v6
	v_add_co_ci_u32_e32 v9, vcc_lo, s9, v7, vcc_lo
	v_add_co_u32 v50, vcc_lo, s10, v6
	v_add_co_ci_u32_e32 v51, vcc_lo, s11, v7, vcc_lo
	global_load_b64 v[10:11], v[8:9], off
	global_load_b64 v[8:9], v[50:51], off
	s_branch .LBB27_5
.LBB27_8:
	v_mov_b32_e32 v1, v16
.LBB27_9:
	s_load_b32 s0, s[24:25], 0xc
	v_mov_b32_e32 v2, 0
	s_mov_b32 s15, 0
	s_waitcnt lgkmcnt(0)
	s_lshr_b32 s0, s0, 16
	s_delay_alu instid0(VALU_DEP_1) | instid1(SALU_CYCLE_1)
	v_mad_u64_u32 v[3:4], null, s0, s2, v[1:2]
	s_lshl_b64 s[0:1], s[14:15], 6
	s_cmp_eq_u64 s[20:21], 0
	v_add_co_u32 v0, s0, s0, v17
	s_delay_alu instid0(VALU_DEP_1) | instskip(NEXT) | instid1(VALU_DEP_3)
	v_add_co_ci_u32_e64 v1, null, s1, 0, s0
	v_mul_lo_u32 v2, v4, s18
	s_delay_alu instid0(VALU_DEP_4) | instskip(NEXT) | instid1(VALU_DEP_3)
	v_mul_lo_u32 v4, v3, s19
	v_lshlrev_b64 v[0:1], 3, v[0:1]
	s_cbranch_scc1 .LBB27_11
; %bb.10:
	v_mad_u64_u32 v[5:6], null, v3, s18, 0
	s_delay_alu instid0(VALU_DEP_1) | instskip(NEXT) | instid1(VALU_DEP_1)
	v_add3_u32 v6, v6, v4, v2
	v_lshlrev_b64 v[5:6], 3, v[5:6]
	s_delay_alu instid0(VALU_DEP_1) | instskip(NEXT) | instid1(VALU_DEP_2)
	v_add_co_u32 v5, vcc_lo, s20, v5
	v_add_co_ci_u32_e32 v6, vcc_lo, s21, v6, vcc_lo
	s_delay_alu instid0(VALU_DEP_2) | instskip(NEXT) | instid1(VALU_DEP_2)
	v_add_co_u32 v5, vcc_lo, v5, v0
	v_add_co_ci_u32_e32 v6, vcc_lo, v6, v1, vcc_lo
	global_store_b64 v[5:6], v[14:15], off
.LBB27_11:
	s_cmp_eq_u64 s[22:23], 0
	s_cbranch_scc1 .LBB27_13
; %bb.12:
	v_mad_u64_u32 v[5:6], null, v3, s18, 0
	s_delay_alu instid0(VALU_DEP_1) | instskip(NEXT) | instid1(VALU_DEP_1)
	v_add3_u32 v6, v6, v4, v2
	v_lshlrev_b64 v[2:3], 3, v[5:6]
	s_delay_alu instid0(VALU_DEP_1) | instskip(NEXT) | instid1(VALU_DEP_2)
	v_add_co_u32 v2, vcc_lo, s22, v2
	v_add_co_ci_u32_e32 v3, vcc_lo, s23, v3, vcc_lo
	s_delay_alu instid0(VALU_DEP_2) | instskip(NEXT) | instid1(VALU_DEP_2)
	v_add_co_u32 v0, vcc_lo, v2, v0
	v_add_co_ci_u32_e32 v1, vcc_lo, v3, v1, vcc_lo
	global_store_b64 v[0:1], v[12:13], off
.LBB27_13:
	s_nop 0
	s_sendmsg sendmsg(MSG_DEALLOC_VGPRS)
	s_endpgm
	.section	.rodata,"a",@progbits
	.p2align	6, 0x0
	.amdhsa_kernel _ZN2at6native12_GLOBAL__N_135GammaBetaBackwardCUDAKernelTemplateIddLj64ELj1ELj32ELb1ELb1ELb0EEEvllPKT_S5_PKT0_S8_PS3_S9_
		.amdhsa_group_segment_fixed_size 0
		.amdhsa_private_segment_fixed_size 0
		.amdhsa_kernarg_size 320
		.amdhsa_user_sgpr_count 14
		.amdhsa_user_sgpr_dispatch_ptr 0
		.amdhsa_user_sgpr_queue_ptr 0
		.amdhsa_user_sgpr_kernarg_segment_ptr 1
		.amdhsa_user_sgpr_dispatch_id 0
		.amdhsa_user_sgpr_private_segment_size 0
		.amdhsa_wavefront_size32 1
		.amdhsa_uses_dynamic_stack 0
		.amdhsa_enable_private_segment 0
		.amdhsa_system_sgpr_workgroup_id_x 1
		.amdhsa_system_sgpr_workgroup_id_y 1
		.amdhsa_system_sgpr_workgroup_id_z 0
		.amdhsa_system_sgpr_workgroup_info 0
		.amdhsa_system_vgpr_workitem_id 1
		.amdhsa_next_free_vgpr 94
		.amdhsa_next_free_sgpr 32
		.amdhsa_reserve_vcc 1
		.amdhsa_float_round_mode_32 0
		.amdhsa_float_round_mode_16_64 0
		.amdhsa_float_denorm_mode_32 3
		.amdhsa_float_denorm_mode_16_64 3
		.amdhsa_dx10_clamp 1
		.amdhsa_ieee_mode 1
		.amdhsa_fp16_overflow 0
		.amdhsa_workgroup_processor_mode 1
		.amdhsa_memory_ordered 1
		.amdhsa_forward_progress 0
		.amdhsa_shared_vgpr_count 0
		.amdhsa_exception_fp_ieee_invalid_op 0
		.amdhsa_exception_fp_denorm_src 0
		.amdhsa_exception_fp_ieee_div_zero 0
		.amdhsa_exception_fp_ieee_overflow 0
		.amdhsa_exception_fp_ieee_underflow 0
		.amdhsa_exception_fp_ieee_inexact 0
		.amdhsa_exception_int_div_zero 0
	.end_amdhsa_kernel
	.section	.text._ZN2at6native12_GLOBAL__N_135GammaBetaBackwardCUDAKernelTemplateIddLj64ELj1ELj32ELb1ELb1ELb0EEEvllPKT_S5_PKT0_S8_PS3_S9_,"axG",@progbits,_ZN2at6native12_GLOBAL__N_135GammaBetaBackwardCUDAKernelTemplateIddLj64ELj1ELj32ELb1ELb1ELb0EEEvllPKT_S5_PKT0_S8_PS3_S9_,comdat
.Lfunc_end27:
	.size	_ZN2at6native12_GLOBAL__N_135GammaBetaBackwardCUDAKernelTemplateIddLj64ELj1ELj32ELb1ELb1ELb0EEEvllPKT_S5_PKT0_S8_PS3_S9_, .Lfunc_end27-_ZN2at6native12_GLOBAL__N_135GammaBetaBackwardCUDAKernelTemplateIddLj64ELj1ELj32ELb1ELb1ELb0EEEvllPKT_S5_PKT0_S8_PS3_S9_
                                        ; -- End function
	.section	.AMDGPU.csdata,"",@progbits
; Kernel info:
; codeLenInByte = 4620
; NumSgprs: 34
; NumVgprs: 94
; ScratchSize: 0
; MemoryBound: 0
; FloatMode: 240
; IeeeMode: 1
; LDSByteSize: 0 bytes/workgroup (compile time only)
; SGPRBlocks: 4
; VGPRBlocks: 11
; NumSGPRsForWavesPerEU: 34
; NumVGPRsForWavesPerEU: 94
; Occupancy: 16
; WaveLimiterHint : 0
; COMPUTE_PGM_RSRC2:SCRATCH_EN: 0
; COMPUTE_PGM_RSRC2:USER_SGPR: 14
; COMPUTE_PGM_RSRC2:TRAP_HANDLER: 0
; COMPUTE_PGM_RSRC2:TGID_X_EN: 1
; COMPUTE_PGM_RSRC2:TGID_Y_EN: 1
; COMPUTE_PGM_RSRC2:TGID_Z_EN: 0
; COMPUTE_PGM_RSRC2:TIDIG_COMP_CNT: 1
	.section	.text._ZN2at6native12_GLOBAL__N_135GammaBetaBackwardCUDAKernelTemplateIddLj64ELj1ELj32ELb1ELb0ELb0EEEvllPKT_S5_PKT0_S8_PS3_S9_,"axG",@progbits,_ZN2at6native12_GLOBAL__N_135GammaBetaBackwardCUDAKernelTemplateIddLj64ELj1ELj32ELb1ELb0ELb0EEEvllPKT_S5_PKT0_S8_PS3_S9_,comdat
	.globl	_ZN2at6native12_GLOBAL__N_135GammaBetaBackwardCUDAKernelTemplateIddLj64ELj1ELj32ELb1ELb0ELb0EEEvllPKT_S5_PKT0_S8_PS3_S9_ ; -- Begin function _ZN2at6native12_GLOBAL__N_135GammaBetaBackwardCUDAKernelTemplateIddLj64ELj1ELj32ELb1ELb0ELb0EEEvllPKT_S5_PKT0_S8_PS3_S9_
	.p2align	8
	.type	_ZN2at6native12_GLOBAL__N_135GammaBetaBackwardCUDAKernelTemplateIddLj64ELj1ELj32ELb1ELb0ELb0EEEvllPKT_S5_PKT0_S8_PS3_S9_,@function
_ZN2at6native12_GLOBAL__N_135GammaBetaBackwardCUDAKernelTemplateIddLj64ELj1ELj32ELb1ELb0ELb0EEEvllPKT_S5_PKT0_S8_PS3_S9_: ; @_ZN2at6native12_GLOBAL__N_135GammaBetaBackwardCUDAKernelTemplateIddLj64ELj1ELj32ELb1ELb0ELb0EEEvllPKT_S5_PKT0_S8_PS3_S9_
; %bb.0:
	s_clause 0x1
	s_load_b256 s[16:23], s[0:1], 0x0
	s_load_b128 s[8:11], s[0:1], 0x20
	s_mov_b32 s2, s15
	s_lshl_b32 s15, s14, 6
	s_mov_b32 s7, 0
	s_or_b32 s6, s15, 63
	s_waitcnt lgkmcnt(0)
	v_cmp_ge_i64_e64 s3, s[6:7], s[18:19]
	s_lshl_b32 s6, s2, 5
	s_delay_alu instid0(SALU_CYCLE_1) | instskip(NEXT) | instid1(VALU_DEP_2)
	v_cmp_lt_i64_e64 s28, s[6:7], s[16:17]
	s_and_b32 vcc_lo, exec_lo, s3
	s_delay_alu instid0(VALU_DEP_1) | instskip(NEXT) | instid1(VALU_DEP_1)
	v_cndmask_b32_e64 v1, 0, 1, s28
	v_cmp_ne_u32_e64 s3, 1, v1
	s_cbranch_vccz .LBB28_140
; %bb.1:
	v_mov_b32_e32 v1, 0
	v_mov_b32_e32 v2, 0
	s_delay_alu instid0(VALU_DEP_3)
	s_and_b32 vcc_lo, exec_lo, s3
	s_clause 0x1
	scratch_store_b64 off, v[1:2], off
	scratch_store_b64 off, v[1:2], off offset:8
	s_cbranch_vccnz .LBB28_142
; %bb.2:
	v_bfe_u32 v1, v0, 10, 10
	s_load_b32 s4, s[0:1], 0x44
	s_add_u32 s12, s0, 64
	s_addc_u32 s13, s1, 0
	s_mov_b64 s[26:27], s[6:7]
	v_dual_mov_b32 v5, 0 :: v_dual_lshlrev_b32 v140, 5, v1
	s_delay_alu instid0(VALU_DEP_1)
	v_dual_mov_b32 v142, v5 :: v_dual_and_b32 v3, 0x3ff, v0
	s_clause 0x2
	scratch_store_b32 off, v1, off offset:76
	scratch_store_b32 off, v3, off offset:80
	;; [unrolled: 1-line block ×3, first 2 shown]
	v_add_co_u32 v0, s3, v140, s6
	s_delay_alu instid0(VALU_DEP_1) | instskip(SKIP_1) | instid1(VALU_DEP_3)
	v_add_co_ci_u32_e64 v1, null, 0, 0, s3
	v_add_nc_u32_e32 v4, s15, v3
	v_add_co_u32 v6, vcc_lo, v0, 31
	s_delay_alu instid0(VALU_DEP_3) | instskip(SKIP_1) | instid1(VALU_DEP_3)
	v_add_co_ci_u32_e32 v2, vcc_lo, 0, v1, vcc_lo
	v_add_co_u32 v10, vcc_lo, v0, 30
	v_mul_lo_u32 v7, s19, v6
	s_delay_alu instid0(VALU_DEP_3)
	v_mul_lo_u32 v8, s18, v2
	v_mad_u64_u32 v[2:3], null, s18, v6, 0
	v_add_co_ci_u32_e32 v9, vcc_lo, 0, v1, vcc_lo
	s_waitcnt lgkmcnt(0)
	s_lshl_b32 s29, s4, 5
	v_cmp_gt_i64_e64 s3, s[18:19], v[4:5]
	s_mul_i32 s4, s19, s29
	v_mul_lo_u32 v11, s18, v9
	s_delay_alu instid0(VALU_DEP_4) | instskip(SKIP_3) | instid1(VALU_DEP_4)
	v_add3_u32 v3, v3, v8, v7
	v_lshlrev_b64 v[6:7], 3, v[4:5]
	v_mul_lo_u32 v4, s19, v10
	v_mad_u64_u32 v[8:9], null, s18, v10, 0
	v_lshlrev_b64 v[2:3], 3, v[2:3]
	s_mul_hi_u32 s5, s18, s29
	s_mul_i32 s24, s18, s29
	s_add_i32 s25, s5, s4
	s_delay_alu instid0(SALU_CYCLE_1) | instskip(NEXT) | instid1(VALU_DEP_1)
	s_lshl_b64 s[24:25], s[24:25], 3
	v_add_co_u32 v10, vcc_lo, s20, v2
	v_add_co_u32 v2, s4, s22, v2
	v_add3_u32 v9, v9, v11, v4
	scratch_store_b32 off, v10, off offset:16 ; 4-byte Folded Spill
	v_add_co_ci_u32_e32 v10, vcc_lo, s21, v3, vcc_lo
	scratch_store_b32 off, v2, off offset:24 ; 4-byte Folded Spill
	v_add_co_ci_u32_e64 v2, s4, s23, v3, s4
	v_add_co_u32 v4, vcc_lo, v0, 29
	s_clause 0x1
	scratch_store_b32 off, v10, off offset:20
	scratch_store_b32 off, v2, off offset:28
	v_lshlrev_b64 v[2:3], 3, v[8:9]
	v_add_co_ci_u32_e32 v8, vcc_lo, 0, v1, vcc_lo
	v_add_co_u32 v13, vcc_lo, v0, 28
	v_add_co_ci_u32_e32 v10, vcc_lo, 0, v1, vcc_lo
	v_mul_lo_u32 v12, s19, v4
	s_delay_alu instid0(VALU_DEP_4)
	v_mul_lo_u32 v14, s18, v8
	v_mad_u64_u32 v[8:9], null, s18, v4, 0
	v_mul_lo_u32 v4, s19, v13
	v_mul_lo_u32 v15, s18, v10
	v_mad_u64_u32 v[10:11], null, s18, v13, 0
	v_add_co_u32 v13, vcc_lo, s20, v2
	v_add3_u32 v9, v9, v14, v12
	scratch_store_b32 off, v13, off offset:32 ; 4-byte Folded Spill
	v_add_co_ci_u32_e32 v13, vcc_lo, s21, v3, vcc_lo
	v_add_co_u32 v2, vcc_lo, s22, v2
	v_add3_u32 v11, v11, v15, v4
	s_clause 0x1
	scratch_store_b32 off, v13, off offset:36
	scratch_store_b32 off, v2, off offset:40
	v_add_co_ci_u32_e32 v2, vcc_lo, s23, v3, vcc_lo
	v_add_co_u32 v4, vcc_lo, v0, 27
	v_add_co_ci_u32_e32 v12, vcc_lo, 0, v1, vcc_lo
	scratch_store_b32 off, v2, off offset:44 ; 4-byte Folded Spill
	v_lshlrev_b64 v[2:3], 3, v[8:9]
	v_mul_lo_u32 v13, s19, v4
	v_mul_lo_u32 v12, s18, v12
	s_delay_alu instid0(VALU_DEP_3)
	v_add_co_u32 v8, vcc_lo, s20, v2
	scratch_store_b32 off, v8, off offset:48 ; 4-byte Folded Spill
	v_add_co_ci_u32_e32 v8, vcc_lo, s21, v3, vcc_lo
	v_add_co_u32 v2, vcc_lo, s22, v2
	scratch_store_b32 off, v8, off offset:52 ; 4-byte Folded Spill
	v_lshlrev_b64 v[8:9], 3, v[10:11]
	scratch_store_b32 off, v2, off offset:56 ; 4-byte Folded Spill
	v_add_co_ci_u32_e32 v2, vcc_lo, s23, v3, vcc_lo
	v_mad_u64_u32 v[10:11], null, s18, v4, 0
	v_add_co_u32 v157, s4, s22, v8
	scratch_store_b32 off, v2, off offset:60 ; 4-byte Folded Spill
	v_add_co_u32 v2, vcc_lo, s20, v8
	v_add_co_ci_u32_e32 v156, vcc_lo, s21, v9, vcc_lo
	v_add_co_u32 v4, vcc_lo, v0, 26
	v_add3_u32 v11, v11, v12, v13
	v_add_co_ci_u32_e32 v8, vcc_lo, 0, v1, vcc_lo
	v_add_co_u32 v13, vcc_lo, v0, 25
	scratch_store_b32 off, v2, off offset:64 ; 4-byte Folded Spill
	v_add_co_ci_u32_e64 v158, s4, s23, v9, s4
	v_lshlrev_b64 v[2:3], 3, v[10:11]
	v_mul_lo_u32 v12, s19, v4
	v_add_co_ci_u32_e32 v10, vcc_lo, 0, v1, vcc_lo
	v_mul_lo_u32 v14, s18, v8
	v_mad_u64_u32 v[8:9], null, s18, v4, 0
	v_mul_lo_u32 v4, s19, v13
	s_delay_alu instid0(VALU_DEP_4)
	v_mul_lo_u32 v15, s18, v10
	v_mad_u64_u32 v[10:11], null, s18, v13, 0
	v_add_co_u32 v159, vcc_lo, s20, v2
	v_add3_u32 v9, v9, v14, v12
	v_add_co_ci_u32_e32 v160, vcc_lo, s21, v3, vcc_lo
	v_add_co_u32 v161, vcc_lo, s22, v2
	v_add_co_ci_u32_e32 v162, vcc_lo, s23, v3, vcc_lo
	s_delay_alu instid0(VALU_DEP_4) | instskip(SKIP_3) | instid1(VALU_DEP_4)
	v_lshlrev_b64 v[2:3], 3, v[8:9]
	v_add3_u32 v11, v11, v15, v4
	v_add_co_u32 v4, vcc_lo, v0, 24
	v_add_co_ci_u32_e32 v12, vcc_lo, 0, v1, vcc_lo
	v_add_co_u32 v163, vcc_lo, s20, v2
	s_delay_alu instid0(VALU_DEP_4) | instskip(NEXT) | instid1(VALU_DEP_4)
	v_lshlrev_b64 v[8:9], 3, v[10:11]
	v_mul_lo_u32 v13, s19, v4
	s_delay_alu instid0(VALU_DEP_4)
	v_mul_lo_u32 v12, s18, v12
	v_mad_u64_u32 v[10:11], null, s18, v4, 0
	v_add_co_ci_u32_e32 v164, vcc_lo, s21, v3, vcc_lo
	v_add_co_u32 v165, vcc_lo, s22, v2
	v_add_co_ci_u32_e32 v166, vcc_lo, s23, v3, vcc_lo
	v_add_co_u32 v167, vcc_lo, s20, v8
	v_add_co_ci_u32_e32 v168, vcc_lo, s21, v9, vcc_lo
	v_add3_u32 v11, v11, v12, v13
	v_add_co_u32 v4, vcc_lo, v0, 23
	v_add_co_u32 v169, s4, s22, v8
	v_add_co_ci_u32_e32 v8, vcc_lo, 0, v1, vcc_lo
	v_add_co_u32 v13, vcc_lo, v0, 22
	v_lshlrev_b64 v[2:3], 3, v[10:11]
	v_add_co_ci_u32_e32 v10, vcc_lo, 0, v1, vcc_lo
	v_add_co_ci_u32_e64 v170, s4, s23, v9, s4
	v_mul_lo_u32 v12, s19, v4
	v_mul_lo_u32 v14, s18, v8
	v_mad_u64_u32 v[8:9], null, s18, v4, 0
	v_mul_lo_u32 v4, s19, v13
	v_mul_lo_u32 v15, s18, v10
	v_mad_u64_u32 v[10:11], null, s18, v13, 0
	v_add_co_u32 v171, vcc_lo, s20, v2
	v_add_co_ci_u32_e32 v172, vcc_lo, s21, v3, vcc_lo
	v_add_co_u32 v173, vcc_lo, s22, v2
	v_add3_u32 v9, v9, v14, v12
	v_add_co_ci_u32_e32 v174, vcc_lo, s23, v3, vcc_lo
	v_add3_u32 v11, v11, v15, v4
	v_add_co_u32 v4, vcc_lo, v0, 21
	v_add_co_ci_u32_e32 v12, vcc_lo, 0, v1, vcc_lo
	v_lshlrev_b64 v[2:3], 3, v[8:9]
	s_delay_alu instid0(VALU_DEP_4) | instskip(NEXT) | instid1(VALU_DEP_4)
	v_lshlrev_b64 v[8:9], 3, v[10:11]
	v_mul_lo_u32 v13, s19, v4
	s_delay_alu instid0(VALU_DEP_4)
	v_mul_lo_u32 v12, s18, v12
	v_mad_u64_u32 v[10:11], null, s18, v4, 0
	v_add_co_u32 v175, vcc_lo, s20, v2
	v_add_co_ci_u32_e32 v176, vcc_lo, s21, v3, vcc_lo
	v_add_co_u32 v177, vcc_lo, s22, v2
	v_add_co_ci_u32_e32 v178, vcc_lo, s23, v3, vcc_lo
	v_add_co_u32 v179, vcc_lo, s20, v8
	v_add3_u32 v11, v11, v12, v13
	v_add_co_ci_u32_e32 v180, vcc_lo, s21, v9, vcc_lo
	v_add_co_u32 v2, vcc_lo, v0, 20
	v_add_co_u32 v3, s4, s22, v8
	s_delay_alu instid0(VALU_DEP_1) | instskip(SKIP_4) | instid1(VALU_DEP_3)
	v_add_co_ci_u32_e64 v4, s4, s23, v9, s4
	v_lshlrev_b64 v[8:9], 3, v[10:11]
	v_add_co_ci_u32_e32 v10, vcc_lo, 0, v1, vcc_lo
	v_add_co_u32 v15, vcc_lo, v0, 19
	v_mul_lo_u32 v14, s19, v2
	v_mul_lo_u32 v16, s18, v10
	v_mad_u64_u32 v[10:11], null, s18, v2, 0
	v_add_co_ci_u32_e32 v12, vcc_lo, 0, v1, vcc_lo
	v_mul_lo_u32 v2, s19, v15
	v_add_co_u32 v181, vcc_lo, s20, v8
	s_delay_alu instid0(VALU_DEP_3)
	v_mul_lo_u32 v17, s18, v12
	v_mad_u64_u32 v[12:13], null, s18, v15, 0
	v_add3_u32 v11, v11, v16, v14
	v_add_co_ci_u32_e32 v182, vcc_lo, s21, v9, vcc_lo
	v_add_co_u32 v183, vcc_lo, s22, v8
	v_add_co_ci_u32_e32 v184, vcc_lo, s23, v9, vcc_lo
	s_delay_alu instid0(VALU_DEP_4) | instskip(SKIP_3) | instid1(VALU_DEP_4)
	v_lshlrev_b64 v[8:9], 3, v[10:11]
	v_add3_u32 v13, v13, v17, v2
	v_add_co_u32 v2, vcc_lo, v0, 18
	v_add_co_ci_u32_e32 v14, vcc_lo, 0, v1, vcc_lo
	v_add_co_u32 v185, vcc_lo, s20, v8
	s_delay_alu instid0(VALU_DEP_4)
	v_lshlrev_b64 v[10:11], 3, v[12:13]
	v_add_co_ci_u32_e32 v186, vcc_lo, s21, v9, vcc_lo
	v_add_co_u32 v187, vcc_lo, s22, v8
	v_mul_lo_u32 v15, s19, v2
	v_mul_lo_u32 v14, s18, v14
	v_mad_u64_u32 v[12:13], null, s18, v2, 0
	v_add_co_ci_u32_e32 v188, vcc_lo, s23, v9, vcc_lo
	v_add_co_u32 v189, vcc_lo, s20, v10
	v_add_co_ci_u32_e32 v190, vcc_lo, s21, v11, vcc_lo
	v_add_co_u32 v2, vcc_lo, v0, 17
	v_add_co_u32 v191, s4, s22, v10
	v_add_co_ci_u32_e32 v10, vcc_lo, 0, v1, vcc_lo
	v_add3_u32 v13, v13, v14, v15
	v_add_co_u32 v15, vcc_lo, v0, 16
	v_add_co_ci_u32_e64 v192, s4, s23, v11, s4
	v_mul_lo_u32 v14, s19, v2
	v_mul_lo_u32 v16, s18, v10
	v_mad_u64_u32 v[10:11], null, s18, v2, 0
	v_lshlrev_b64 v[8:9], 3, v[12:13]
	v_add_co_ci_u32_e32 v12, vcc_lo, 0, v1, vcc_lo
	v_mul_lo_u32 v2, s19, v15
	s_delay_alu instid0(VALU_DEP_2)
	v_mul_lo_u32 v17, s18, v12
	v_mad_u64_u32 v[12:13], null, s18, v15, 0
	v_add_co_u32 v193, vcc_lo, s20, v8
	v_add3_u32 v11, v11, v16, v14
	v_add_co_ci_u32_e32 v194, vcc_lo, s21, v9, vcc_lo
	v_add_co_u32 v195, vcc_lo, s22, v8
	v_add_co_ci_u32_e32 v196, vcc_lo, s23, v9, vcc_lo
	s_delay_alu instid0(VALU_DEP_4) | instskip(SKIP_3) | instid1(VALU_DEP_4)
	v_lshlrev_b64 v[8:9], 3, v[10:11]
	v_add3_u32 v13, v13, v17, v2
	v_add_co_u32 v2, vcc_lo, v0, 15
	v_add_co_ci_u32_e32 v14, vcc_lo, 0, v1, vcc_lo
	v_add_co_u32 v197, vcc_lo, s20, v8
	s_delay_alu instid0(VALU_DEP_4)
	v_lshlrev_b64 v[10:11], 3, v[12:13]
	v_add_co_ci_u32_e32 v198, vcc_lo, s21, v9, vcc_lo
	v_add_co_u32 v199, vcc_lo, s22, v8
	v_mul_lo_u32 v15, s19, v2
	v_mul_lo_u32 v14, s18, v14
	v_mad_u64_u32 v[12:13], null, s18, v2, 0
	v_add_co_ci_u32_e32 v200, vcc_lo, s23, v9, vcc_lo
	v_add_co_u32 v201, vcc_lo, s20, v10
	v_add_co_ci_u32_e32 v202, vcc_lo, s21, v11, vcc_lo
	v_add_co_u32 v2, vcc_lo, v0, 14
	v_add_co_u32 v203, s4, s22, v10
	v_add_co_ci_u32_e32 v10, vcc_lo, 0, v1, vcc_lo
	v_add3_u32 v13, v13, v14, v15
	v_add_co_u32 v15, vcc_lo, v0, 13
	v_add_co_ci_u32_e64 v204, s4, s23, v11, s4
	v_mul_lo_u32 v14, s19, v2
	v_mul_lo_u32 v16, s18, v10
	v_mad_u64_u32 v[10:11], null, s18, v2, 0
	v_lshlrev_b64 v[8:9], 3, v[12:13]
	v_add_co_ci_u32_e32 v12, vcc_lo, 0, v1, vcc_lo
	v_mul_lo_u32 v2, s19, v15
	s_delay_alu instid0(VALU_DEP_2)
	v_mul_lo_u32 v17, s18, v12
	v_mad_u64_u32 v[12:13], null, s18, v15, 0
	v_add_co_u32 v205, vcc_lo, s20, v8
	;; [unrolled: 36-line block ×4, first 2 shown]
	v_add3_u32 v11, v11, v16, v14
	v_add_co_ci_u32_e32 v230, vcc_lo, s21, v9, vcc_lo
	v_add_co_u32 v231, vcc_lo, s22, v8
	v_add_co_ci_u32_e32 v232, vcc_lo, s23, v9, vcc_lo
	s_delay_alu instid0(VALU_DEP_4) | instskip(SKIP_3) | instid1(VALU_DEP_4)
	v_lshlrev_b64 v[8:9], 3, v[10:11]
	v_add3_u32 v13, v13, v17, v2
	v_add_co_u32 v2, vcc_lo, v0, 6
	v_add_co_ci_u32_e32 v14, vcc_lo, 0, v1, vcc_lo
	v_add_co_u32 v233, vcc_lo, s20, v8
	s_delay_alu instid0(VALU_DEP_4)
	v_lshlrev_b64 v[10:11], 3, v[12:13]
	v_add_co_ci_u32_e32 v234, vcc_lo, s21, v9, vcc_lo
	v_add_co_u32 v235, vcc_lo, s22, v8
	v_mul_lo_u32 v15, s19, v2
	v_mul_lo_u32 v14, s18, v14
	v_mad_u64_u32 v[12:13], null, s18, v2, 0
	v_add_co_ci_u32_e32 v236, vcc_lo, s23, v9, vcc_lo
	v_add_co_u32 v237, vcc_lo, s20, v10
	v_add_co_ci_u32_e32 v238, vcc_lo, s21, v11, vcc_lo
	v_add_co_u32 v2, vcc_lo, v0, 5
	v_add_co_u32 v239, s4, s22, v10
	v_add_co_ci_u32_e32 v10, vcc_lo, 0, v1, vcc_lo
	v_add3_u32 v13, v13, v14, v15
	v_add_co_u32 v15, vcc_lo, v0, 4
	v_add_co_ci_u32_e64 v240, s4, s23, v11, s4
	v_mul_lo_u32 v14, s19, v2
	v_mul_lo_u32 v16, s18, v10
	v_mad_u64_u32 v[10:11], null, s18, v2, 0
	v_lshlrev_b64 v[8:9], 3, v[12:13]
	v_add_co_ci_u32_e32 v12, vcc_lo, 0, v1, vcc_lo
	v_mul_lo_u32 v2, s19, v15
	s_mov_b64 s[4:5], 31
	s_delay_alu instid0(VALU_DEP_2)
	v_mul_lo_u32 v17, s18, v12
	v_mad_u64_u32 v[12:13], null, s18, v15, 0
	v_add_co_u32 v241, vcc_lo, s20, v8
	v_add3_u32 v11, v11, v16, v14
	v_add_co_ci_u32_e32 v242, vcc_lo, s21, v9, vcc_lo
	v_add_co_u32 v243, vcc_lo, s22, v8
	v_add_co_ci_u32_e32 v244, vcc_lo, s23, v9, vcc_lo
	s_delay_alu instid0(VALU_DEP_4) | instskip(SKIP_3) | instid1(VALU_DEP_4)
	v_lshlrev_b64 v[8:9], 3, v[10:11]
	v_add3_u32 v13, v13, v17, v2
	v_add_co_u32 v2, vcc_lo, v0, 3
	v_add_co_ci_u32_e32 v14, vcc_lo, 0, v1, vcc_lo
	v_add_co_u32 v245, vcc_lo, s20, v8
	s_delay_alu instid0(VALU_DEP_4)
	v_lshlrev_b64 v[10:11], 3, v[12:13]
	v_add_co_ci_u32_e32 v246, vcc_lo, s21, v9, vcc_lo
	v_mul_lo_u32 v15, s19, v2
	v_mul_lo_u32 v14, s18, v14
	v_mad_u64_u32 v[12:13], null, s18, v2, 0
	v_add_co_u32 v247, vcc_lo, s22, v8
	v_add_co_ci_u32_e32 v248, vcc_lo, s23, v9, vcc_lo
	v_add_co_u32 v249, vcc_lo, s20, v10
	v_add_co_ci_u32_e32 v250, vcc_lo, s21, v11, vcc_lo
	v_add_co_u32 v2, vcc_lo, v0, 2
	v_add3_u32 v13, v13, v14, v15
	v_add_co_ci_u32_e32 v14, vcc_lo, 0, v1, vcc_lo
	v_add_co_u32 v251, vcc_lo, s22, v10
	v_add_co_ci_u32_e32 v252, vcc_lo, s23, v11, vcc_lo
	s_delay_alu instid0(VALU_DEP_4)
	v_lshlrev_b64 v[8:9], 3, v[12:13]
	v_mul_lo_u32 v12, s19, v2
	v_mul_lo_u32 v13, s18, v14
	v_mad_u64_u32 v[10:11], null, s18, v2, 0
	v_mul_lo_u32 v14, s19, v0
	v_mul_lo_u32 v15, s18, v1
	v_mad_u64_u32 v[1:2], null, s18, v0, 0
	v_add_co_u32 v253, vcc_lo, s20, v8
	v_add3_u32 v11, v11, v13, v12
	v_add_co_ci_u32_e32 v254, vcc_lo, s21, v9, vcc_lo
	v_add_co_u32 v255, vcc_lo, s22, v8
	v_add3_u32 v2, v2, v15, v14
	v_add_co_ci_u32_e32 v0, vcc_lo, s23, v9, vcc_lo
	v_lshlrev_b64 v[8:9], 3, v[10:11]
	v_add_co_u32 v10, vcc_lo, v1, s18
	s_delay_alu instid0(VALU_DEP_4) | instskip(SKIP_1) | instid1(VALU_DEP_4)
	v_add_co_ci_u32_e32 v11, vcc_lo, s19, v2, vcc_lo
	v_lshlrev_b64 v[1:2], 3, v[1:2]
	v_add_co_u32 v141, vcc_lo, s20, v8
	s_delay_alu instid0(VALU_DEP_3) | instskip(SKIP_3) | instid1(VALU_DEP_4)
	v_lshlrev_b64 v[10:11], 3, v[10:11]
	v_add_co_ci_u32_e32 v143, vcc_lo, s21, v9, vcc_lo
	v_add_co_u32 v144, vcc_lo, s22, v8
	v_add_co_ci_u32_e32 v145, vcc_lo, s23, v9, vcc_lo
	v_add_co_u32 v146, vcc_lo, s20, v10
	;; [unrolled: 2-line block ×5, first 2 shown]
	v_mov_b32_e32 v8, 0
	v_mov_b32_e32 v9, 0
	v_add_co_ci_u32_e32 v153, vcc_lo, s23, v2, vcc_lo
	s_clause 0x1
	scratch_store_b64 off, v[8:9], off offset:8
	scratch_store_b64 off, v[8:9], off
	s_branch .LBB28_5
.LBB28_3:                               ;   in Loop: Header=BB28_5 Depth=1
	s_or_b32 exec_lo, exec_lo, s30
	scratch_load_b64 v[16:17], off, off offset:8 ; 8-byte Folded Reload
	s_waitcnt vmcnt(2)
	ds_bpermute_b32 v138, v5, v8
	ds_bpermute_b32 v139, v5, v9
	s_waitcnt vmcnt(1) lgkmcnt(0)
	v_add_f64 v[60:61], v[60:61], -v[138:139]
	ds_bpermute_b32 v138, v5, v10
	ds_bpermute_b32 v139, v5, v11
	v_mul_f64 v[60:61], v[12:13], v[60:61]
	s_waitcnt vmcnt(0) lgkmcnt(0)
	s_delay_alu instid0(VALU_DEP_1)
	v_fma_f64 v[60:61], v[60:61], v[138:139], v[16:17]
	ds_bpermute_b32 v138, v5, v8 offset:4
	ds_bpermute_b32 v139, v5, v9 offset:4
	ds_bpermute_b32 v16, v5, v8 offset:72
	ds_bpermute_b32 v17, v5, v9 offset:72
	s_waitcnt lgkmcnt(2)
	v_add_f64 v[56:57], v[56:57], -v[138:139]
	ds_bpermute_b32 v138, v5, v10 offset:4
	ds_bpermute_b32 v139, v5, v11 offset:4
	s_waitcnt lgkmcnt(2)
	v_add_f64 v[16:17], v[86:87], -v[16:17]
	v_mul_f64 v[56:57], v[154:155], v[56:57]
	s_delay_alu instid0(VALU_DEP_2) | instskip(SKIP_1) | instid1(VALU_DEP_2)
	v_mul_f64 v[16:17], v[50:51], v[16:17]
	s_waitcnt lgkmcnt(0)
	v_fma_f64 v[56:57], v[56:57], v[138:139], v[60:61]
	ds_bpermute_b32 v60, v5, v8 offset:8
	ds_bpermute_b32 v61, v5, v9 offset:8
	s_waitcnt lgkmcnt(0)
	v_add_f64 v[58:59], v[58:59], -v[60:61]
	ds_bpermute_b32 v60, v5, v10 offset:8
	ds_bpermute_b32 v61, v5, v11 offset:8
	v_mul_f64 v[58:59], v[14:15], v[58:59]
	s_waitcnt lgkmcnt(0)
	s_delay_alu instid0(VALU_DEP_1)
	v_fma_f64 v[56:57], v[58:59], v[60:61], v[56:57]
	ds_bpermute_b32 v58, v5, v8 offset:12
	ds_bpermute_b32 v59, v5, v9 offset:12
	ds_bpermute_b32 v60, v5, v10 offset:12
	ds_bpermute_b32 v61, v5, v11 offset:12
	s_waitcnt lgkmcnt(2)
	v_add_f64 v[58:59], v[62:63], -v[58:59]
	s_delay_alu instid0(VALU_DEP_1) | instskip(SKIP_1) | instid1(VALU_DEP_1)
	v_mul_f64 v[58:59], v[24:25], v[58:59]
	s_waitcnt lgkmcnt(0)
	v_fma_f64 v[56:57], v[58:59], v[60:61], v[56:57]
	ds_bpermute_b32 v58, v5, v8 offset:16
	ds_bpermute_b32 v59, v5, v9 offset:16
	ds_bpermute_b32 v60, v5, v10 offset:16
	ds_bpermute_b32 v61, v5, v11 offset:16
	s_waitcnt lgkmcnt(2)
	v_add_f64 v[58:59], v[64:65], -v[58:59]
	s_delay_alu instid0(VALU_DEP_1) | instskip(SKIP_1) | instid1(VALU_DEP_1)
	v_mul_f64 v[58:59], v[18:19], v[58:59]
	s_waitcnt lgkmcnt(0)
	;; [unrolled: 10-line block ×14, first 2 shown]
	v_fma_f64 v[56:57], v[58:59], v[60:61], v[56:57]
	scratch_load_b64 v[58:59], off, off     ; 8-byte Folded Reload
	s_waitcnt vmcnt(0)
	v_add_f64 v[12:13], v[58:59], v[12:13]
	s_delay_alu instid0(VALU_DEP_1) | instskip(NEXT) | instid1(VALU_DEP_1)
	v_add_f64 v[12:13], v[12:13], v[154:155]
	v_add_f64 v[12:13], v[12:13], v[14:15]
	ds_bpermute_b32 v14, v5, v8 offset:68
	ds_bpermute_b32 v15, v5, v9 offset:68
	s_waitcnt lgkmcnt(0)
	v_add_f64 v[14:15], v[66:67], -v[14:15]
	v_add_f64 v[12:13], v[12:13], v[24:25]
	ds_bpermute_b32 v24, v5, v10 offset:68
	ds_bpermute_b32 v25, v5, v11 offset:68
	v_mul_f64 v[14:15], v[52:53], v[14:15]
	v_add_f64 v[12:13], v[12:13], v[18:19]
	ds_bpermute_b32 v18, v5, v8 offset:76
	ds_bpermute_b32 v19, v5, v9 offset:76
	s_waitcnt lgkmcnt(0)
	v_add_f64 v[18:19], v[100:101], -v[18:19]
	v_fma_f64 v[14:15], v[14:15], v[24:25], v[56:57]
	ds_bpermute_b32 v24, v5, v8 offset:80
	ds_bpermute_b32 v25, v5, v9 offset:80
	v_add_f64 v[12:13], v[12:13], v[28:29]
	s_waitcnt lgkmcnt(0)
	v_add_f64 v[24:25], v[112:113], -v[24:25]
	v_mul_f64 v[18:19], v[70:71], v[18:19]
	s_delay_alu instid0(VALU_DEP_3)
	v_add_f64 v[12:13], v[12:13], v[26:27]
	ds_bpermute_b32 v26, v5, v10 offset:72
	ds_bpermute_b32 v27, v5, v11 offset:72
	v_mul_f64 v[24:25], v[54:55], v[24:25]
	s_waitcnt lgkmcnt(0)
	v_fma_f64 v[14:15], v[16:17], v[26:27], v[14:15]
	ds_bpermute_b32 v16, v5, v8 offset:84
	ds_bpermute_b32 v17, v5, v9 offset:84
	;; [unrolled: 1-line block ×4, first 2 shown]
	v_add_f64 v[12:13], v[12:13], v[32:33]
	s_waitcnt lgkmcnt(2)
	v_add_f64 v[16:17], v[114:115], -v[16:17]
	s_waitcnt lgkmcnt(0)
	v_fma_f64 v[14:15], v[18:19], v[26:27], v[14:15]
	ds_bpermute_b32 v18, v5, v8 offset:88
	ds_bpermute_b32 v19, v5, v9 offset:88
	ds_bpermute_b32 v26, v5, v10 offset:80
	ds_bpermute_b32 v27, v5, v11 offset:80
	v_add_f64 v[12:13], v[12:13], v[30:31]
	s_waitcnt lgkmcnt(2)
	v_add_f64 v[18:19], v[116:117], -v[18:19]
	v_mul_f64 v[16:17], v[82:83], v[16:17]
	s_waitcnt lgkmcnt(0)
	v_fma_f64 v[14:15], v[24:25], v[26:27], v[14:15]
	ds_bpermute_b32 v24, v5, v8 offset:92
	ds_bpermute_b32 v25, v5, v9 offset:92
	ds_bpermute_b32 v26, v5, v10 offset:84
	ds_bpermute_b32 v27, v5, v11 offset:84
	v_add_f64 v[12:13], v[12:13], v[36:37]
	s_waitcnt lgkmcnt(2)
	v_add_f64 v[24:25], v[120:121], -v[24:25]
	v_mul_f64 v[18:19], v[68:69], v[18:19]
	;; [unrolled: 10-line block ×3, first 2 shown]
	ds_bpermute_b32 v24, v5, v10 offset:92
	ds_bpermute_b32 v25, v5, v11 offset:92
	s_waitcnt lgkmcnt(2)
	v_fma_f64 v[14:15], v[18:19], v[26:27], v[14:15]
	ds_bpermute_b32 v18, v5, v8 offset:100
	ds_bpermute_b32 v19, v5, v9 offset:100
	v_add_f64 v[12:13], v[12:13], v[40:41]
	s_waitcnt lgkmcnt(0)
	v_add_f64 v[18:19], v[122:123], -v[18:19]
	v_mul_f64 v[1:2], v[80:81], v[1:2]
	v_fma_f64 v[14:15], v[16:17], v[24:25], v[14:15]
	ds_bpermute_b32 v16, v5, v8 offset:104
	ds_bpermute_b32 v17, v5, v9 offset:104
	ds_bpermute_b32 v24, v5, v10 offset:96
	ds_bpermute_b32 v25, v5, v11 offset:96
	v_add_f64 v[12:13], v[12:13], v[38:39]
	s_waitcnt lgkmcnt(2)
	v_add_f64 v[16:17], v[128:129], -v[16:17]
	v_mul_f64 v[18:19], v[110:111], v[18:19]
	s_waitcnt lgkmcnt(0)
	v_fma_f64 v[1:2], v[1:2], v[24:25], v[14:15]
	ds_bpermute_b32 v14, v5, v8 offset:108
	ds_bpermute_b32 v15, v5, v9 offset:108
	ds_bpermute_b32 v24, v5, v10 offset:100
	ds_bpermute_b32 v25, v5, v11 offset:100
	v_add_f64 v[12:13], v[12:13], v[44:45]
	s_waitcnt lgkmcnt(2)
	v_add_f64 v[14:15], v[130:131], -v[14:15]
	v_mul_f64 v[16:17], v[94:95], v[16:17]
	s_waitcnt lgkmcnt(0)
	;; [unrolled: 10-line block ×5, first 2 shown]
	v_fma_f64 v[1:2], v[18:19], v[24:25], v[1:2]
	ds_bpermute_b32 v18, v5, v10 offset:116
	ds_bpermute_b32 v19, v5, v11 offset:116
	v_add_f64 v[12:13], v[12:13], v[52:53]
	v_mul_f64 v[14:15], v[124:125], v[14:15]
	s_waitcnt lgkmcnt(0)
	v_fma_f64 v[1:2], v[16:17], v[18:19], v[1:2]
	ds_bpermute_b32 v16, v5, v10 offset:120
	ds_bpermute_b32 v17, v5, v11 offset:120
	v_add_f64 v[12:13], v[12:13], v[50:51]
	s_waitcnt lgkmcnt(0)
	v_fma_f64 v[14:15], v[14:15], v[16:17], v[1:2]
	ds_bpermute_b32 v1, v5, v10 offset:124
	ds_bpermute_b32 v2, v5, v11 offset:124
	;; [unrolled: 1-line block ×4, first 2 shown]
	v_add_f64 v[12:13], v[12:13], v[70:71]
	s_delay_alu instid0(VALU_DEP_1) | instskip(NEXT) | instid1(VALU_DEP_1)
	v_add_f64 v[12:13], v[12:13], v[54:55]
	v_add_f64 v[12:13], v[12:13], v[82:83]
	s_delay_alu instid0(VALU_DEP_1) | instskip(NEXT) | instid1(VALU_DEP_1)
	v_add_f64 v[12:13], v[12:13], v[68:69]
	;; [unrolled: 3-line block ×5, first 2 shown]
	v_add_f64 v[12:13], v[12:13], v[126:127]
	s_delay_alu instid0(VALU_DEP_1)
	v_add_f64 v[16:17], v[12:13], v[124:125]
.LBB28_4:                               ;   in Loop: Header=BB28_5 Depth=1
	s_waitcnt lgkmcnt(0)
	v_add_f64 v[8:9], v[22:23], -v[10:11]
	s_delay_alu instid0(VALU_DEP_2)
	v_add_f64 v[10:11], v[16:17], v[20:21]
	s_add_u32 s26, s26, s29
	s_addc_u32 s27, s27, 0
	s_add_u32 s4, s4, s29
	v_cmp_lt_i64_e64 s30, s[26:27], s[16:17]
	s_addc_u32 s5, s5, 0
	s_delay_alu instid0(VALU_DEP_3) | instskip(NEXT) | instid1(VALU_DEP_1)
	v_mul_f64 v[8:9], v[20:21], v[8:9]
	v_fma_f64 v[1:2], v[8:9], v[1:2], v[14:15]
	scratch_store_b64 off, v[10:11], off    ; 8-byte Folded Spill
	scratch_load_b32 v10, off, off offset:16 ; 4-byte Folded Reload
	scratch_store_b64 off, v[1:2], off offset:8 ; 8-byte Folded Spill
	s_waitcnt vmcnt(0)
	v_add_co_u32 v10, vcc_lo, v10, s24
	scratch_store_b32 off, v10, off offset:16 ; 4-byte Folded Spill
	scratch_load_b32 v10, off, off offset:20 ; 4-byte Folded Reload
	s_waitcnt vmcnt(0)
	v_add_co_ci_u32_e32 v10, vcc_lo, s25, v10, vcc_lo
	scratch_store_b32 off, v10, off offset:20 ; 4-byte Folded Spill
	scratch_load_b32 v10, off, off offset:24 ; 4-byte Folded Reload
	s_waitcnt vmcnt(0)
	v_add_co_u32 v10, vcc_lo, v10, s24
	scratch_store_b32 off, v10, off offset:24 ; 4-byte Folded Spill
	scratch_load_b32 v10, off, off offset:28 ; 4-byte Folded Reload
	s_waitcnt vmcnt(0)
	v_add_co_ci_u32_e32 v10, vcc_lo, s25, v10, vcc_lo
	scratch_store_b32 off, v10, off offset:28 ; 4-byte Folded Spill
	scratch_load_b32 v10, off, off offset:32 ; 4-byte Folded Reload
	;; [unrolled: 8-line block ×6, first 2 shown]
	s_waitcnt vmcnt(0)
	v_add_co_u32 v10, vcc_lo, v10, s24
	v_add_co_ci_u32_e32 v156, vcc_lo, s25, v156, vcc_lo
	v_add_co_u32 v157, vcc_lo, v157, s24
	v_add_co_ci_u32_e32 v158, vcc_lo, s25, v158, vcc_lo
	;; [unrolled: 2-line block ×59, first 2 shown]
	s_and_b32 vcc_lo, exec_lo, s30
	scratch_store_b32 off, v10, off offset:64 ; 4-byte Folded Spill
	s_cbranch_vccz .LBB28_141
.LBB28_5:                               ; =>This Inner Loop Header: Depth=1
	s_add_u32 s30, s6, s4
	s_addc_u32 s31, 0, s5
	v_add_co_u32 v8, vcc_lo, s6, v140
	v_cmp_ge_i64_e64 s30, s[30:31], s[16:17]
	v_add_co_ci_u32_e32 v9, vcc_lo, 0, v142, vcc_lo
	s_delay_alu instid0(VALU_DEP_2)
	s_and_b32 vcc_lo, exec_lo, s30
	s_cbranch_vccz .LBB28_73
; %bb.6:                                ;   in Loop: Header=BB28_5 Depth=1
	s_load_b32 s30, s[12:13], 0xc
	s_clause 0x1
	scratch_load_b32 v1, off, off offset:76
	scratch_load_b32 v2, off, off offset:80
	v_mov_b32_e32 v14, 0
	v_mov_b32_e32 v15, 0
	s_delay_alu instid0(VALU_DEP_2) | instskip(NEXT) | instid1(VALU_DEP_2)
	v_mov_b32_e32 v12, v14
	v_dual_mov_b32 v10, v14 :: v_dual_mov_b32 v11, v15
	v_mov_b32_e32 v13, v15
	s_waitcnt lgkmcnt(0)
	s_and_b32 s30, s30, 0xffff
	s_waitcnt vmcnt(0)
	v_mad_u32_u24 v1, v1, s30, v2
	s_mov_b32 s30, exec_lo
	s_delay_alu instid0(VALU_DEP_1) | instskip(NEXT) | instid1(VALU_DEP_1)
	v_and_b32_e32 v1, 31, v1
	v_add_co_u32 v1, vcc_lo, v8, v1
	v_add_co_ci_u32_e32 v2, vcc_lo, 0, v9, vcc_lo
	s_delay_alu instid0(VALU_DEP_1)
	v_cmpx_gt_i64_e64 s[16:17], v[1:2]
	s_cbranch_execz .LBB28_8
; %bb.7:                                ;   in Loop: Header=BB28_5 Depth=1
	v_lshlrev_b64 v[1:2], 3, v[1:2]
	s_delay_alu instid0(VALU_DEP_1) | instskip(NEXT) | instid1(VALU_DEP_2)
	v_add_co_u32 v10, vcc_lo, s8, v1
	v_add_co_ci_u32_e32 v11, vcc_lo, s9, v2, vcc_lo
	v_add_co_u32 v1, vcc_lo, s10, v1
	v_add_co_ci_u32_e32 v2, vcc_lo, s11, v2, vcc_lo
	global_load_b64 v[10:11], v[10:11], off
	global_load_b64 v[12:13], v[1:2], off
.LBB28_8:                               ;   in Loop: Header=BB28_5 Depth=1
	s_or_b32 exec_lo, exec_lo, s30
	v_cmp_gt_i64_e32 vcc_lo, s[16:17], v[8:9]
	v_dual_mov_b32 v51, v15 :: v_dual_mov_b32 v50, v14
	s_and_b32 s31, s3, vcc_lo
	s_delay_alu instid0(SALU_CYCLE_1)
	s_and_saveexec_b32 s30, s31
	s_cbranch_execz .LBB28_10
; %bb.9:                                ;   in Loop: Header=BB28_5 Depth=1
	v_add_co_u32 v1, vcc_lo, v150, v6
	v_add_co_ci_u32_e32 v2, vcc_lo, v151, v7, vcc_lo
	v_add_co_u32 v16, vcc_lo, v152, v6
	v_add_co_ci_u32_e32 v17, vcc_lo, v153, v7, vcc_lo
	global_load_b64 v[14:15], v[1:2], off
	global_load_b64 v[50:51], v[16:17], off
.LBB28_10:                              ;   in Loop: Header=BB28_5 Depth=1
	s_or_b32 exec_lo, exec_lo, s30
	v_add_co_u32 v1, vcc_lo, v8, 1
	v_add_co_ci_u32_e32 v2, vcc_lo, 0, v9, vcc_lo
	v_mov_b32_e32 v16, 0
	v_mov_b32_e32 v17, 0
	s_delay_alu instid0(VALU_DEP_3) | instskip(NEXT) | instid1(VALU_DEP_2)
	v_cmp_gt_i64_e32 vcc_lo, s[16:17], v[1:2]
	v_dual_mov_b32 v55, v17 :: v_dual_mov_b32 v54, v16
	v_dual_mov_b32 v53, v17 :: v_dual_mov_b32 v52, v16
	s_and_b32 s31, s3, vcc_lo
	s_delay_alu instid0(SALU_CYCLE_1)
	s_and_saveexec_b32 s30, s31
	s_cbranch_execz .LBB28_12
; %bb.11:                               ;   in Loop: Header=BB28_5 Depth=1
	v_add_co_u32 v1, vcc_lo, v146, v6
	v_add_co_ci_u32_e32 v2, vcc_lo, v147, v7, vcc_lo
	v_add_co_u32 v20, vcc_lo, v148, v6
	v_add_co_ci_u32_e32 v21, vcc_lo, v149, v7, vcc_lo
	global_load_b64 v[54:55], v[1:2], off
	global_load_b64 v[52:53], v[20:21], off
.LBB28_12:                              ;   in Loop: Header=BB28_5 Depth=1
	s_or_b32 exec_lo, exec_lo, s30
	v_add_co_u32 v1, vcc_lo, v8, 2
	v_add_co_ci_u32_e32 v2, vcc_lo, 0, v9, vcc_lo
	scratch_store_b64 off, v[16:17], off offset:68 ; 8-byte Folded Spill
	v_cmp_gt_i64_e32 vcc_lo, s[16:17], v[1:2]
	s_and_b32 s31, s3, vcc_lo
	s_delay_alu instid0(SALU_CYCLE_1)
	s_and_saveexec_b32 s30, s31
	s_cbranch_execz .LBB28_14
; %bb.13:                               ;   in Loop: Header=BB28_5 Depth=1
	v_add_co_u32 v1, vcc_lo, v141, v6
	v_add_co_ci_u32_e32 v2, vcc_lo, v143, v7, vcc_lo
	v_add_co_u32 v20, vcc_lo, v144, v6
	v_add_co_ci_u32_e32 v21, vcc_lo, v145, v7, vcc_lo
	global_load_b64 v[16:17], v[1:2], off
	global_load_b64 v[1:2], v[20:21], off
	s_waitcnt vmcnt(0)
	scratch_store_b64 off, v[1:2], off offset:68 ; 8-byte Folded Spill
.LBB28_14:                              ;   in Loop: Header=BB28_5 Depth=1
	s_or_b32 exec_lo, exec_lo, s30
	v_add_co_u32 v1, vcc_lo, v8, 3
	v_add_co_ci_u32_e32 v2, vcc_lo, 0, v9, vcc_lo
	v_mov_b32_e32 v24, 0
	v_mov_b32_e32 v25, 0
	s_delay_alu instid0(VALU_DEP_3) | instskip(NEXT) | instid1(VALU_DEP_2)
	v_cmp_gt_i64_e32 vcc_lo, s[16:17], v[1:2]
	v_dual_mov_b32 v27, v25 :: v_dual_mov_b32 v26, v24
	v_dual_mov_b32 v155, v25 :: v_dual_mov_b32 v154, v24
	s_and_b32 s31, s3, vcc_lo
	s_delay_alu instid0(SALU_CYCLE_1)
	s_and_saveexec_b32 s30, s31
	s_cbranch_execz .LBB28_16
; %bb.15:                               ;   in Loop: Header=BB28_5 Depth=1
	v_add_co_u32 v1, vcc_lo, v253, v6
	v_add_co_ci_u32_e32 v2, vcc_lo, v254, v7, vcc_lo
	v_add_co_u32 v20, vcc_lo, v255, v6
	v_add_co_ci_u32_e32 v21, vcc_lo, v0, v7, vcc_lo
	global_load_b64 v[26:27], v[1:2], off
	global_load_b64 v[154:155], v[20:21], off
.LBB28_16:                              ;   in Loop: Header=BB28_5 Depth=1
	s_or_b32 exec_lo, exec_lo, s30
	v_add_co_u32 v1, vcc_lo, v8, 4
	v_add_co_ci_u32_e32 v2, vcc_lo, 0, v9, vcc_lo
	v_dual_mov_b32 v57, v25 :: v_dual_mov_b32 v56, v24
	s_delay_alu instid0(VALU_DEP_2) | instskip(SKIP_1) | instid1(SALU_CYCLE_1)
	v_cmp_gt_i64_e32 vcc_lo, s[16:17], v[1:2]
	s_and_b32 s31, s3, vcc_lo
	s_and_saveexec_b32 s30, s31
	s_cbranch_execz .LBB28_18
; %bb.17:                               ;   in Loop: Header=BB28_5 Depth=1
	v_add_co_u32 v1, vcc_lo, v249, v6
	v_add_co_ci_u32_e32 v2, vcc_lo, v250, v7, vcc_lo
	v_add_co_u32 v20, vcc_lo, v251, v6
	v_add_co_ci_u32_e32 v21, vcc_lo, v252, v7, vcc_lo
	global_load_b64 v[24:25], v[1:2], off
	global_load_b64 v[56:57], v[20:21], off
.LBB28_18:                              ;   in Loop: Header=BB28_5 Depth=1
	s_or_b32 exec_lo, exec_lo, s30
	v_add_co_u32 v1, vcc_lo, v8, 5
	v_add_co_ci_u32_e32 v2, vcc_lo, 0, v9, vcc_lo
	v_mov_b32_e32 v28, 0
	v_mov_b32_e32 v29, 0
	s_delay_alu instid0(VALU_DEP_3) | instskip(NEXT) | instid1(VALU_DEP_2)
	v_cmp_gt_i64_e32 vcc_lo, s[16:17], v[1:2]
	v_dual_mov_b32 v31, v29 :: v_dual_mov_b32 v30, v28
	v_dual_mov_b32 v63, v29 :: v_dual_mov_b32 v62, v28
	s_and_b32 s31, s3, vcc_lo
	s_delay_alu instid0(SALU_CYCLE_1)
	s_and_saveexec_b32 s30, s31
	s_cbranch_execz .LBB28_20
; %bb.19:                               ;   in Loop: Header=BB28_5 Depth=1
	v_add_co_u32 v1, vcc_lo, v245, v6
	v_add_co_ci_u32_e32 v2, vcc_lo, v246, v7, vcc_lo
	v_add_co_u32 v20, vcc_lo, v247, v6
	v_add_co_ci_u32_e32 v21, vcc_lo, v248, v7, vcc_lo
	global_load_b64 v[30:31], v[1:2], off
	global_load_b64 v[62:63], v[20:21], off
.LBB28_20:                              ;   in Loop: Header=BB28_5 Depth=1
	s_or_b32 exec_lo, exec_lo, s30
	v_add_co_u32 v1, vcc_lo, v8, 6
	v_add_co_ci_u32_e32 v2, vcc_lo, 0, v9, vcc_lo
	v_dual_mov_b32 v65, v29 :: v_dual_mov_b32 v64, v28
	s_delay_alu instid0(VALU_DEP_2) | instskip(SKIP_1) | instid1(SALU_CYCLE_1)
	v_cmp_gt_i64_e32 vcc_lo, s[16:17], v[1:2]
	s_and_b32 s31, s3, vcc_lo
	s_and_saveexec_b32 s30, s31
	s_cbranch_execz .LBB28_22
; %bb.21:                               ;   in Loop: Header=BB28_5 Depth=1
	v_add_co_u32 v1, vcc_lo, v241, v6
	v_add_co_ci_u32_e32 v2, vcc_lo, v242, v7, vcc_lo
	v_add_co_u32 v20, vcc_lo, v243, v6
	v_add_co_ci_u32_e32 v21, vcc_lo, v244, v7, vcc_lo
	global_load_b64 v[28:29], v[1:2], off
	global_load_b64 v[64:65], v[20:21], off
.LBB28_22:                              ;   in Loop: Header=BB28_5 Depth=1
	;; [unrolled: 38-line block ×12, first 2 shown]
	s_or_b32 exec_lo, exec_lo, s30
	v_add_co_u32 v1, vcc_lo, v8, 27
	v_add_co_ci_u32_e32 v2, vcc_lo, 0, v9, vcc_lo
	v_mov_b32_e32 v120, 0
	v_mov_b32_e32 v121, 0
	s_delay_alu instid0(VALU_DEP_3) | instskip(NEXT) | instid1(VALU_DEP_2)
	v_cmp_gt_i64_e32 vcc_lo, s[16:17], v[1:2]
	v_dual_mov_b32 v125, v121 :: v_dual_mov_b32 v124, v120
	v_dual_mov_b32 v133, v121 :: v_dual_mov_b32 v132, v120
	s_and_b32 s31, s3, vcc_lo
	s_delay_alu instid0(SALU_CYCLE_1)
	s_and_saveexec_b32 s30, s31
	s_cbranch_execz .LBB28_64
; %bb.63:                               ;   in Loop: Header=BB28_5 Depth=1
	v_add_co_u32 v1, vcc_lo, v159, v6
	v_add_co_ci_u32_e32 v2, vcc_lo, v160, v7, vcc_lo
	v_add_co_u32 v20, vcc_lo, v161, v6
	v_add_co_ci_u32_e32 v21, vcc_lo, v162, v7, vcc_lo
	global_load_b64 v[124:125], v[1:2], off
	global_load_b64 v[132:133], v[20:21], off
.LBB28_64:                              ;   in Loop: Header=BB28_5 Depth=1
	s_or_b32 exec_lo, exec_lo, s30
	v_add_co_u32 v1, vcc_lo, v8, 28
	v_add_co_ci_u32_e32 v2, vcc_lo, 0, v9, vcc_lo
	s_delay_alu instid0(VALU_DEP_1) | instskip(SKIP_2) | instid1(SALU_CYCLE_1)
	v_cmp_gt_i64_e32 vcc_lo, s[16:17], v[1:2]
	v_dual_mov_b32 v1, v120 :: v_dual_mov_b32 v2, v121
	s_and_b32 s31, s3, vcc_lo
	s_and_saveexec_b32 s30, s31
	s_cbranch_execz .LBB28_66
; %bb.65:                               ;   in Loop: Header=BB28_5 Depth=1
	scratch_load_b32 v1, off, off offset:64 ; 4-byte Folded Reload
	s_waitcnt vmcnt(0)
	v_add_co_u32 v1, vcc_lo, v1, v6
	v_add_co_ci_u32_e32 v2, vcc_lo, v156, v7, vcc_lo
	v_add_co_u32 v20, vcc_lo, v157, v6
	v_add_co_ci_u32_e32 v21, vcc_lo, v158, v7, vcc_lo
	global_load_b64 v[120:121], v[1:2], off
	global_load_b64 v[1:2], v[20:21], off
.LBB28_66:                              ;   in Loop: Header=BB28_5 Depth=1
	s_or_b32 exec_lo, exec_lo, s30
	v_add_co_u32 v20, vcc_lo, v8, 29
	v_add_co_ci_u32_e32 v21, vcc_lo, 0, v9, vcc_lo
	v_mov_b32_e32 v130, 0
	v_mov_b32_e32 v131, 0
	s_delay_alu instid0(VALU_DEP_3) | instskip(NEXT) | instid1(VALU_DEP_2)
	v_cmp_gt_i64_e32 vcc_lo, s[16:17], v[20:21]
	v_dual_mov_b32 v135, v131 :: v_dual_mov_b32 v134, v130
	v_dual_mov_b32 v137, v131 :: v_dual_mov_b32 v136, v130
	s_and_b32 s31, s3, vcc_lo
	s_delay_alu instid0(SALU_CYCLE_1)
	s_and_saveexec_b32 s30, s31
	s_cbranch_execz .LBB28_68
; %bb.67:                               ;   in Loop: Header=BB28_5 Depth=1
	scratch_load_b32 v18, off, off offset:48 ; 4-byte Folded Reload
	s_waitcnt vmcnt(0)
	v_add_co_u32 v20, vcc_lo, v18, v6
	scratch_load_b32 v18, off, off offset:52 ; 4-byte Folded Reload
	s_waitcnt vmcnt(0)
	v_add_co_ci_u32_e32 v21, vcc_lo, v18, v7, vcc_lo
	scratch_load_b32 v18, off, off offset:56 ; 4-byte Folded Reload
	s_waitcnt vmcnt(0)
	v_add_co_u32 v22, vcc_lo, v18, v6
	scratch_load_b32 v18, off, off offset:60 ; 4-byte Folded Reload
	s_waitcnt vmcnt(0)
	v_add_co_ci_u32_e32 v23, vcc_lo, v18, v7, vcc_lo
	global_load_b64 v[134:135], v[20:21], off
	global_load_b64 v[136:137], v[22:23], off
.LBB28_68:                              ;   in Loop: Header=BB28_5 Depth=1
	s_or_b32 exec_lo, exec_lo, s30
	v_add_co_u32 v20, vcc_lo, v8, 30
	v_add_co_ci_u32_e32 v21, vcc_lo, 0, v9, vcc_lo
	v_dual_mov_b32 v139, v131 :: v_dual_mov_b32 v138, v130
	s_delay_alu instid0(VALU_DEP_2) | instskip(SKIP_1) | instid1(SALU_CYCLE_1)
	v_cmp_gt_i64_e32 vcc_lo, s[16:17], v[20:21]
	s_and_b32 s31, s3, vcc_lo
	s_and_saveexec_b32 s30, s31
	s_cbranch_execz .LBB28_70
; %bb.69:                               ;   in Loop: Header=BB28_5 Depth=1
	scratch_load_b32 v18, off, off offset:32 ; 4-byte Folded Reload
	s_waitcnt vmcnt(0)
	v_add_co_u32 v20, vcc_lo, v18, v6
	scratch_load_b32 v18, off, off offset:36 ; 4-byte Folded Reload
	s_waitcnt vmcnt(0)
	v_add_co_ci_u32_e32 v21, vcc_lo, v18, v7, vcc_lo
	scratch_load_b32 v18, off, off offset:40 ; 4-byte Folded Reload
	s_waitcnt vmcnt(0)
	v_add_co_u32 v22, vcc_lo, v18, v6
	scratch_load_b32 v18, off, off offset:44 ; 4-byte Folded Reload
	s_waitcnt vmcnt(0)
	v_add_co_ci_u32_e32 v23, vcc_lo, v18, v7, vcc_lo
	global_load_b64 v[130:131], v[20:21], off
	global_load_b64 v[138:139], v[22:23], off
.LBB28_70:                              ;   in Loop: Header=BB28_5 Depth=1
	s_or_b32 exec_lo, exec_lo, s30
	v_add_co_u32 v22, vcc_lo, v8, 31
	v_add_co_ci_u32_e32 v23, vcc_lo, 0, v9, vcc_lo
	v_mov_b32_e32 v20, 0
	v_mov_b32_e32 v21, 0
	s_delay_alu instid0(VALU_DEP_3) | instskip(NEXT) | instid1(VALU_DEP_2)
	v_cmp_gt_i64_e32 vcc_lo, s[16:17], v[22:23]
	v_dual_mov_b32 v23, v21 :: v_dual_mov_b32 v22, v20
	s_and_b32 s31, s3, vcc_lo
	s_delay_alu instid0(SALU_CYCLE_1)
	s_and_saveexec_b32 s30, s31
	s_cbranch_execz .LBB28_72
; %bb.71:                               ;   in Loop: Header=BB28_5 Depth=1
	scratch_load_b32 v18, off, off offset:16 ; 4-byte Folded Reload
	s_waitcnt vmcnt(0)
	v_add_co_u32 v20, vcc_lo, v18, v6
	scratch_load_b32 v18, off, off offset:20 ; 4-byte Folded Reload
	s_waitcnt vmcnt(0)
	v_add_co_ci_u32_e32 v21, vcc_lo, v18, v7, vcc_lo
	scratch_load_b32 v18, off, off offset:24 ; 4-byte Folded Reload
	s_waitcnt vmcnt(0)
	v_add_co_u32 v22, vcc_lo, v18, v6
	scratch_load_b32 v18, off, off offset:28 ; 4-byte Folded Reload
	s_waitcnt vmcnt(0)
	v_add_co_ci_u32_e32 v23, vcc_lo, v18, v7, vcc_lo
	global_load_b64 v[20:21], v[20:21], off
	global_load_b64 v[22:23], v[22:23], off
.LBB28_72:                              ;   in Loop: Header=BB28_5 Depth=1
	s_or_b32 exec_lo, exec_lo, s30
	scratch_load_b64 v[18:19], off, off offset:8 ; 8-byte Folded Reload
	s_waitcnt vmcnt(2)
	ds_bpermute_b32 v48, v5, v10
	ds_bpermute_b32 v49, v5, v11
	s_waitcnt vmcnt(1) lgkmcnt(0)
	v_add_f64 v[48:49], v[50:51], -v[48:49]
	ds_bpermute_b32 v50, v5, v10 offset:4
	ds_bpermute_b32 v51, v5, v11 offset:4
	s_waitcnt lgkmcnt(0)
	v_add_f64 v[50:51], v[52:53], -v[50:51]
	ds_bpermute_b32 v52, v5, v12
	ds_bpermute_b32 v53, v5, v13
	v_mul_f64 v[48:49], v[14:15], v[48:49]
	v_mul_f64 v[50:51], v[54:55], v[50:51]
	s_waitcnt vmcnt(0) lgkmcnt(0)
	s_delay_alu instid0(VALU_DEP_2)
	v_fma_f64 v[48:49], v[48:49], v[52:53], v[18:19]
	scratch_load_b64 v[18:19], off, off offset:68 ; 8-byte Folded Reload
	ds_bpermute_b32 v52, v5, v12 offset:4
	ds_bpermute_b32 v53, v5, v13 offset:4
	s_waitcnt lgkmcnt(0)
	v_fma_f64 v[48:49], v[50:51], v[52:53], v[48:49]
	ds_bpermute_b32 v50, v5, v10 offset:8
	ds_bpermute_b32 v51, v5, v11 offset:8
	;; [unrolled: 1-line block ×4, first 2 shown]
	s_waitcnt vmcnt(0) lgkmcnt(2)
	v_add_f64 v[50:51], v[18:19], -v[50:51]
	ds_bpermute_b32 v18, v5, v10 offset:76
	ds_bpermute_b32 v19, v5, v11 offset:76
	s_waitcnt lgkmcnt(0)
	v_add_f64 v[18:19], v[96:97], -v[18:19]
	v_mul_f64 v[50:51], v[16:17], v[50:51]
	s_delay_alu instid0(VALU_DEP_2) | instskip(NEXT) | instid1(VALU_DEP_2)
	v_mul_f64 v[18:19], v[84:85], v[18:19]
	v_fma_f64 v[48:49], v[50:51], v[52:53], v[48:49]
	ds_bpermute_b32 v50, v5, v10 offset:12
	ds_bpermute_b32 v51, v5, v11 offset:12
	ds_bpermute_b32 v52, v5, v12 offset:12
	ds_bpermute_b32 v53, v5, v13 offset:12
	s_waitcnt lgkmcnt(2)
	v_add_f64 v[50:51], v[154:155], -v[50:51]
	s_delay_alu instid0(VALU_DEP_1) | instskip(SKIP_1) | instid1(VALU_DEP_1)
	v_mul_f64 v[50:51], v[26:27], v[50:51]
	s_waitcnt lgkmcnt(0)
	v_fma_f64 v[48:49], v[50:51], v[52:53], v[48:49]
	ds_bpermute_b32 v50, v5, v10 offset:16
	ds_bpermute_b32 v51, v5, v11 offset:16
	ds_bpermute_b32 v52, v5, v12 offset:16
	ds_bpermute_b32 v53, v5, v13 offset:16
	s_waitcnt lgkmcnt(2)
	v_add_f64 v[50:51], v[56:57], -v[50:51]
	s_delay_alu instid0(VALU_DEP_1) | instskip(SKIP_1) | instid1(VALU_DEP_1)
	v_mul_f64 v[50:51], v[24:25], v[50:51]
	s_waitcnt lgkmcnt(0)
	v_fma_f64 v[48:49], v[50:51], v[52:53], v[48:49]
	ds_bpermute_b32 v50, v5, v10 offset:20
	ds_bpermute_b32 v51, v5, v11 offset:20
	ds_bpermute_b32 v52, v5, v12 offset:20
	ds_bpermute_b32 v53, v5, v13 offset:20
	s_waitcnt lgkmcnt(2)
	v_add_f64 v[50:51], v[62:63], -v[50:51]
	s_delay_alu instid0(VALU_DEP_1) | instskip(SKIP_1) | instid1(VALU_DEP_1)
	v_mul_f64 v[50:51], v[30:31], v[50:51]
	s_waitcnt lgkmcnt(0)
	v_fma_f64 v[48:49], v[50:51], v[52:53], v[48:49]
	ds_bpermute_b32 v50, v5, v10 offset:24
	ds_bpermute_b32 v51, v5, v11 offset:24
	ds_bpermute_b32 v52, v5, v12 offset:24
	ds_bpermute_b32 v53, v5, v13 offset:24
	s_waitcnt lgkmcnt(2)
	v_add_f64 v[50:51], v[64:65], -v[50:51]
	s_delay_alu instid0(VALU_DEP_1) | instskip(SKIP_1) | instid1(VALU_DEP_1)
	v_mul_f64 v[50:51], v[28:29], v[50:51]
	s_waitcnt lgkmcnt(0)
	v_fma_f64 v[48:49], v[50:51], v[52:53], v[48:49]
	ds_bpermute_b32 v50, v5, v10 offset:28
	ds_bpermute_b32 v51, v5, v11 offset:28
	ds_bpermute_b32 v52, v5, v12 offset:28
	ds_bpermute_b32 v53, v5, v13 offset:28
	s_waitcnt lgkmcnt(2)
	v_add_f64 v[50:51], v[66:67], -v[50:51]
	s_delay_alu instid0(VALU_DEP_1) | instskip(SKIP_1) | instid1(VALU_DEP_1)
	v_mul_f64 v[50:51], v[34:35], v[50:51]
	s_waitcnt lgkmcnt(0)
	v_fma_f64 v[48:49], v[50:51], v[52:53], v[48:49]
	ds_bpermute_b32 v50, v5, v10 offset:32
	ds_bpermute_b32 v51, v5, v11 offset:32
	ds_bpermute_b32 v52, v5, v12 offset:32
	ds_bpermute_b32 v53, v5, v13 offset:32
	s_waitcnt lgkmcnt(2)
	v_add_f64 v[50:51], v[68:69], -v[50:51]
	s_delay_alu instid0(VALU_DEP_1) | instskip(SKIP_1) | instid1(VALU_DEP_1)
	v_mul_f64 v[50:51], v[32:33], v[50:51]
	s_waitcnt lgkmcnt(0)
	v_fma_f64 v[48:49], v[50:51], v[52:53], v[48:49]
	ds_bpermute_b32 v50, v5, v10 offset:36
	ds_bpermute_b32 v51, v5, v11 offset:36
	ds_bpermute_b32 v52, v5, v12 offset:36
	ds_bpermute_b32 v53, v5, v13 offset:36
	s_waitcnt lgkmcnt(2)
	v_add_f64 v[50:51], v[72:73], -v[50:51]
	s_delay_alu instid0(VALU_DEP_1) | instskip(SKIP_1) | instid1(VALU_DEP_1)
	v_mul_f64 v[50:51], v[38:39], v[50:51]
	s_waitcnt lgkmcnt(0)
	v_fma_f64 v[48:49], v[50:51], v[52:53], v[48:49]
	ds_bpermute_b32 v50, v5, v10 offset:40
	ds_bpermute_b32 v51, v5, v11 offset:40
	ds_bpermute_b32 v52, v5, v12 offset:40
	ds_bpermute_b32 v53, v5, v13 offset:40
	s_waitcnt lgkmcnt(2)
	v_add_f64 v[50:51], v[76:77], -v[50:51]
	s_delay_alu instid0(VALU_DEP_1) | instskip(SKIP_1) | instid1(VALU_DEP_1)
	v_mul_f64 v[50:51], v[36:37], v[50:51]
	s_waitcnt lgkmcnt(0)
	v_fma_f64 v[48:49], v[50:51], v[52:53], v[48:49]
	ds_bpermute_b32 v50, v5, v10 offset:44
	ds_bpermute_b32 v51, v5, v11 offset:44
	ds_bpermute_b32 v52, v5, v12 offset:44
	ds_bpermute_b32 v53, v5, v13 offset:44
	s_waitcnt lgkmcnt(2)
	v_add_f64 v[50:51], v[78:79], -v[50:51]
	s_delay_alu instid0(VALU_DEP_1) | instskip(SKIP_1) | instid1(VALU_DEP_1)
	v_mul_f64 v[50:51], v[42:43], v[50:51]
	s_waitcnt lgkmcnt(0)
	v_fma_f64 v[48:49], v[50:51], v[52:53], v[48:49]
	ds_bpermute_b32 v50, v5, v10 offset:48
	ds_bpermute_b32 v51, v5, v11 offset:48
	ds_bpermute_b32 v52, v5, v12 offset:48
	ds_bpermute_b32 v53, v5, v13 offset:48
	s_waitcnt lgkmcnt(2)
	v_add_f64 v[50:51], v[82:83], -v[50:51]
	s_delay_alu instid0(VALU_DEP_1) | instskip(SKIP_1) | instid1(VALU_DEP_1)
	v_mul_f64 v[50:51], v[40:41], v[50:51]
	s_waitcnt lgkmcnt(0)
	v_fma_f64 v[48:49], v[50:51], v[52:53], v[48:49]
	ds_bpermute_b32 v50, v5, v10 offset:52
	ds_bpermute_b32 v51, v5, v11 offset:52
	ds_bpermute_b32 v52, v5, v12 offset:52
	ds_bpermute_b32 v53, v5, v13 offset:52
	s_waitcnt lgkmcnt(2)
	v_add_f64 v[50:51], v[86:87], -v[50:51]
	s_delay_alu instid0(VALU_DEP_1) | instskip(SKIP_1) | instid1(VALU_DEP_1)
	v_mul_f64 v[50:51], v[46:47], v[50:51]
	s_waitcnt lgkmcnt(0)
	v_fma_f64 v[48:49], v[50:51], v[52:53], v[48:49]
	ds_bpermute_b32 v50, v5, v10 offset:56
	ds_bpermute_b32 v51, v5, v11 offset:56
	ds_bpermute_b32 v52, v5, v12 offset:56
	ds_bpermute_b32 v53, v5, v13 offset:56
	s_waitcnt lgkmcnt(2)
	v_add_f64 v[50:51], v[90:91], -v[50:51]
	s_delay_alu instid0(VALU_DEP_1) | instskip(SKIP_1) | instid1(VALU_DEP_1)
	v_mul_f64 v[50:51], v[44:45], v[50:51]
	s_waitcnt lgkmcnt(0)
	v_fma_f64 v[48:49], v[50:51], v[52:53], v[48:49]
	ds_bpermute_b32 v50, v5, v10 offset:60
	ds_bpermute_b32 v51, v5, v11 offset:60
	ds_bpermute_b32 v52, v5, v12 offset:60
	ds_bpermute_b32 v53, v5, v13 offset:60
	s_waitcnt lgkmcnt(2)
	v_add_f64 v[50:51], v[94:95], -v[50:51]
	s_delay_alu instid0(VALU_DEP_1) | instskip(SKIP_1) | instid1(VALU_DEP_1)
	v_mul_f64 v[50:51], v[60:61], v[50:51]
	s_waitcnt lgkmcnt(0)
	v_fma_f64 v[48:49], v[50:51], v[52:53], v[48:49]
	ds_bpermute_b32 v50, v5, v10 offset:64
	ds_bpermute_b32 v51, v5, v11 offset:64
	ds_bpermute_b32 v52, v5, v12 offset:64
	ds_bpermute_b32 v53, v5, v13 offset:64
	s_waitcnt lgkmcnt(2)
	v_add_f64 v[50:51], v[100:101], -v[50:51]
	s_delay_alu instid0(VALU_DEP_1) | instskip(SKIP_1) | instid1(VALU_DEP_1)
	v_mul_f64 v[50:51], v[58:59], v[50:51]
	s_waitcnt lgkmcnt(0)
	v_fma_f64 v[48:49], v[50:51], v[52:53], v[48:49]
	ds_bpermute_b32 v50, v5, v10 offset:68
	ds_bpermute_b32 v51, v5, v11 offset:68
	ds_bpermute_b32 v52, v5, v12 offset:68
	ds_bpermute_b32 v53, v5, v13 offset:68
	s_waitcnt lgkmcnt(2)
	v_add_f64 v[50:51], v[104:105], -v[50:51]
	s_delay_alu instid0(VALU_DEP_1) | instskip(SKIP_1) | instid1(VALU_DEP_1)
	v_mul_f64 v[50:51], v[74:75], v[50:51]
	s_waitcnt lgkmcnt(0)
	v_fma_f64 v[48:49], v[50:51], v[52:53], v[48:49]
	scratch_load_b64 v[50:51], off, off     ; 8-byte Folded Reload
	s_waitcnt vmcnt(0)
	v_add_f64 v[14:15], v[50:51], v[14:15]
	s_delay_alu instid0(VALU_DEP_1) | instskip(NEXT) | instid1(VALU_DEP_1)
	v_add_f64 v[14:15], v[14:15], v[54:55]
	v_add_f64 v[14:15], v[14:15], v[16:17]
	ds_bpermute_b32 v16, v5, v10 offset:72
	ds_bpermute_b32 v17, v5, v11 offset:72
	s_waitcnt lgkmcnt(0)
	v_add_f64 v[16:17], v[88:89], -v[16:17]
	v_add_f64 v[14:15], v[14:15], v[26:27]
	ds_bpermute_b32 v26, v5, v12 offset:72
	ds_bpermute_b32 v27, v5, v13 offset:72
	v_mul_f64 v[16:17], v[70:71], v[16:17]
	v_add_f64 v[14:15], v[14:15], v[24:25]
	ds_bpermute_b32 v24, v5, v10 offset:80
	ds_bpermute_b32 v25, v5, v11 offset:80
	s_waitcnt lgkmcnt(0)
	v_add_f64 v[24:25], v[106:107], -v[24:25]
	v_fma_f64 v[16:17], v[16:17], v[26:27], v[48:49]
	ds_bpermute_b32 v26, v5, v10 offset:84
	ds_bpermute_b32 v27, v5, v11 offset:84
	v_add_f64 v[14:15], v[14:15], v[30:31]
	s_waitcnt lgkmcnt(0)
	v_add_f64 v[26:27], v[112:113], -v[26:27]
	v_mul_f64 v[24:25], v[80:81], v[24:25]
	s_delay_alu instid0(VALU_DEP_3)
	v_add_f64 v[14:15], v[14:15], v[28:29]
	ds_bpermute_b32 v28, v5, v12 offset:76
	ds_bpermute_b32 v29, v5, v13 offset:76
	v_mul_f64 v[26:27], v[98:99], v[26:27]
	s_waitcnt lgkmcnt(0)
	v_fma_f64 v[16:17], v[18:19], v[28:29], v[16:17]
	ds_bpermute_b32 v18, v5, v10 offset:88
	ds_bpermute_b32 v19, v5, v11 offset:88
	;; [unrolled: 1-line block ×4, first 2 shown]
	v_add_f64 v[14:15], v[14:15], v[34:35]
	s_waitcnt lgkmcnt(2)
	v_add_f64 v[18:19], v[114:115], -v[18:19]
	s_waitcnt lgkmcnt(0)
	v_fma_f64 v[16:17], v[24:25], v[28:29], v[16:17]
	ds_bpermute_b32 v24, v5, v10 offset:92
	ds_bpermute_b32 v25, v5, v11 offset:92
	ds_bpermute_b32 v28, v5, v12 offset:84
	ds_bpermute_b32 v29, v5, v13 offset:84
	v_add_f64 v[14:15], v[14:15], v[32:33]
	s_waitcnt lgkmcnt(2)
	v_add_f64 v[24:25], v[118:119], -v[24:25]
	v_mul_f64 v[18:19], v[92:93], v[18:19]
	s_waitcnt lgkmcnt(0)
	v_fma_f64 v[16:17], v[26:27], v[28:29], v[16:17]
	ds_bpermute_b32 v26, v5, v10 offset:96
	ds_bpermute_b32 v27, v5, v11 offset:96
	ds_bpermute_b32 v28, v5, v12 offset:88
	ds_bpermute_b32 v29, v5, v13 offset:88
	v_add_f64 v[14:15], v[14:15], v[38:39]
	s_waitcnt lgkmcnt(2)
	v_add_f64 v[26:27], v[122:123], -v[26:27]
	v_mul_f64 v[24:25], v[108:109], v[24:25]
	;; [unrolled: 10-line block ×6, first 2 shown]
	ds_bpermute_b32 v26, v5, v12 offset:108
	ds_bpermute_b32 v27, v5, v13 offset:108
	s_waitcnt lgkmcnt(2)
	v_fma_f64 v[16:17], v[24:25], v[28:29], v[16:17]
	ds_bpermute_b32 v24, v5, v10 offset:116
	ds_bpermute_b32 v25, v5, v11 offset:116
	v_add_f64 v[14:15], v[14:15], v[44:45]
	s_waitcnt lgkmcnt(0)
	v_add_f64 v[24:25], v[136:137], -v[24:25]
	v_mul_f64 v[1:2], v[120:121], v[1:2]
	v_fma_f64 v[16:17], v[18:19], v[26:27], v[16:17]
	ds_bpermute_b32 v18, v5, v10 offset:120
	ds_bpermute_b32 v19, v5, v11 offset:120
	;; [unrolled: 1-line block ×6, first 2 shown]
	v_add_f64 v[14:15], v[14:15], v[60:61]
	s_waitcnt lgkmcnt(4)
	v_add_f64 v[18:19], v[138:139], -v[18:19]
	v_mul_f64 v[24:25], v[134:135], v[24:25]
	s_waitcnt lgkmcnt(2)
	v_fma_f64 v[1:2], v[1:2], v[26:27], v[16:17]
	ds_bpermute_b32 v16, v5, v12 offset:116
	ds_bpermute_b32 v17, v5, v13 offset:116
	v_add_f64 v[14:15], v[14:15], v[58:59]
	v_mul_f64 v[18:19], v[130:131], v[18:19]
	s_waitcnt lgkmcnt(0)
	v_fma_f64 v[1:2], v[24:25], v[16:17], v[1:2]
	s_delay_alu instid0(VALU_DEP_3) | instskip(NEXT) | instid1(VALU_DEP_1)
	v_add_f64 v[14:15], v[14:15], v[74:75]
	v_add_f64 v[14:15], v[14:15], v[70:71]
	s_delay_alu instid0(VALU_DEP_1) | instskip(NEXT) | instid1(VALU_DEP_1)
	v_add_f64 v[14:15], v[14:15], v[84:85]
	v_add_f64 v[14:15], v[14:15], v[80:81]
	s_delay_alu instid0(VALU_DEP_1) | instskip(NEXT) | instid1(VALU_DEP_1)
	;; [unrolled: 3-line block ×5, first 2 shown]
	v_add_f64 v[14:15], v[14:15], v[124:125]
	v_add_f64 v[14:15], v[14:15], v[120:121]
	s_delay_alu instid0(VALU_DEP_1)
	v_add_f64 v[16:17], v[14:15], v[134:135]
	ds_bpermute_b32 v14, v5, v12 offset:120
	ds_bpermute_b32 v15, v5, v13 offset:120
	s_waitcnt lgkmcnt(0)
	v_fma_f64 v[14:15], v[18:19], v[14:15], v[1:2]
	ds_bpermute_b32 v1, v5, v12 offset:124
	ds_bpermute_b32 v2, v5, v13 offset:124
	v_add_f64 v[16:17], v[16:17], v[130:131]
	s_branch .LBB28_4
.LBB28_73:                              ;   in Loop: Header=BB28_5 Depth=1
                                        ; implicit-def: $vgpr1_vgpr2
                                        ; implicit-def: $vgpr20_vgpr21
                                        ; implicit-def: $vgpr22_vgpr23
                                        ; implicit-def: $vgpr10
                                        ; implicit-def: $vgpr16_vgpr17
                                        ; implicit-def: $vgpr14_vgpr15
	s_cbranch_execz .LBB28_4
; %bb.74:                               ;   in Loop: Header=BB28_5 Depth=1
	s_load_b32 s30, s[12:13], 0x0
	v_mov_b32_e32 v12, 0
	v_mov_b32_e32 v13, 0
	s_waitcnt lgkmcnt(0)
	s_cmp_lt_u32 s14, s30
	s_cselect_b32 s30, 12, 18
	s_delay_alu instid0(SALU_CYCLE_1)
	s_add_u32 s30, s12, s30
	s_addc_u32 s31, s13, 0
	global_load_u16 v1, v5, s[30:31]
	s_clause 0x1
	scratch_load_b32 v2, off, off offset:76
	scratch_load_b32 v10, off, off offset:80
	s_mov_b32 s30, exec_lo
	s_waitcnt vmcnt(0)
	v_mad_u32_u24 v1, v2, v1, v10
	v_dual_mov_b32 v10, v12 :: v_dual_mov_b32 v11, v13
	s_delay_alu instid0(VALU_DEP_2) | instskip(NEXT) | instid1(VALU_DEP_1)
	v_and_b32_e32 v1, 31, v1
	v_add_co_u32 v1, vcc_lo, v8, v1
	v_add_co_ci_u32_e32 v2, vcc_lo, 0, v9, vcc_lo
	v_dual_mov_b32 v8, v12 :: v_dual_mov_b32 v9, v13
	s_delay_alu instid0(VALU_DEP_2)
	v_cmpx_gt_i64_e64 s[16:17], v[1:2]
	s_cbranch_execz .LBB28_76
; %bb.75:                               ;   in Loop: Header=BB28_5 Depth=1
	v_lshlrev_b64 v[1:2], 3, v[1:2]
	s_delay_alu instid0(VALU_DEP_1) | instskip(NEXT) | instid1(VALU_DEP_2)
	v_add_co_u32 v8, vcc_lo, s8, v1
	v_add_co_ci_u32_e32 v9, vcc_lo, s9, v2, vcc_lo
	v_add_co_u32 v1, vcc_lo, s10, v1
	v_add_co_ci_u32_e32 v2, vcc_lo, s11, v2, vcc_lo
	global_load_b64 v[8:9], v[8:9], off
	global_load_b64 v[10:11], v[1:2], off
.LBB28_76:                              ;   in Loop: Header=BB28_5 Depth=1
	s_or_b32 exec_lo, exec_lo, s30
	v_dual_mov_b32 v61, v13 :: v_dual_mov_b32 v60, v12
	s_and_saveexec_b32 s30, s3
	s_cbranch_execz .LBB28_78
; %bb.77:                               ;   in Loop: Header=BB28_5 Depth=1
	v_add_co_u32 v1, vcc_lo, v150, v6
	v_add_co_ci_u32_e32 v2, vcc_lo, v151, v7, vcc_lo
	v_add_co_u32 v14, vcc_lo, v152, v6
	v_add_co_ci_u32_e32 v15, vcc_lo, v153, v7, vcc_lo
	global_load_b64 v[12:13], v[1:2], off
	global_load_b64 v[60:61], v[14:15], off
.LBB28_78:                              ;   in Loop: Header=BB28_5 Depth=1
	s_or_b32 exec_lo, exec_lo, s30
	v_mov_b32_e32 v14, 0
	v_mov_b32_e32 v15, 0
	s_delay_alu instid0(VALU_DEP_1)
	v_dual_mov_b32 v155, v15 :: v_dual_mov_b32 v154, v14
	v_dual_mov_b32 v57, v15 :: v_dual_mov_b32 v56, v14
	s_and_saveexec_b32 s30, s3
	s_cbranch_execz .LBB28_80
; %bb.79:                               ;   in Loop: Header=BB28_5 Depth=1
	v_add_co_u32 v1, vcc_lo, v146, v6
	v_add_co_ci_u32_e32 v2, vcc_lo, v147, v7, vcc_lo
	v_add_co_u32 v18, vcc_lo, v148, v6
	v_add_co_ci_u32_e32 v19, vcc_lo, v149, v7, vcc_lo
	global_load_b64 v[154:155], v[1:2], off
	global_load_b64 v[56:57], v[18:19], off
.LBB28_80:                              ;   in Loop: Header=BB28_5 Depth=1
	s_or_b32 exec_lo, exec_lo, s30
	v_dual_mov_b32 v59, v15 :: v_dual_mov_b32 v58, v14
	s_and_saveexec_b32 s30, s3
	s_cbranch_execz .LBB28_82
; %bb.81:                               ;   in Loop: Header=BB28_5 Depth=1
	v_add_co_u32 v1, vcc_lo, v141, v6
	v_add_co_ci_u32_e32 v2, vcc_lo, v143, v7, vcc_lo
	v_add_co_u32 v18, vcc_lo, v144, v6
	v_add_co_ci_u32_e32 v19, vcc_lo, v145, v7, vcc_lo
	global_load_b64 v[14:15], v[1:2], off
	global_load_b64 v[58:59], v[18:19], off
.LBB28_82:                              ;   in Loop: Header=BB28_5 Depth=1
	s_or_b32 exec_lo, exec_lo, s30
	v_mov_b32_e32 v18, 0
	v_mov_b32_e32 v19, 0
	s_delay_alu instid0(VALU_DEP_1)
	v_dual_mov_b32 v25, v19 :: v_dual_mov_b32 v24, v18
	v_dual_mov_b32 v63, v19 :: v_dual_mov_b32 v62, v18
	s_and_saveexec_b32 s30, s3
	s_cbranch_execz .LBB28_84
; %bb.83:                               ;   in Loop: Header=BB28_5 Depth=1
	v_add_co_u32 v1, vcc_lo, v253, v6
	v_add_co_ci_u32_e32 v2, vcc_lo, v254, v7, vcc_lo
	v_add_co_u32 v20, vcc_lo, v255, v6
	v_add_co_ci_u32_e32 v21, vcc_lo, v0, v7, vcc_lo
	global_load_b64 v[24:25], v[1:2], off
	global_load_b64 v[62:63], v[20:21], off
.LBB28_84:                              ;   in Loop: Header=BB28_5 Depth=1
	;; [unrolled: 28-line block ×5, first 2 shown]
	s_or_b32 exec_lo, exec_lo, s30
	v_dual_mov_b32 v89, v35 :: v_dual_mov_b32 v88, v34
	s_and_saveexec_b32 s30, s3
	s_cbranch_execz .LBB28_98
; %bb.97:                               ;   in Loop: Header=BB28_5 Depth=1
	v_add_co_u32 v1, vcc_lo, v225, v6
	v_add_co_ci_u32_e32 v2, vcc_lo, v226, v7, vcc_lo
	v_add_co_u32 v20, vcc_lo, v227, v6
	v_add_co_ci_u32_e32 v21, vcc_lo, v228, v7, vcc_lo
	global_load_b64 v[34:35], v[1:2], off
	global_load_b64 v[88:89], v[20:21], off
.LBB28_98:                              ;   in Loop: Header=BB28_5 Depth=1
	s_or_b32 exec_lo, exec_lo, s30
	v_mov_b32_e32 v38, 0
	v_mov_b32_e32 v39, 0
	s_delay_alu instid0(VALU_DEP_1)
	v_dual_mov_b32 v41, v39 :: v_dual_mov_b32 v40, v38
	v_dual_mov_b32 v91, v39 :: v_dual_mov_b32 v90, v38
	s_and_saveexec_b32 s30, s3
	s_cbranch_execz .LBB28_100
; %bb.99:                               ;   in Loop: Header=BB28_5 Depth=1
	v_add_co_u32 v1, vcc_lo, v221, v6
	v_add_co_ci_u32_e32 v2, vcc_lo, v222, v7, vcc_lo
	v_add_co_u32 v20, vcc_lo, v223, v6
	v_add_co_ci_u32_e32 v21, vcc_lo, v224, v7, vcc_lo
	global_load_b64 v[40:41], v[1:2], off
	global_load_b64 v[90:91], v[20:21], off
.LBB28_100:                             ;   in Loop: Header=BB28_5 Depth=1
	s_or_b32 exec_lo, exec_lo, s30
	v_dual_mov_b32 v93, v39 :: v_dual_mov_b32 v92, v38
	s_and_saveexec_b32 s30, s3
	s_cbranch_execz .LBB28_102
; %bb.101:                              ;   in Loop: Header=BB28_5 Depth=1
	v_add_co_u32 v1, vcc_lo, v217, v6
	v_add_co_ci_u32_e32 v2, vcc_lo, v218, v7, vcc_lo
	v_add_co_u32 v20, vcc_lo, v219, v6
	v_add_co_ci_u32_e32 v21, vcc_lo, v220, v7, vcc_lo
	global_load_b64 v[38:39], v[1:2], off
	global_load_b64 v[92:93], v[20:21], off
.LBB28_102:                             ;   in Loop: Header=BB28_5 Depth=1
	s_or_b32 exec_lo, exec_lo, s30
	v_mov_b32_e32 v42, 0
	v_mov_b32_e32 v43, 0
	s_delay_alu instid0(VALU_DEP_1)
	v_dual_mov_b32 v45, v43 :: v_dual_mov_b32 v44, v42
	v_dual_mov_b32 v99, v43 :: v_dual_mov_b32 v98, v42
	s_and_saveexec_b32 s30, s3
	s_cbranch_execz .LBB28_104
; %bb.103:                              ;   in Loop: Header=BB28_5 Depth=1
	v_add_co_u32 v1, vcc_lo, v213, v6
	v_add_co_ci_u32_e32 v2, vcc_lo, v214, v7, vcc_lo
	v_add_co_u32 v20, vcc_lo, v215, v6
	v_add_co_ci_u32_e32 v21, vcc_lo, v216, v7, vcc_lo
	global_load_b64 v[44:45], v[1:2], off
	global_load_b64 v[98:99], v[20:21], off
.LBB28_104:                             ;   in Loop: Header=BB28_5 Depth=1
	s_or_b32 exec_lo, exec_lo, s30
	v_dual_mov_b32 v103, v43 :: v_dual_mov_b32 v102, v42
	s_and_saveexec_b32 s30, s3
	s_cbranch_execz .LBB28_106
; %bb.105:                              ;   in Loop: Header=BB28_5 Depth=1
	v_add_co_u32 v1, vcc_lo, v209, v6
	v_add_co_ci_u32_e32 v2, vcc_lo, v210, v7, vcc_lo
	v_add_co_u32 v20, vcc_lo, v211, v6
	v_add_co_ci_u32_e32 v21, vcc_lo, v212, v7, vcc_lo
	global_load_b64 v[42:43], v[1:2], off
	global_load_b64 v[102:103], v[20:21], off
.LBB28_106:                             ;   in Loop: Header=BB28_5 Depth=1
	s_or_b32 exec_lo, exec_lo, s30
	v_mov_b32_e32 v46, 0
	v_mov_b32_e32 v47, 0
	s_delay_alu instid0(VALU_DEP_1)
	v_dual_mov_b32 v49, v47 :: v_dual_mov_b32 v48, v46
	v_dual_mov_b32 v105, v47 :: v_dual_mov_b32 v104, v46
	s_and_saveexec_b32 s30, s3
	s_cbranch_execz .LBB28_108
; %bb.107:                              ;   in Loop: Header=BB28_5 Depth=1
	v_add_co_u32 v1, vcc_lo, v205, v6
	v_add_co_ci_u32_e32 v2, vcc_lo, v206, v7, vcc_lo
	v_add_co_u32 v20, vcc_lo, v207, v6
	v_add_co_ci_u32_e32 v21, vcc_lo, v208, v7, vcc_lo
	global_load_b64 v[48:49], v[1:2], off
	global_load_b64 v[104:105], v[20:21], off
.LBB28_108:                             ;   in Loop: Header=BB28_5 Depth=1
	;; [unrolled: 28-line block ×8, first 2 shown]
	s_or_b32 exec_lo, exec_lo, s30
	v_dual_mov_b32 v133, v107 :: v_dual_mov_b32 v132, v106
	s_and_saveexec_b32 s30, s3
	s_cbranch_execz .LBB28_134
; %bb.133:                              ;   in Loop: Header=BB28_5 Depth=1
	scratch_load_b32 v20, off, off offset:64 ; 4-byte Folded Reload
	s_waitcnt vmcnt(0)
	v_add_co_u32 v20, vcc_lo, v20, v6
	v_add_co_ci_u32_e32 v21, vcc_lo, v156, v7, vcc_lo
	v_add_co_u32 v22, vcc_lo, v157, v6
	v_add_co_ci_u32_e32 v23, vcc_lo, v158, v7, vcc_lo
	global_load_b64 v[106:107], v[20:21], off
	global_load_b64 v[132:133], v[22:23], off
.LBB28_134:                             ;   in Loop: Header=BB28_5 Depth=1
	s_or_b32 exec_lo, exec_lo, s30
	v_mov_b32_e32 v124, 0
	v_mov_b32_e32 v125, 0
	s_delay_alu instid0(VALU_DEP_1)
	v_dual_mov_b32 v127, v125 :: v_dual_mov_b32 v126, v124
	v_dual_mov_b32 v135, v125 :: v_dual_mov_b32 v134, v124
	s_and_saveexec_b32 s30, s3
	s_cbranch_execz .LBB28_136
; %bb.135:                              ;   in Loop: Header=BB28_5 Depth=1
	scratch_load_b32 v16, off, off offset:48 ; 4-byte Folded Reload
	s_waitcnt vmcnt(0)
	v_add_co_u32 v20, vcc_lo, v16, v6
	scratch_load_b32 v16, off, off offset:52 ; 4-byte Folded Reload
	s_waitcnt vmcnt(0)
	v_add_co_ci_u32_e32 v21, vcc_lo, v16, v7, vcc_lo
	scratch_load_b32 v16, off, off offset:56 ; 4-byte Folded Reload
	s_waitcnt vmcnt(0)
	v_add_co_u32 v22, vcc_lo, v16, v6
	scratch_load_b32 v16, off, off offset:60 ; 4-byte Folded Reload
	s_waitcnt vmcnt(0)
	v_add_co_ci_u32_e32 v23, vcc_lo, v16, v7, vcc_lo
	global_load_b64 v[126:127], v[20:21], off
	global_load_b64 v[134:135], v[22:23], off
.LBB28_136:                             ;   in Loop: Header=BB28_5 Depth=1
	s_or_b32 exec_lo, exec_lo, s30
	v_dual_mov_b32 v137, v125 :: v_dual_mov_b32 v136, v124
	s_and_saveexec_b32 s30, s3
	s_cbranch_execz .LBB28_138
; %bb.137:                              ;   in Loop: Header=BB28_5 Depth=1
	scratch_load_b32 v16, off, off offset:32 ; 4-byte Folded Reload
	s_waitcnt vmcnt(0)
	v_add_co_u32 v20, vcc_lo, v16, v6
	scratch_load_b32 v16, off, off offset:36 ; 4-byte Folded Reload
	s_waitcnt vmcnt(0)
	v_add_co_ci_u32_e32 v21, vcc_lo, v16, v7, vcc_lo
	scratch_load_b32 v16, off, off offset:40 ; 4-byte Folded Reload
	s_waitcnt vmcnt(0)
	v_add_co_u32 v22, vcc_lo, v16, v6
	scratch_load_b32 v16, off, off offset:44 ; 4-byte Folded Reload
	s_waitcnt vmcnt(0)
	v_add_co_ci_u32_e32 v23, vcc_lo, v16, v7, vcc_lo
	global_load_b64 v[124:125], v[20:21], off
	global_load_b64 v[136:137], v[22:23], off
.LBB28_138:                             ;   in Loop: Header=BB28_5 Depth=1
	s_or_b32 exec_lo, exec_lo, s30
	v_mov_b32_e32 v20, 0
	v_mov_b32_e32 v21, 0
	s_delay_alu instid0(VALU_DEP_1)
	v_dual_mov_b32 v23, v21 :: v_dual_mov_b32 v22, v20
	s_and_saveexec_b32 s30, s3
	s_cbranch_execz .LBB28_3
; %bb.139:                              ;   in Loop: Header=BB28_5 Depth=1
	scratch_load_b32 v16, off, off offset:16 ; 4-byte Folded Reload
	s_waitcnt vmcnt(0)
	v_add_co_u32 v20, vcc_lo, v16, v6
	scratch_load_b32 v16, off, off offset:20 ; 4-byte Folded Reload
	s_waitcnt vmcnt(0)
	v_add_co_ci_u32_e32 v21, vcc_lo, v16, v7, vcc_lo
	scratch_load_b32 v16, off, off offset:24 ; 4-byte Folded Reload
	s_waitcnt vmcnt(0)
	v_add_co_u32 v22, vcc_lo, v16, v6
	scratch_load_b32 v16, off, off offset:28 ; 4-byte Folded Reload
	s_waitcnt vmcnt(0)
	v_add_co_ci_u32_e32 v23, vcc_lo, v16, v7, vcc_lo
	global_load_b64 v[20:21], v[20:21], off
	global_load_b64 v[22:23], v[22:23], off
	s_branch .LBB28_3
.LBB28_140:
                                        ; implicit-def: $vgpr1_vgpr2
                                        ; kill: killed $vgpr1_vgpr2
                                        ; implicit-def: $vgpr1_vgpr2
                                        ; kill: killed $vgpr1_vgpr2
	s_branch .LBB28_143
.LBB28_141:
	scratch_load_b32 v0, off, off offset:600 ; 4-byte Folded Reload
.LBB28_142:
	s_cbranch_execnz .LBB28_219
.LBB28_143:
	v_mov_b32_e32 v1, 0
	v_mov_b32_e32 v2, 0
	s_and_not1_b32 vcc_lo, exec_lo, s28
	s_clause 0x1
	scratch_store_b64 off, v[1:2], off
	scratch_store_b64 off, v[1:2], off offset:8
	s_cbranch_vccnz .LBB28_219
; %bb.144:
	s_waitcnt vmcnt(0)
	v_bfe_u32 v195, v0, 10, 10
	s_add_u32 s4, s0, 64
	s_addc_u32 s5, s1, 0
	s_lshl_b64 s[12:13], s[6:7], 3
	scratch_store_b32 off, v0, off offset:600 ; 4-byte Folded Spill
	v_lshlrev_b32_e32 v1, 8, v195
	v_lshlrev_b32_e32 v196, 5, v195
	v_and_b32_e32 v0, 0x3ff, v0
	s_delay_alu instid0(VALU_DEP_3) | instskip(NEXT) | instid1(VALU_DEP_1)
	v_add_co_u32 v3, s3, v1, s12
	v_add_co_ci_u32_e64 v4, null, 0, s13, s3
	s_delay_alu instid0(VALU_DEP_4) | instskip(NEXT) | instid1(VALU_DEP_3)
	v_add_co_u32 v189, s3, v196, s6
	v_add_co_u32 v15, vcc_lo, v3, 8
	s_delay_alu instid0(VALU_DEP_3) | instskip(SKIP_3) | instid1(VALU_DEP_4)
	v_add_co_ci_u32_e32 v2, vcc_lo, 0, v4, vcc_lo
	v_add_co_u32 v19, vcc_lo, v3, 16
	v_add_co_ci_u32_e32 v1, vcc_lo, 0, v4, vcc_lo
	v_add_co_u32 v23, vcc_lo, v3, 24
	v_mul_lo_u32 v22, s18, v2
	v_add_co_ci_u32_e32 v2, vcc_lo, 0, v4, vcc_lo
	v_add_co_ci_u32_e64 v133, null, 0, 0, s3
	v_add_co_u32 v28, vcc_lo, v3, 32
	v_add_co_ci_u32_e32 v13, vcc_lo, 0, v4, vcc_lo
	v_mul_lo_u32 v24, s18, v1
	v_mul_lo_u32 v26, s18, v2
	;; [unrolled: 1-line block ×4, first 2 shown]
	v_mad_u64_u32 v[1:2], null, s18, v189, 0
	v_add_co_u32 v29, vcc_lo, v3, 40
	v_mad_u64_u32 v[5:6], null, s18, v15, s[20:21]
	v_mul_lo_u32 v21, s19, v15
	v_add_co_ci_u32_e32 v17, vcc_lo, 0, v4, vcc_lo
	v_mul_lo_u32 v30, s18, v13
	v_mad_u64_u32 v[13:14], null, s18, v15, s[22:23]
	v_mad_u64_u32 v[7:8], null, s18, v19, s[20:21]
	v_mul_lo_u32 v25, s19, v19
	v_mad_u64_u32 v[9:10], null, s18, v23, s[20:21]
	v_mul_lo_u32 v27, s19, v23
	v_mul_lo_u32 v32, s18, v17
	v_add3_u32 v2, v2, v20, v18
	v_mad_u64_u32 v[17:18], null, s18, v19, s[22:23]
	v_mad_u64_u32 v[19:20], null, s18, v23, s[22:23]
	v_add3_u32 v6, v21, v6, v22
	v_mad_u64_u32 v[11:12], null, s18, v28, s[20:21]
	v_mul_lo_u32 v31, s19, v28
	v_add3_u32 v14, v21, v14, v22
	v_mad_u64_u32 v[21:22], null, s18, v28, s[22:23]
	v_add_co_u32 v34, vcc_lo, v3, 48
	v_add3_u32 v8, v25, v8, v24
	v_add3_u32 v10, v27, v10, v26
	v_mad_u64_u32 v[15:16], null, s18, v29, s[20:21]
	v_mul_lo_u32 v33, s19, v29
	v_add_co_ci_u32_e32 v35, vcc_lo, 0, v4, vcc_lo
	v_add3_u32 v18, v25, v18, v24
	v_add3_u32 v20, v27, v20, v26
	v_mad_u64_u32 v[25:26], null, s18, v29, s[22:23]
	v_mad_u64_u32 v[23:24], null, s18, v34, s[20:21]
	v_mul_lo_u32 v36, s19, v34
	v_mad_u64_u32 v[27:28], null, s18, v34, s[22:23]
	v_add_co_u32 v34, vcc_lo, v3, 56
	v_add3_u32 v12, v31, v12, v30
	v_add3_u32 v22, v31, v22, v30
	v_add_co_ci_u32_e32 v31, vcc_lo, 0, v4, vcc_lo
	v_add3_u32 v16, v33, v16, v32
	v_add3_u32 v26, v33, v26, v32
	v_mad_u64_u32 v[29:30], null, s18, v34, s[20:21]
	s_delay_alu instid0(VALU_DEP_4)
	v_mul_lo_u32 v33, s18, v31
	v_mul_lo_u32 v37, s19, v34
	v_mad_u64_u32 v[31:32], null, s18, v34, s[22:23]
	v_add_co_u32 v38, vcc_lo, v3, 64
	v_mul_lo_u32 v35, s18, v35
	v_add_co_ci_u32_e32 v34, vcc_lo, 0, v4, vcc_lo
	v_add_co_u32 v43, vcc_lo, 0x48, v3
	v_add3_u32 v30, v37, v30, v33
	v_add3_u32 v32, v37, v32, v33
	v_add_co_ci_u32_e32 v37, vcc_lo, 0, v4, vcc_lo
	v_add3_u32 v24, v36, v24, v35
	v_add3_u32 v28, v36, v28, v35
	v_mul_lo_u32 v41, s18, v34
	v_mul_lo_u32 v42, s19, v38
	v_mad_u64_u32 v[33:34], null, s18, v38, s[20:21]
	v_mad_u64_u32 v[35:36], null, s18, v38, s[22:23]
	v_mul_lo_u32 v44, s18, v37
	v_mul_lo_u32 v45, s19, v43
	v_mad_u64_u32 v[37:38], null, s18, v43, s[20:21]
	v_mad_u64_u32 v[39:40], null, s18, v43, s[22:23]
	v_add_co_u32 v46, vcc_lo, 0x50, v3
	v_add_co_ci_u32_e32 v43, vcc_lo, 0, v4, vcc_lo
	v_add_co_u32 v51, vcc_lo, 0x58, v3
	v_add3_u32 v38, v45, v38, v44
	v_add3_u32 v40, v45, v40, v44
	v_add_co_ci_u32_e32 v45, vcc_lo, 0, v4, vcc_lo
	v_add3_u32 v34, v42, v34, v41
	v_add3_u32 v36, v42, v36, v41
	v_mul_lo_u32 v49, s18, v43
	v_mul_lo_u32 v50, s19, v46
	v_mad_u64_u32 v[41:42], null, s18, v46, s[20:21]
	v_mad_u64_u32 v[43:44], null, s18, v46, s[22:23]
	v_mul_lo_u32 v52, s18, v45
	v_mul_lo_u32 v53, s19, v51
	v_mad_u64_u32 v[45:46], null, s18, v51, s[20:21]
	v_mad_u64_u32 v[47:48], null, s18, v51, s[22:23]
	v_add_co_u32 v54, vcc_lo, 0x60, v3
	;; [unrolled: 16-line block ×3, first 2 shown]
	v_add_co_ci_u32_e32 v59, vcc_lo, 0, v4, vcc_lo
	v_add3_u32 v50, v58, v50, v57
	v_add3_u32 v52, v58, v52, v57
	;; [unrolled: 1-line block ×4, first 2 shown]
	v_mul_lo_u32 v61, s18, v59
	v_mul_lo_u32 v63, s19, v62
	v_mad_u64_u32 v[57:58], null, s18, v62, s[20:21]
	v_mad_u64_u32 v[59:60], null, s18, v62, s[22:23]
	v_add_co_u32 v65, vcc_lo, 0x78, v3
	s_load_b32 s3, s[0:1], 0x44
	s_delay_alu instid0(VALU_DEP_3) | instskip(NEXT) | instid1(VALU_DEP_2)
	v_add3_u32 v58, v63, v58, v61
	v_mul_lo_u32 v67, s19, v65
	s_delay_alu instid0(VALU_DEP_4) | instskip(SKIP_3) | instid1(VALU_DEP_3)
	v_add3_u32 v60, v63, v60, v61
	v_add_co_ci_u32_e32 v61, vcc_lo, 0, v4, vcc_lo
	v_mad_u64_u32 v[63:64], null, s18, v65, s[22:23]
	v_add_co_u32 v69, vcc_lo, 0x80, v3
	v_mul_lo_u32 v66, s18, v61
	v_mad_u64_u32 v[61:62], null, s18, v65, s[20:21]
	v_add_co_ci_u32_e32 v65, vcc_lo, 0, v4, vcc_lo
	s_delay_alu instid0(VALU_DEP_4)
	v_mul_lo_u32 v71, s19, v69
	v_add_co_u32 v73, vcc_lo, 0x88, v3
	v_add3_u32 v64, v67, v64, v66
	v_add3_u32 v62, v67, v62, v66
	v_mul_lo_u32 v70, s18, v65
	v_mad_u64_u32 v[65:66], null, s18, v69, s[20:21]
	v_mad_u64_u32 v[67:68], null, s18, v69, s[22:23]
	v_add_co_ci_u32_e32 v69, vcc_lo, 0, v4, vcc_lo
	v_mul_lo_u32 v75, s19, v73
	v_add_co_u32 v77, vcc_lo, 0x90, v3
	v_add3_u32 v66, v71, v66, v70
	v_add3_u32 v68, v71, v68, v70
	v_mul_lo_u32 v74, s18, v69
	v_mad_u64_u32 v[69:70], null, s18, v73, s[20:21]
	v_mad_u64_u32 v[71:72], null, s18, v73, s[22:23]
	v_add_co_ci_u32_e32 v73, vcc_lo, 0, v4, vcc_lo
	;; [unrolled: 8-line block ×15, first 2 shown]
	v_mul_lo_u32 v129, s19, v3
	s_waitcnt lgkmcnt(0)
	s_lshl_b32 s3, s3, 5
	s_delay_alu instid0(VALU_DEP_4)
	v_add3_u32 v122, v127, v122, v126
	v_mul_lo_u32 v4, s18, v4
	v_add3_u32 v124, v127, v124, v126
	v_mad_u64_u32 v[125:126], null, s18, v3, s[20:21]
	v_mad_u64_u32 v[127:128], null, s18, v3, s[22:23]
	s_mul_i32 s12, s19, s3
	s_mul_hi_u32 s13, s18, s3
	s_delay_alu instid0(SALU_CYCLE_1) | instskip(NEXT) | instid1(VALU_DEP_2)
	s_add_i32 s13, s13, s12
	v_add3_u32 v126, v129, v126, v4
	s_mul_i32 s12, s18, s3
	s_delay_alu instid0(VALU_DEP_2) | instskip(SKIP_3) | instid1(VALU_DEP_2)
	v_add3_u32 v128, v129, v128, v4
	v_add_co_u32 v129, vcc_lo, v189, 31
	v_add_co_ci_u32_e32 v3, vcc_lo, 0, v133, vcc_lo
	s_lshl_b64 s[12:13], s[12:13], 3
	v_mul_lo_u32 v131, s19, v129
	s_delay_alu instid0(VALU_DEP_2) | instskip(SKIP_1) | instid1(VALU_DEP_1)
	v_mul_lo_u32 v130, s18, v3
	v_mad_u64_u32 v[3:4], null, s18, v129, 0
	v_add3_u32 v4, v4, v130, v131
	v_add_co_u32 v131, vcc_lo, v189, 30
	v_add_co_ci_u32_e32 v129, vcc_lo, 0, v133, vcc_lo
	s_delay_alu instid0(VALU_DEP_2) | instskip(NEXT) | instid1(VALU_DEP_2)
	v_mul_lo_u32 v134, s19, v131
	v_mul_lo_u32 v132, s18, v129
	v_mad_u64_u32 v[129:130], null, s18, v131, 0
	s_delay_alu instid0(VALU_DEP_1) | instskip(SKIP_2) | instid1(VALU_DEP_2)
	v_add3_u32 v130, v130, v132, v134
	v_add_co_u32 v134, vcc_lo, v189, 29
	v_add_co_ci_u32_e32 v131, vcc_lo, 0, v133, vcc_lo
	v_mul_lo_u32 v136, s19, v134
	s_delay_alu instid0(VALU_DEP_2) | instskip(SKIP_1) | instid1(VALU_DEP_1)
	v_mul_lo_u32 v135, s18, v131
	v_mad_u64_u32 v[131:132], null, s18, v134, 0
	v_add3_u32 v132, v132, v135, v136
	v_add_co_u32 v136, vcc_lo, v189, 28
	v_add_co_ci_u32_e32 v134, vcc_lo, 0, v133, vcc_lo
	s_delay_alu instid0(VALU_DEP_2) | instskip(NEXT) | instid1(VALU_DEP_2)
	v_mul_lo_u32 v138, s19, v136
	v_mul_lo_u32 v137, s18, v134
	v_mad_u64_u32 v[134:135], null, s18, v136, 0
	s_delay_alu instid0(VALU_DEP_1) | instskip(SKIP_2) | instid1(VALU_DEP_2)
	v_add3_u32 v135, v135, v137, v138
	v_add_co_u32 v138, vcc_lo, v189, 27
	v_add_co_ci_u32_e32 v136, vcc_lo, 0, v133, vcc_lo
	;; [unrolled: 15-line block ×12, first 2 shown]
	v_mul_lo_u32 v180, s19, v178
	s_delay_alu instid0(VALU_DEP_2) | instskip(SKIP_2) | instid1(VALU_DEP_1)
	v_mul_lo_u32 v179, s18, v176
	v_mad_u64_u32 v[176:177], null, s18, v178, 0
	v_add_co_u32 v178, vcc_lo, v189, 6
	v_mad_u64_u32 v[181:182], null, s18, v178, 0
	s_delay_alu instid0(VALU_DEP_3) | instskip(SKIP_3) | instid1(VALU_DEP_3)
	v_add3_u32 v177, v177, v179, v180
	v_add_co_ci_u32_e32 v179, vcc_lo, 0, v133, vcc_lo
	v_mul_lo_u32 v180, s19, v178
	v_add_co_u32 v178, vcc_lo, v189, 5
	v_mul_lo_u32 v179, s18, v179
	s_delay_alu instid0(VALU_DEP_2) | instskip(NEXT) | instid1(VALU_DEP_2)
	v_mad_u64_u32 v[183:184], null, s18, v178, 0
	v_add3_u32 v182, v182, v179, v180
	v_add_co_ci_u32_e32 v179, vcc_lo, 0, v133, vcc_lo
	v_mul_lo_u32 v180, s19, v178
	v_add_co_u32 v178, vcc_lo, v189, 4
	s_delay_alu instid0(VALU_DEP_3) | instskip(NEXT) | instid1(VALU_DEP_2)
	v_mul_lo_u32 v179, s18, v179
	v_mad_u64_u32 v[185:186], null, s18, v178, 0
	s_delay_alu instid0(VALU_DEP_2) | instskip(SKIP_3) | instid1(VALU_DEP_3)
	v_add3_u32 v184, v184, v179, v180
	v_add_co_ci_u32_e32 v179, vcc_lo, 0, v133, vcc_lo
	v_mul_lo_u32 v180, s19, v178
	v_add_co_u32 v178, vcc_lo, v189, 3
	v_mul_lo_u32 v179, s18, v179
	s_delay_alu instid0(VALU_DEP_2) | instskip(NEXT) | instid1(VALU_DEP_2)
	v_mad_u64_u32 v[187:188], null, s18, v178, 0
	v_add3_u32 v186, v186, v179, v180
	v_add_co_ci_u32_e32 v179, vcc_lo, 0, v133, vcc_lo
	v_mul_lo_u32 v180, s19, v178
	s_delay_alu instid0(VALU_DEP_2) | instskip(NEXT) | instid1(VALU_DEP_1)
	v_mul_lo_u32 v179, s18, v179
	v_add3_u32 v188, v188, v179, v180
	v_add_co_u32 v179, vcc_lo, v189, 2
	v_add_co_ci_u32_e32 v133, vcc_lo, 0, v133, vcc_lo
	v_add_co_u32 v193, vcc_lo, v1, s18
	v_add_co_ci_u32_e32 v194, vcc_lo, s19, v2, vcc_lo
	v_lshlrev_b64 v[1:2], 3, v[1:2]
	v_mul_lo_u32 v178, s19, v179
	v_mad_u64_u32 v[189:190], null, s18, v179, 0
	v_mul_lo_u32 v133, s18, v133
	s_delay_alu instid0(VALU_DEP_4)
	v_add_co_u32 v198, vcc_lo, s20, v1
	v_add_co_ci_u32_e32 v255, vcc_lo, s21, v2, vcc_lo
	v_add_co_u32 v179, vcc_lo, s22, v1
	v_add_co_ci_u32_e32 v180, vcc_lo, s23, v2, vcc_lo
	v_lshlrev_b64 v[1:2], 3, v[3:4]
	v_add3_u32 v190, v190, v133, v178
	s_delay_alu instid0(VALU_DEP_2)
	v_add_co_u32 v3, vcc_lo, s20, v1
	scratch_store_b32 off, v3, off offset:16 ; 4-byte Folded Spill
	v_add_co_ci_u32_e32 v3, vcc_lo, s21, v2, vcc_lo
	v_add_co_u32 v1, vcc_lo, s22, v1
	s_clause 0x1
	scratch_store_b32 off, v3, off offset:20
	scratch_store_b32 off, v1, off offset:24
	v_add_co_ci_u32_e32 v1, vcc_lo, s23, v2, vcc_lo
	scratch_store_b32 off, v1, off offset:28 ; 4-byte Folded Spill
	v_lshlrev_b64 v[1:2], 3, v[129:130]
	v_dual_mov_b32 v130, 0 :: v_dual_add_nc_u32 v129, s15, v0
	s_delay_alu instid0(VALU_DEP_1) | instskip(NEXT) | instid1(VALU_DEP_3)
	v_mov_b32_e32 v228, v130
	v_add_co_u32 v3, vcc_lo, s20, v1
	scratch_store_b32 off, v3, off offset:32 ; 4-byte Folded Spill
	v_add_co_ci_u32_e32 v3, vcc_lo, s21, v2, vcc_lo
	v_add_co_u32 v1, vcc_lo, s22, v1
	s_clause 0x1
	scratch_store_b32 off, v3, off offset:36
	scratch_store_b32 off, v1, off offset:40
	v_add_co_ci_u32_e32 v1, vcc_lo, s23, v2, vcc_lo
	scratch_store_b32 off, v1, off offset:44 ; 4-byte Folded Spill
	v_lshlrev_b64 v[1:2], 3, v[131:132]
	v_lshlrev_b64 v[131:132], 3, v[129:130]
	v_mov_b32_e32 v129, v195
	scratch_store_b32 off, v0, off offset:436 ; 4-byte Folded Spill
	v_add_co_u32 v3, vcc_lo, s20, v1
	scratch_store_b32 off, v3, off offset:48 ; 4-byte Folded Spill
	v_add_co_ci_u32_e32 v3, vcc_lo, s21, v2, vcc_lo
	v_add_co_u32 v1, vcc_lo, s22, v1
	s_clause 0x1
	scratch_store_b32 off, v3, off offset:52
	scratch_store_b32 off, v1, off offset:56
	v_add_co_ci_u32_e32 v1, vcc_lo, s23, v2, vcc_lo
	scratch_store_b32 off, v1, off offset:60 ; 4-byte Folded Spill
	v_lshlrev_b64 v[1:2], 3, v[134:135]
	s_delay_alu instid0(VALU_DEP_1)
	v_add_co_u32 v3, vcc_lo, s20, v1
	scratch_store_b32 off, v3, off offset:64 ; 4-byte Folded Spill
	v_add_co_ci_u32_e32 v3, vcc_lo, s21, v2, vcc_lo
	v_add_co_u32 v1, vcc_lo, s22, v1
	s_clause 0x1
	scratch_store_b32 off, v3, off offset:68
	scratch_store_b32 off, v1, off offset:76
	v_add_co_ci_u32_e32 v1, vcc_lo, s23, v2, vcc_lo
	scratch_store_b32 off, v1, off offset:80 ; 4-byte Folded Spill
	v_lshlrev_b64 v[1:2], 3, v[136:137]
	s_delay_alu instid0(VALU_DEP_1)
	;; [unrolled: 11-line block ×22, first 2 shown]
	v_add_co_u32 v3, vcc_lo, s20, v1
	scratch_store_b32 off, v3, off offset:404 ; 4-byte Folded Spill
	v_add_co_ci_u32_e32 v3, vcc_lo, s21, v2, vcc_lo
	v_add_co_u32 v1, vcc_lo, s22, v1
	s_clause 0x1
	scratch_store_b32 off, v3, off offset:408
	scratch_store_b32 off, v1, off offset:412
	v_add_co_ci_u32_e32 v1, vcc_lo, s23, v2, vcc_lo
	scratch_store_b32 off, v1, off offset:416 ; 4-byte Folded Spill
	v_lshlrev_b64 v[1:2], 3, v[181:182]
	s_delay_alu instid0(VALU_DEP_1) | instskip(NEXT) | instid1(VALU_DEP_2)
	v_add_co_u32 v209, vcc_lo, s20, v1
	v_add_co_ci_u32_e32 v225, vcc_lo, s21, v2, vcc_lo
	v_add_co_u32 v226, vcc_lo, s22, v1
	v_add_co_ci_u32_e32 v210, vcc_lo, s23, v2, vcc_lo
	v_lshlrev_b64 v[1:2], 3, v[183:184]
	s_delay_alu instid0(VALU_DEP_1) | instskip(NEXT) | instid1(VALU_DEP_2)
	v_add_co_u32 v213, vcc_lo, s20, v1
	v_add_co_ci_u32_e32 v214, vcc_lo, s21, v2, vcc_lo
	v_add_co_u32 v221, vcc_lo, s22, v1
	v_add_co_ci_u32_e32 v222, vcc_lo, s23, v2, vcc_lo
	;; [unrolled: 6-line block ×5, first 2 shown]
	v_lshlrev_b64 v[1:2], 3, v[193:194]
	s_delay_alu instid0(VALU_DEP_1) | instskip(NEXT) | instid1(VALU_DEP_2)
	v_add_co_u32 v193, vcc_lo, s20, v1
	v_add_co_ci_u32_e32 v194, vcc_lo, s21, v2, vcc_lo
	v_add_co_u32 v197, vcc_lo, s22, v1
	v_mov_b32_e32 v0, 0
	v_mov_b32_e32 v1, 0
	v_add_co_ci_u32_e32 v227, vcc_lo, s23, v2, vcc_lo
	s_clause 0x1
	scratch_store_b64 off, v[0:1], off offset:8
	scratch_store_b64 off, v[0:1], off
	v_mov_b32_e32 v0, v196
	s_mov_b64 s[20:21], 31
	s_mov_b64 s[22:23], s[6:7]
	s_branch .LBB28_147
.LBB28_145:                             ;   in Loop: Header=BB28_147 Depth=1
	s_or_b32 exec_lo, exec_lo, s7
	v_add_co_u32 v1, vcc_lo, v179, v131
	v_add_co_ci_u32_e32 v2, vcc_lo, v180, v132, vcc_lo
	s_waitcnt vmcnt(1)
	ds_bpermute_b32 v3, v130, v133
	ds_bpermute_b32 v4, v130, v134
	scratch_load_b64 v[139:140], off, off offset:8 ; 8-byte Folded Reload
	global_load_b64 v[1:2], v[1:2], off
	s_waitcnt vmcnt(2)
	ds_bpermute_b32 v141, v130, v135 offset:4
	ds_bpermute_b32 v142, v130, v136 offset:4
	;; [unrolled: 1-line block ×60, first 2 shown]
	s_waitcnt vmcnt(0) lgkmcnt(60)
	v_add_f64 v[1:2], v[1:2], -v[3:4]
	v_add_co_u32 v3, vcc_lo, v198, v131
	v_add_co_ci_u32_e32 v4, vcc_lo, v255, v132, vcc_lo
	global_load_b64 v[137:138], v[3:4], off
	ds_bpermute_b32 v3, v130, v135
	ds_bpermute_b32 v4, v130, v136
	s_waitcnt vmcnt(0)
	v_mul_f64 v[1:2], v[137:138], v[1:2]
	s_waitcnt lgkmcnt(0)
	s_delay_alu instid0(VALU_DEP_1)
	v_fma_f64 v[1:2], v[1:2], v[3:4], v[139:140]
	v_add_co_u32 v3, vcc_lo, v13, v131
	v_add_co_ci_u32_e32 v4, vcc_lo, v14, v132, vcc_lo
	ds_bpermute_b32 v139, v130, v133 offset:4
	ds_bpermute_b32 v140, v130, v134 offset:4
	global_load_b64 v[3:4], v[3:4], off
	s_waitcnt vmcnt(0) lgkmcnt(0)
	v_add_f64 v[139:140], v[3:4], -v[139:140]
	v_add_co_u32 v3, vcc_lo, v5, v131
	v_add_co_ci_u32_e32 v4, vcc_lo, v6, v132, vcc_lo
	global_load_b64 v[3:4], v[3:4], off
	s_waitcnt vmcnt(0)
	v_mul_f64 v[139:140], v[3:4], v[139:140]
	s_delay_alu instid0(VALU_DEP_1)
	v_fma_f64 v[1:2], v[139:140], v[141:142], v[1:2]
	v_add_co_u32 v139, vcc_lo, v17, v131
	v_add_co_ci_u32_e32 v140, vcc_lo, v18, v132, vcc_lo
	ds_bpermute_b32 v141, v130, v133 offset:8
	ds_bpermute_b32 v142, v130, v134 offset:8
	global_load_b64 v[139:140], v[139:140], off
	s_waitcnt vmcnt(0) lgkmcnt(0)
	v_add_f64 v[141:142], v[139:140], -v[141:142]
	v_add_co_u32 v139, vcc_lo, v7, v131
	v_add_co_ci_u32_e32 v140, vcc_lo, v8, v132, vcc_lo
	global_load_b64 v[139:140], v[139:140], off
	s_waitcnt vmcnt(0)
	v_mul_f64 v[141:142], v[139:140], v[141:142]
	;; [unrolled: 14-line block ×30, first 2 shown]
	s_delay_alu instid0(VALU_DEP_1) | instskip(SKIP_3) | instid1(VALU_DEP_1)
	v_fma_f64 v[161:162], v[163:164], v[233:234], v[161:162]
	scratch_load_b64 v[163:164], off, off   ; 8-byte Folded Reload
	s_waitcnt vmcnt(0)
	v_add_f64 v[137:138], v[163:164], v[137:138]
	v_add_f64 v[3:4], v[137:138], v[3:4]
	ds_bpermute_b32 v137, v130, v135 offset:124
	ds_bpermute_b32 v138, v130, v136 offset:124
	;; [unrolled: 1-line block ×4, first 2 shown]
	v_add_f64 v[3:4], v[3:4], v[139:140]
	s_delay_alu instid0(VALU_DEP_1) | instskip(NEXT) | instid1(VALU_DEP_1)
	v_add_f64 v[3:4], v[3:4], v[141:142]
	v_add_f64 v[3:4], v[3:4], v[143:144]
	s_delay_alu instid0(VALU_DEP_1) | instskip(NEXT) | instid1(VALU_DEP_1)
	v_add_f64 v[3:4], v[3:4], v[145:146]
	;; [unrolled: 3-line block ×14, first 2 shown]
	v_add_f64 v[139:140], v[1:2], v[231:232]
	v_add_co_u32 v1, vcc_lo, v125, v131
	v_add_co_ci_u32_e32 v2, vcc_lo, v126, v132, vcc_lo
	v_add_co_u32 v3, vcc_lo, v127, v131
	v_add_co_ci_u32_e32 v4, vcc_lo, v128, v132, vcc_lo
	global_load_b64 v[251:252], v[1:2], off
	global_load_b64 v[1:2], v[3:4], off
.LBB28_146:                             ;   in Loop: Header=BB28_147 Depth=1
	s_waitcnt vmcnt(0) lgkmcnt(0)
	v_add_f64 v[1:2], v[1:2], -v[135:136]
	v_mov_b32_e32 v3, v0
	v_add_co_u32 v5, vcc_lo, v5, s12
	v_add_co_ci_u32_e32 v6, vcc_lo, s13, v6, vcc_lo
	v_add_co_u32 v7, vcc_lo, v7, s12
	v_add_co_ci_u32_e32 v8, vcc_lo, s13, v8, vcc_lo
	v_add_co_u32 v9, vcc_lo, v9, s12
	v_add_co_ci_u32_e32 v10, vcc_lo, s13, v10, vcc_lo
	v_add_co_u32 v11, vcc_lo, v11, s12
	v_add_co_ci_u32_e32 v12, vcc_lo, s13, v12, vcc_lo
	v_add_co_u32 v15, vcc_lo, v15, s12
	v_add_co_ci_u32_e32 v16, vcc_lo, s13, v16, vcc_lo
	v_add_co_u32 v23, vcc_lo, v23, s12
	v_add_co_ci_u32_e32 v24, vcc_lo, s13, v24, vcc_lo
	v_add_co_u32 v29, vcc_lo, v29, s12
	v_add_co_ci_u32_e32 v30, vcc_lo, s13, v30, vcc_lo
	v_add_co_u32 v33, vcc_lo, v33, s12
	v_add_co_ci_u32_e32 v34, vcc_lo, s13, v34, vcc_lo
	v_add_co_u32 v37, vcc_lo, v37, s12
	v_add_co_ci_u32_e32 v38, vcc_lo, s13, v38, vcc_lo
	v_mul_f64 v[1:2], v[251:252], v[1:2]
	v_add_co_u32 v41, vcc_lo, v41, s12
	v_add_co_ci_u32_e32 v42, vcc_lo, s13, v42, vcc_lo
	v_add_co_u32 v45, vcc_lo, v45, s12
	v_add_co_ci_u32_e32 v46, vcc_lo, s13, v46, vcc_lo
	;; [unrolled: 2-line block ×9, first 2 shown]
	v_add_co_u32 v77, vcc_lo, v77, s12
	v_fma_f64 v[0:1], v[1:2], v[137:138], v[161:162]
	v_add_co_ci_u32_e32 v78, vcc_lo, s13, v78, vcc_lo
	v_add_co_u32 v81, vcc_lo, v81, s12
	v_add_co_ci_u32_e32 v82, vcc_lo, s13, v82, vcc_lo
	v_add_co_u32 v85, vcc_lo, v85, s12
	;; [unrolled: 2-line block ×9, first 2 shown]
	v_add_co_ci_u32_e32 v114, vcc_lo, s13, v114, vcc_lo
	scratch_store_b64 off, v[0:1], off offset:8 ; 8-byte Folded Spill
	v_add_f64 v[0:1], v[139:140], v[251:252]
	v_add_co_u32 v117, vcc_lo, v117, s12
	v_add_co_ci_u32_e32 v118, vcc_lo, s13, v118, vcc_lo
	v_add_co_u32 v121, vcc_lo, v121, s12
	v_add_co_ci_u32_e32 v122, vcc_lo, s13, v122, vcc_lo
	;; [unrolled: 2-line block ×9, first 2 shown]
	v_add_co_u32 v27, vcc_lo, v27, s12
	scratch_store_b64 off, v[0:1], off      ; 8-byte Folded Spill
	scratch_load_b32 v1, off, off offset:16 ; 4-byte Folded Reload
	v_add_co_ci_u32_e32 v28, vcc_lo, s13, v28, vcc_lo
	v_add_co_u32 v31, vcc_lo, v31, s12
	v_add_co_ci_u32_e32 v32, vcc_lo, s13, v32, vcc_lo
	v_add_co_u32 v35, vcc_lo, v35, s12
	;; [unrolled: 2-line block ×25, first 2 shown]
	v_mov_b32_e32 v0, v3
	v_add_co_ci_u32_e32 v128, vcc_lo, s13, v128, vcc_lo
	v_add_co_u32 v179, vcc_lo, v179, s12
	v_add_co_ci_u32_e32 v180, vcc_lo, s13, v180, vcc_lo
	s_delay_alu instid0(VALU_DEP_4)
	v_add_co_u32 v0, vcc_lo, v0, s3
	v_add_co_ci_u32_e32 v228, vcc_lo, 0, v228, vcc_lo
	s_add_u32 s22, s22, s3
	s_addc_u32 s23, s23, 0
	s_add_u32 s20, s20, s3
	v_cmp_ge_i64_e64 s7, s[22:23], s[16:17]
	s_addc_u32 s21, s21, 0
	s_waitcnt vmcnt(0)
	v_add_co_u32 v1, vcc_lo, v1, s12
	scratch_store_b32 off, v1, off offset:16 ; 4-byte Folded Spill
	scratch_load_b32 v1, off, off offset:20 ; 4-byte Folded Reload
	s_waitcnt vmcnt(0)
	v_add_co_ci_u32_e32 v1, vcc_lo, s13, v1, vcc_lo
	scratch_store_b32 off, v1, off offset:20 ; 4-byte Folded Spill
	scratch_load_b32 v1, off, off offset:24 ; 4-byte Folded Reload
	s_waitcnt vmcnt(0)
	v_add_co_u32 v1, vcc_lo, v1, s12
	scratch_store_b32 off, v1, off offset:24 ; 4-byte Folded Spill
	scratch_load_b32 v1, off, off offset:28 ; 4-byte Folded Reload
	s_waitcnt vmcnt(0)
	v_add_co_ci_u32_e32 v1, vcc_lo, s13, v1, vcc_lo
	scratch_store_b32 off, v1, off offset:28 ; 4-byte Folded Spill
	scratch_load_b32 v1, off, off offset:32 ; 4-byte Folded Reload
	;; [unrolled: 8-line block ×49, first 2 shown]
	s_waitcnt vmcnt(0)
	v_add_co_u32 v1, vcc_lo, v1, s12
	scratch_store_b32 off, v1, off offset:412 ; 4-byte Folded Spill
	scratch_load_b32 v1, off, off offset:416 ; 4-byte Folded Reload
	s_waitcnt vmcnt(0)
	v_add_co_ci_u32_e32 v1, vcc_lo, s13, v1, vcc_lo
	v_add_co_u32 v209, vcc_lo, v209, s12
	v_add_co_ci_u32_e32 v225, vcc_lo, s13, v225, vcc_lo
	v_add_co_u32 v226, vcc_lo, v226, s12
	;; [unrolled: 2-line block ×12, first 2 shown]
	v_add_co_ci_u32_e32 v227, vcc_lo, s13, v227, vcc_lo
	s_and_b32 vcc_lo, exec_lo, s7
	scratch_store_b32 off, v1, off offset:416 ; 4-byte Folded Spill
	s_cbranch_vccnz .LBB28_218
.LBB28_147:                             ; =>This Inner Loop Header: Depth=1
	s_add_u32 s24, s6, s20
	s_addc_u32 s25, 0, s21
	v_add_co_u32 v133, vcc_lo, s6, v0
	v_cmp_ge_i64_e64 s7, s[24:25], s[16:17]
	v_add_co_ci_u32_e32 v134, vcc_lo, 0, v228, vcc_lo
	s_delay_alu instid0(VALU_DEP_2)
	s_and_b32 vcc_lo, exec_lo, s7
	s_cbranch_vccz .LBB28_215
; %bb.148:                              ;   in Loop: Header=BB28_147 Depth=1
	scratch_load_b32 v1, off, off offset:436 ; 4-byte Folded Reload
	s_load_b32 s7, s[4:5], 0xc
	v_mov_b32_e32 v139, 0
	v_mov_b32_e32 v140, 0
	s_delay_alu instid0(VALU_DEP_2) | instskip(NEXT) | instid1(VALU_DEP_2)
	v_mov_b32_e32 v137, v139
	v_dual_mov_b32 v135, v139 :: v_dual_mov_b32 v136, v140
	v_mov_b32_e32 v138, v140
	s_waitcnt lgkmcnt(0)
	s_and_b32 s7, s7, 0xffff
	s_waitcnt vmcnt(0)
	v_mad_u32_u24 v1, v129, s7, v1
	s_mov_b32 s7, exec_lo
	s_delay_alu instid0(VALU_DEP_1) | instskip(NEXT) | instid1(VALU_DEP_1)
	v_and_b32_e32 v1, 31, v1
	v_add_co_u32 v1, vcc_lo, v133, v1
	v_add_co_ci_u32_e32 v2, vcc_lo, 0, v134, vcc_lo
	s_delay_alu instid0(VALU_DEP_1)
	v_cmpx_gt_i64_e64 s[16:17], v[1:2]
	s_cbranch_execz .LBB28_150
; %bb.149:                              ;   in Loop: Header=BB28_147 Depth=1
	v_lshlrev_b64 v[1:2], 3, v[1:2]
	s_delay_alu instid0(VALU_DEP_1) | instskip(NEXT) | instid1(VALU_DEP_2)
	v_add_co_u32 v3, vcc_lo, s8, v1
	v_add_co_ci_u32_e32 v4, vcc_lo, s9, v2, vcc_lo
	v_add_co_u32 v1, vcc_lo, s10, v1
	v_add_co_ci_u32_e32 v2, vcc_lo, s11, v2, vcc_lo
	global_load_b64 v[135:136], v[3:4], off
	global_load_b64 v[137:138], v[1:2], off
.LBB28_150:                             ;   in Loop: Header=BB28_147 Depth=1
	s_or_b32 exec_lo, exec_lo, s7
	s_delay_alu instid0(SALU_CYCLE_1)
	s_mov_b32 s7, exec_lo
	scratch_store_b64 off, v[139:140], off offset:428 ; 8-byte Folded Spill
	v_cmpx_gt_i64_e64 s[16:17], v[133:134]
	s_cbranch_execz .LBB28_152
; %bb.151:                              ;   in Loop: Header=BB28_147 Depth=1
	v_add_co_u32 v1, vcc_lo, v198, v131
	v_add_co_ci_u32_e32 v2, vcc_lo, v255, v132, vcc_lo
	v_add_co_u32 v3, vcc_lo, v179, v131
	v_add_co_ci_u32_e32 v4, vcc_lo, v180, v132, vcc_lo
	global_load_b64 v[139:140], v[1:2], off
	global_load_b64 v[1:2], v[3:4], off
	s_waitcnt vmcnt(0)
	scratch_store_b64 off, v[1:2], off offset:428 ; 8-byte Folded Spill
.LBB28_152:                             ;   in Loop: Header=BB28_147 Depth=1
	s_or_b32 exec_lo, exec_lo, s7
	v_add_co_u32 v1, vcc_lo, v133, 1
	v_mov_b32_e32 v141, 0
	v_add_co_ci_u32_e32 v2, vcc_lo, 0, v134, vcc_lo
	v_mov_b32_e32 v142, 0
	s_delay_alu instid0(VALU_DEP_2) | instskip(NEXT) | instid1(VALU_DEP_2)
	v_cmp_gt_i64_e32 vcc_lo, s[16:17], v[1:2]
	v_dual_mov_b32 v1, v141 :: v_dual_mov_b32 v2, v142
	v_dual_mov_b32 v202, v142 :: v_dual_mov_b32 v201, v141
	s_and_saveexec_b32 s7, vcc_lo
	s_cbranch_execz .LBB28_154
; %bb.153:                              ;   in Loop: Header=BB28_147 Depth=1
	v_add_co_u32 v1, vcc_lo, v193, v131
	v_add_co_ci_u32_e32 v2, vcc_lo, v194, v132, vcc_lo
	v_add_co_u32 v3, vcc_lo, v197, v131
	v_add_co_ci_u32_e32 v4, vcc_lo, v227, v132, vcc_lo
	global_load_b64 v[201:202], v[1:2], off
	global_load_b64 v[1:2], v[3:4], off
.LBB28_154:                             ;   in Loop: Header=BB28_147 Depth=1
	s_or_b32 exec_lo, exec_lo, s7
	s_waitcnt vmcnt(0)
	scratch_store_b64 off, v[1:2], off offset:448 ; 8-byte Folded Spill
	v_add_co_u32 v1, vcc_lo, v133, 2
	v_add_co_ci_u32_e32 v2, vcc_lo, 0, v134, vcc_lo
	s_delay_alu instid0(VALU_DEP_1)
	v_cmp_gt_i64_e32 vcc_lo, s[16:17], v[1:2]
	v_dual_mov_b32 v1, v141 :: v_dual_mov_b32 v2, v142
	s_and_saveexec_b32 s7, vcc_lo
	s_cbranch_execz .LBB28_156
; %bb.155:                              ;   in Loop: Header=BB28_147 Depth=1
	v_add_co_u32 v1, vcc_lo, v187, v131
	v_add_co_ci_u32_e32 v2, vcc_lo, v188, v132, vcc_lo
	v_add_co_u32 v3, vcc_lo, v191, v131
	v_add_co_ci_u32_e32 v4, vcc_lo, v192, v132, vcc_lo
	global_load_b64 v[141:142], v[1:2], off
	global_load_b64 v[1:2], v[3:4], off
.LBB28_156:                             ;   in Loop: Header=BB28_147 Depth=1
	s_or_b32 exec_lo, exec_lo, s7
	s_waitcnt vmcnt(0)
	scratch_store_b64 off, v[1:2], off offset:440 ; 8-byte Folded Spill
	v_add_co_u32 v1, vcc_lo, v133, 3
	v_mov_b32_e32 v145, 0
	v_add_co_ci_u32_e32 v2, vcc_lo, 0, v134, vcc_lo
	v_mov_b32_e32 v146, 0
	s_delay_alu instid0(VALU_DEP_2) | instskip(NEXT) | instid1(VALU_DEP_2)
	v_cmp_gt_i64_e32 vcc_lo, s[16:17], v[1:2]
	v_dual_mov_b32 v1, v145 :: v_dual_mov_b32 v2, v146
	v_dual_mov_b32 v204, v146 :: v_dual_mov_b32 v203, v145
	s_and_saveexec_b32 s7, vcc_lo
	s_cbranch_execz .LBB28_158
; %bb.157:                              ;   in Loop: Header=BB28_147 Depth=1
	v_add_co_u32 v1, vcc_lo, v183, v131
	v_add_co_ci_u32_e32 v2, vcc_lo, v184, v132, vcc_lo
	v_add_co_u32 v3, vcc_lo, v185, v131
	v_add_co_ci_u32_e32 v4, vcc_lo, v186, v132, vcc_lo
	global_load_b64 v[203:204], v[1:2], off
	global_load_b64 v[1:2], v[3:4], off
.LBB28_158:                             ;   in Loop: Header=BB28_147 Depth=1
	s_or_b32 exec_lo, exec_lo, s7
	s_waitcnt vmcnt(0)
	scratch_store_b64 off, v[1:2], off offset:456 ; 8-byte Folded Spill
	v_add_co_u32 v1, vcc_lo, v133, 4
	v_add_co_ci_u32_e32 v2, vcc_lo, 0, v134, vcc_lo
	s_delay_alu instid0(VALU_DEP_1)
	v_cmp_gt_i64_e32 vcc_lo, s[16:17], v[1:2]
	v_dual_mov_b32 v1, v145 :: v_dual_mov_b32 v2, v146
	s_and_saveexec_b32 s7, vcc_lo
	s_cbranch_execz .LBB28_160
; %bb.159:                              ;   in Loop: Header=BB28_147 Depth=1
	v_add_co_u32 v1, vcc_lo, v215, v131
	v_add_co_ci_u32_e32 v2, vcc_lo, v216, v132, vcc_lo
	v_add_co_u32 v3, vcc_lo, v217, v131
	v_add_co_ci_u32_e32 v4, vcc_lo, v218, v132, vcc_lo
	global_load_b64 v[145:146], v[1:2], off
	global_load_b64 v[1:2], v[3:4], off
.LBB28_160:                             ;   in Loop: Header=BB28_147 Depth=1
	s_or_b32 exec_lo, exec_lo, s7
	s_waitcnt vmcnt(0)
	scratch_store_b64 off, v[1:2], off offset:464 ; 8-byte Folded Spill
	v_add_co_u32 v1, vcc_lo, v133, 5
	v_mov_b32_e32 v149, 0
	v_add_co_ci_u32_e32 v2, vcc_lo, 0, v134, vcc_lo
	v_mov_b32_e32 v150, 0
	s_delay_alu instid0(VALU_DEP_2) | instskip(NEXT) | instid1(VALU_DEP_2)
	v_cmp_gt_i64_e32 vcc_lo, s[16:17], v[1:2]
	v_dual_mov_b32 v1, v149 :: v_dual_mov_b32 v2, v150
	v_dual_mov_b32 v208, v150 :: v_dual_mov_b32 v207, v149
	s_and_saveexec_b32 s7, vcc_lo
	s_cbranch_execz .LBB28_162
; %bb.161:                              ;   in Loop: Header=BB28_147 Depth=1
	v_add_co_u32 v1, vcc_lo, v213, v131
	v_add_co_ci_u32_e32 v2, vcc_lo, v214, v132, vcc_lo
	v_add_co_u32 v3, vcc_lo, v221, v131
	v_add_co_ci_u32_e32 v4, vcc_lo, v222, v132, vcc_lo
	global_load_b64 v[207:208], v[1:2], off
	global_load_b64 v[1:2], v[3:4], off
.LBB28_162:                             ;   in Loop: Header=BB28_147 Depth=1
	s_or_b32 exec_lo, exec_lo, s7
	s_waitcnt vmcnt(0)
	scratch_store_b64 off, v[1:2], off offset:472 ; 8-byte Folded Spill
	v_add_co_u32 v1, vcc_lo, v133, 6
	v_add_co_ci_u32_e32 v2, vcc_lo, 0, v134, vcc_lo
	s_delay_alu instid0(VALU_DEP_1)
	v_cmp_gt_i64_e32 vcc_lo, s[16:17], v[1:2]
	v_dual_mov_b32 v1, v149 :: v_dual_mov_b32 v2, v150
	s_and_saveexec_b32 s7, vcc_lo
	s_cbranch_execz .LBB28_164
; %bb.163:                              ;   in Loop: Header=BB28_147 Depth=1
	v_add_co_u32 v1, vcc_lo, v209, v131
	v_add_co_ci_u32_e32 v2, vcc_lo, v225, v132, vcc_lo
	v_add_co_u32 v3, vcc_lo, v226, v131
	v_add_co_ci_u32_e32 v4, vcc_lo, v210, v132, vcc_lo
	global_load_b64 v[149:150], v[1:2], off
	global_load_b64 v[1:2], v[3:4], off
.LBB28_164:                             ;   in Loop: Header=BB28_147 Depth=1
	s_or_b32 exec_lo, exec_lo, s7
	v_mov_b32_e32 v153, 0
	v_mov_b32_e32 v154, 0
	s_waitcnt vmcnt(0)
	scratch_store_b64 off, v[1:2], off offset:480 ; 8-byte Folded Spill
	v_add_co_u32 v1, vcc_lo, v133, 7
	v_add_co_ci_u32_e32 v2, vcc_lo, 0, v134, vcc_lo
	scratch_store_b64 off, v[153:154], off offset:420 ; 8-byte Folded Spill
	v_cmp_gt_i64_e32 vcc_lo, s[16:17], v[1:2]
	v_dual_mov_b32 v1, v153 :: v_dual_mov_b32 v2, v154
	s_and_saveexec_b32 s7, vcc_lo
	s_cbranch_execz .LBB28_166
; %bb.165:                              ;   in Loop: Header=BB28_147 Depth=1
	s_clause 0x3
	scratch_load_b32 v1, off, off offset:404
	scratch_load_b32 v2, off, off offset:408
	;; [unrolled: 1-line block ×4, first 2 shown]
	s_waitcnt vmcnt(3)
	v_add_co_u32 v1, vcc_lo, v1, v131
	s_waitcnt vmcnt(2)
	v_add_co_ci_u32_e32 v2, vcc_lo, v2, v132, vcc_lo
	s_waitcnt vmcnt(1)
	v_add_co_u32 v3, vcc_lo, v3, v131
	s_waitcnt vmcnt(0)
	v_add_co_ci_u32_e32 v4, vcc_lo, v4, v132, vcc_lo
	global_load_b64 v[1:2], v[1:2], off
	s_waitcnt vmcnt(0)
	scratch_store_b64 off, v[1:2], off offset:420 ; 8-byte Folded Spill
	global_load_b64 v[1:2], v[3:4], off
.LBB28_166:                             ;   in Loop: Header=BB28_147 Depth=1
	s_or_b32 exec_lo, exec_lo, s7
	s_waitcnt vmcnt(0)
	scratch_store_b64 off, v[1:2], off offset:488 ; 8-byte Folded Spill
	v_add_co_u32 v1, vcc_lo, v133, 8
	v_add_co_ci_u32_e32 v2, vcc_lo, 0, v134, vcc_lo
	s_delay_alu instid0(VALU_DEP_1)
	v_cmp_gt_i64_e32 vcc_lo, s[16:17], v[1:2]
	v_dual_mov_b32 v1, v153 :: v_dual_mov_b32 v2, v154
	s_and_saveexec_b32 s7, vcc_lo
	s_cbranch_execz .LBB28_168
; %bb.167:                              ;   in Loop: Header=BB28_147 Depth=1
	s_clause 0x3
	scratch_load_b32 v1, off, off offset:388
	scratch_load_b32 v2, off, off offset:392
	scratch_load_b32 v3, off, off offset:396
	scratch_load_b32 v4, off, off offset:400
	s_waitcnt vmcnt(3)
	v_add_co_u32 v1, vcc_lo, v1, v131
	s_waitcnt vmcnt(2)
	v_add_co_ci_u32_e32 v2, vcc_lo, v2, v132, vcc_lo
	s_waitcnt vmcnt(1)
	v_add_co_u32 v3, vcc_lo, v3, v131
	s_waitcnt vmcnt(0)
	v_add_co_ci_u32_e32 v4, vcc_lo, v4, v132, vcc_lo
	global_load_b64 v[153:154], v[1:2], off
	global_load_b64 v[1:2], v[3:4], off
.LBB28_168:                             ;   in Loop: Header=BB28_147 Depth=1
	s_or_b32 exec_lo, exec_lo, s7
	s_waitcnt vmcnt(0)
	scratch_store_b64 off, v[1:2], off offset:496 ; 8-byte Folded Spill
	v_add_co_u32 v1, vcc_lo, v133, 9
	v_mov_b32_e32 v157, 0
	v_add_co_ci_u32_e32 v2, vcc_lo, 0, v134, vcc_lo
	v_mov_b32_e32 v158, 0
	s_delay_alu instid0(VALU_DEP_2) | instskip(NEXT) | instid1(VALU_DEP_2)
	v_cmp_gt_i64_e32 vcc_lo, s[16:17], v[1:2]
	v_dual_mov_b32 v1, v157 :: v_dual_mov_b32 v2, v158
	v_dual_mov_b32 v160, v158 :: v_dual_mov_b32 v159, v157
	s_and_saveexec_b32 s7, vcc_lo
	s_cbranch_execz .LBB28_170
; %bb.169:                              ;   in Loop: Header=BB28_147 Depth=1
	s_clause 0x3
	scratch_load_b32 v1, off, off offset:372
	scratch_load_b32 v2, off, off offset:376
	scratch_load_b32 v3, off, off offset:380
	scratch_load_b32 v4, off, off offset:384
	s_waitcnt vmcnt(3)
	v_add_co_u32 v1, vcc_lo, v1, v131
	s_waitcnt vmcnt(2)
	v_add_co_ci_u32_e32 v2, vcc_lo, v2, v132, vcc_lo
	s_waitcnt vmcnt(1)
	v_add_co_u32 v3, vcc_lo, v3, v131
	s_waitcnt vmcnt(0)
	v_add_co_ci_u32_e32 v4, vcc_lo, v4, v132, vcc_lo
	global_load_b64 v[159:160], v[1:2], off
	global_load_b64 v[1:2], v[3:4], off
.LBB28_170:                             ;   in Loop: Header=BB28_147 Depth=1
	s_or_b32 exec_lo, exec_lo, s7
	s_waitcnt vmcnt(0)
	scratch_store_b64 off, v[1:2], off offset:504 ; 8-byte Folded Spill
	v_add_co_u32 v1, vcc_lo, v133, 10
	v_add_co_ci_u32_e32 v2, vcc_lo, 0, v134, vcc_lo
	s_delay_alu instid0(VALU_DEP_1)
	v_cmp_gt_i64_e32 vcc_lo, s[16:17], v[1:2]
	v_dual_mov_b32 v1, v157 :: v_dual_mov_b32 v2, v158
	s_and_saveexec_b32 s7, vcc_lo
	s_cbranch_execz .LBB28_172
; %bb.171:                              ;   in Loop: Header=BB28_147 Depth=1
	s_clause 0x3
	scratch_load_b32 v1, off, off offset:356
	scratch_load_b32 v2, off, off offset:360
	scratch_load_b32 v3, off, off offset:364
	scratch_load_b32 v4, off, off offset:368
	s_waitcnt vmcnt(3)
	v_add_co_u32 v1, vcc_lo, v1, v131
	s_waitcnt vmcnt(2)
	v_add_co_ci_u32_e32 v2, vcc_lo, v2, v132, vcc_lo
	s_waitcnt vmcnt(1)
	v_add_co_u32 v3, vcc_lo, v3, v131
	s_waitcnt vmcnt(0)
	v_add_co_ci_u32_e32 v4, vcc_lo, v4, v132, vcc_lo
	global_load_b64 v[157:158], v[1:2], off
	global_load_b64 v[1:2], v[3:4], off
.LBB28_172:                             ;   in Loop: Header=BB28_147 Depth=1
	s_or_b32 exec_lo, exec_lo, s7
	s_waitcnt vmcnt(0)
	scratch_store_b64 off, v[1:2], off offset:512 ; 8-byte Folded Spill
	v_add_co_u32 v1, vcc_lo, v133, 11
	v_mov_b32_e32 v161, 0
	v_add_co_ci_u32_e32 v2, vcc_lo, 0, v134, vcc_lo
	v_mov_b32_e32 v162, 0
	s_delay_alu instid0(VALU_DEP_2) | instskip(NEXT) | instid1(VALU_DEP_2)
	v_cmp_gt_i64_e32 vcc_lo, s[16:17], v[1:2]
	v_dual_mov_b32 v1, v161 :: v_dual_mov_b32 v2, v162
	v_dual_mov_b32 v164, v162 :: v_dual_mov_b32 v163, v161
	s_and_saveexec_b32 s7, vcc_lo
	s_cbranch_execz .LBB28_174
; %bb.173:                              ;   in Loop: Header=BB28_147 Depth=1
	s_clause 0x3
	scratch_load_b32 v1, off, off offset:340
	scratch_load_b32 v2, off, off offset:344
	scratch_load_b32 v3, off, off offset:348
	scratch_load_b32 v4, off, off offset:352
	s_waitcnt vmcnt(3)
	v_add_co_u32 v1, vcc_lo, v1, v131
	s_waitcnt vmcnt(2)
	v_add_co_ci_u32_e32 v2, vcc_lo, v2, v132, vcc_lo
	s_waitcnt vmcnt(1)
	v_add_co_u32 v3, vcc_lo, v3, v131
	s_waitcnt vmcnt(0)
	v_add_co_ci_u32_e32 v4, vcc_lo, v4, v132, vcc_lo
	global_load_b64 v[163:164], v[1:2], off
	global_load_b64 v[1:2], v[3:4], off
.LBB28_174:                             ;   in Loop: Header=BB28_147 Depth=1
	;; [unrolled: 57-line block ×6, first 2 shown]
	s_or_b32 exec_lo, exec_lo, s7
	s_waitcnt vmcnt(0)
	scratch_store_b64 off, v[1:2], off offset:568 ; 8-byte Folded Spill
	v_add_co_u32 v1, vcc_lo, v133, 20
	v_add_co_ci_u32_e32 v2, vcc_lo, 0, v134, vcc_lo
	s_delay_alu instid0(VALU_DEP_1)
	v_cmp_gt_i64_e32 vcc_lo, s[16:17], v[1:2]
	v_dual_mov_b32 v1, v199 :: v_dual_mov_b32 v2, v200
	s_and_saveexec_b32 s7, vcc_lo
	s_cbranch_execz .LBB28_192
; %bb.191:                              ;   in Loop: Header=BB28_147 Depth=1
	s_clause 0x3
	scratch_load_b32 v1, off, off offset:196
	scratch_load_b32 v2, off, off offset:200
	;; [unrolled: 1-line block ×4, first 2 shown]
	s_waitcnt vmcnt(3)
	v_add_co_u32 v1, vcc_lo, v1, v131
	s_waitcnt vmcnt(2)
	v_add_co_ci_u32_e32 v2, vcc_lo, v2, v132, vcc_lo
	s_waitcnt vmcnt(1)
	v_add_co_u32 v3, vcc_lo, v3, v131
	s_waitcnt vmcnt(0)
	v_add_co_ci_u32_e32 v4, vcc_lo, v4, v132, vcc_lo
	global_load_b64 v[199:200], v[1:2], off
	global_load_b64 v[1:2], v[3:4], off
.LBB28_192:                             ;   in Loop: Header=BB28_147 Depth=1
	s_or_b32 exec_lo, exec_lo, s7
	v_mov_b32_e32 v211, 0
	v_mov_b32_e32 v212, 0
	s_waitcnt vmcnt(0)
	scratch_store_b64 off, v[1:2], off offset:592 ; 8-byte Folded Spill
	v_add_co_u32 v1, vcc_lo, v133, 21
	v_add_co_ci_u32_e32 v2, vcc_lo, 0, v134, vcc_lo
	v_dual_mov_b32 v220, v212 :: v_dual_mov_b32 v219, v211
	v_dual_mov_b32 v234, v212 :: v_dual_mov_b32 v233, v211
	s_mov_b32 s7, exec_lo
	s_delay_alu instid0(VALU_DEP_3)
	v_cmpx_gt_i64_e64 s[16:17], v[1:2]
	s_cbranch_execz .LBB28_194
; %bb.193:                              ;   in Loop: Header=BB28_147 Depth=1
	s_clause 0x2
	scratch_load_b32 v1, off, off offset:180
	scratch_load_b32 v2, off, off offset:184
	scratch_load_b32 v3, off, off offset:188
	s_waitcnt vmcnt(2)
	v_add_co_u32 v1, vcc_lo, v1, v131
	s_waitcnt vmcnt(1)
	v_add_co_ci_u32_e32 v2, vcc_lo, v2, v132, vcc_lo
	s_waitcnt vmcnt(0)
	v_add_co_u32 v143, vcc_lo, v3, v131
	scratch_load_b32 v3, off, off offset:192 ; 4-byte Folded Reload
	s_waitcnt vmcnt(0)
	v_add_co_ci_u32_e32 v144, vcc_lo, v3, v132, vcc_lo
	global_load_b64 v[219:220], v[1:2], off
	global_load_b64 v[233:234], v[143:144], off
.LBB28_194:                             ;   in Loop: Header=BB28_147 Depth=1
	s_or_b32 exec_lo, exec_lo, s7
	v_add_co_u32 v1, vcc_lo, v133, 22
	v_add_co_ci_u32_e32 v2, vcc_lo, 0, v134, vcc_lo
	v_dual_mov_b32 v236, v212 :: v_dual_mov_b32 v235, v211
	s_mov_b32 s7, exec_lo
	s_delay_alu instid0(VALU_DEP_2)
	v_cmpx_gt_i64_e64 s[16:17], v[1:2]
	s_cbranch_execz .LBB28_196
; %bb.195:                              ;   in Loop: Header=BB28_147 Depth=1
	s_clause 0x2
	scratch_load_b32 v1, off, off offset:164
	scratch_load_b32 v2, off, off offset:168
	scratch_load_b32 v3, off, off offset:172
	s_waitcnt vmcnt(2)
	v_add_co_u32 v1, vcc_lo, v1, v131
	s_waitcnt vmcnt(1)
	v_add_co_ci_u32_e32 v2, vcc_lo, v2, v132, vcc_lo
	s_waitcnt vmcnt(0)
	v_add_co_u32 v143, vcc_lo, v3, v131
	scratch_load_b32 v3, off, off offset:176 ; 4-byte Folded Reload
	s_waitcnt vmcnt(0)
	v_add_co_ci_u32_e32 v144, vcc_lo, v3, v132, vcc_lo
	global_load_b64 v[211:212], v[1:2], off
	global_load_b64 v[235:236], v[143:144], off
.LBB28_196:                             ;   in Loop: Header=BB28_147 Depth=1
	s_or_b32 exec_lo, exec_lo, s7
	v_mov_b32_e32 v223, 0
	v_mov_b32_e32 v224, 0
	v_add_co_u32 v1, vcc_lo, v133, 23
	v_add_co_ci_u32_e32 v2, vcc_lo, 0, v134, vcc_lo
	s_delay_alu instid0(VALU_DEP_3) | instskip(SKIP_2) | instid1(VALU_DEP_3)
	v_dual_mov_b32 v230, v224 :: v_dual_mov_b32 v229, v223
	v_dual_mov_b32 v242, v224 :: v_dual_mov_b32 v241, v223
	s_mov_b32 s7, exec_lo
	v_cmpx_gt_i64_e64 s[16:17], v[1:2]
	s_cbranch_execz .LBB28_198
; %bb.197:                              ;   in Loop: Header=BB28_147 Depth=1
	s_clause 0x2
	scratch_load_b32 v1, off, off offset:148
	scratch_load_b32 v2, off, off offset:152
	scratch_load_b32 v3, off, off offset:156
	s_waitcnt vmcnt(2)
	v_add_co_u32 v1, vcc_lo, v1, v131
	s_waitcnt vmcnt(1)
	v_add_co_ci_u32_e32 v2, vcc_lo, v2, v132, vcc_lo
	s_waitcnt vmcnt(0)
	v_add_co_u32 v143, vcc_lo, v3, v131
	scratch_load_b32 v3, off, off offset:160 ; 4-byte Folded Reload
	s_waitcnt vmcnt(0)
	v_add_co_ci_u32_e32 v144, vcc_lo, v3, v132, vcc_lo
	global_load_b64 v[229:230], v[1:2], off
	global_load_b64 v[241:242], v[143:144], off
.LBB28_198:                             ;   in Loop: Header=BB28_147 Depth=1
	s_or_b32 exec_lo, exec_lo, s7
	v_add_co_u32 v1, vcc_lo, v133, 24
	v_add_co_ci_u32_e32 v2, vcc_lo, 0, v134, vcc_lo
	v_dual_mov_b32 v244, v224 :: v_dual_mov_b32 v243, v223
	s_mov_b32 s7, exec_lo
	s_delay_alu instid0(VALU_DEP_2)
	v_cmpx_gt_i64_e64 s[16:17], v[1:2]
	s_cbranch_execz .LBB28_200
; %bb.199:                              ;   in Loop: Header=BB28_147 Depth=1
	s_clause 0x2
	scratch_load_b32 v1, off, off offset:132
	scratch_load_b32 v2, off, off offset:136
	scratch_load_b32 v3, off, off offset:140
	s_waitcnt vmcnt(2)
	v_add_co_u32 v1, vcc_lo, v1, v131
	s_waitcnt vmcnt(1)
	v_add_co_ci_u32_e32 v2, vcc_lo, v2, v132, vcc_lo
	s_waitcnt vmcnt(0)
	v_add_co_u32 v143, vcc_lo, v3, v131
	scratch_load_b32 v3, off, off offset:144 ; 4-byte Folded Reload
	s_waitcnt vmcnt(0)
	v_add_co_ci_u32_e32 v144, vcc_lo, v3, v132, vcc_lo
	global_load_b64 v[223:224], v[1:2], off
	global_load_b64 v[243:244], v[143:144], off
.LBB28_200:                             ;   in Loop: Header=BB28_147 Depth=1
	s_or_b32 exec_lo, exec_lo, s7
	v_mov_b32_e32 v231, 0
	v_mov_b32_e32 v232, 0
	v_add_co_u32 v1, vcc_lo, v133, 25
	v_add_co_ci_u32_e32 v2, vcc_lo, 0, v134, vcc_lo
	s_delay_alu instid0(VALU_DEP_3) | instskip(SKIP_2) | instid1(VALU_DEP_3)
	v_dual_mov_b32 v238, v232 :: v_dual_mov_b32 v237, v231
	v_dual_mov_b32 v248, v232 :: v_dual_mov_b32 v247, v231
	s_mov_b32 s7, exec_lo
	;; [unrolled: 53-line block ×4, first 2 shown]
	v_cmpx_gt_i64_e64 s[16:17], v[1:2]
	s_cbranch_execz .LBB28_210
; %bb.209:                              ;   in Loop: Header=BB28_147 Depth=1
	s_clause 0x2
	scratch_load_b32 v1, off, off offset:48
	scratch_load_b32 v2, off, off offset:52
	;; [unrolled: 1-line block ×3, first 2 shown]
	s_waitcnt vmcnt(2)
	v_add_co_u32 v1, vcc_lo, v1, v131
	s_waitcnt vmcnt(1)
	v_add_co_ci_u32_e32 v2, vcc_lo, v2, v132, vcc_lo
	s_waitcnt vmcnt(0)
	v_add_co_u32 v173, vcc_lo, v3, v131
	scratch_load_b32 v3, off, off offset:60 ; 4-byte Folded Reload
	s_waitcnt vmcnt(0)
	v_add_co_ci_u32_e32 v174, vcc_lo, v3, v132, vcc_lo
	global_load_b64 v[143:144], v[1:2], off
	global_load_b64 v[173:174], v[173:174], off
.LBB28_210:                             ;   in Loop: Header=BB28_147 Depth=1
	s_or_b32 exec_lo, exec_lo, s7
	v_add_co_u32 v1, vcc_lo, v133, 30
	v_add_co_ci_u32_e32 v2, vcc_lo, 0, v134, vcc_lo
	v_dual_mov_b32 v175, v253 :: v_dual_mov_b32 v176, v254
	s_mov_b32 s7, exec_lo
	s_delay_alu instid0(VALU_DEP_2)
	v_cmpx_gt_i64_e64 s[16:17], v[1:2]
	s_cbranch_execz .LBB28_212
; %bb.211:                              ;   in Loop: Header=BB28_147 Depth=1
	s_clause 0x2
	scratch_load_b32 v1, off, off offset:32
	scratch_load_b32 v2, off, off offset:36
	;; [unrolled: 1-line block ×3, first 2 shown]
	s_waitcnt vmcnt(2)
	v_add_co_u32 v1, vcc_lo, v1, v131
	s_waitcnt vmcnt(1)
	v_add_co_ci_u32_e32 v2, vcc_lo, v2, v132, vcc_lo
	s_waitcnt vmcnt(0)
	v_add_co_u32 v175, vcc_lo, v3, v131
	scratch_load_b32 v3, off, off offset:44 ; 4-byte Folded Reload
	s_waitcnt vmcnt(0)
	v_add_co_ci_u32_e32 v176, vcc_lo, v3, v132, vcc_lo
	global_load_b64 v[253:254], v[1:2], off
	global_load_b64 v[175:176], v[175:176], off
.LBB28_212:                             ;   in Loop: Header=BB28_147 Depth=1
	s_or_b32 exec_lo, exec_lo, s7
	v_add_co_u32 v1, vcc_lo, v133, 31
	v_add_co_ci_u32_e32 v2, vcc_lo, 0, v134, vcc_lo
	v_mov_b32_e32 v251, 0
	v_mov_b32_e32 v252, 0
	s_delay_alu instid0(VALU_DEP_3) | instskip(NEXT) | instid1(VALU_DEP_2)
	v_cmp_gt_i64_e32 vcc_lo, s[16:17], v[1:2]
	v_dual_mov_b32 v1, v251 :: v_dual_mov_b32 v2, v252
	s_and_saveexec_b32 s7, vcc_lo
	s_cbranch_execz .LBB28_214
; %bb.213:                              ;   in Loop: Header=BB28_147 Depth=1
	s_clause 0x2
	scratch_load_b32 v1, off, off offset:16
	scratch_load_b32 v2, off, off offset:20
	scratch_load_b32 v3, off, off offset:24
	s_waitcnt vmcnt(2)
	v_add_co_u32 v1, vcc_lo, v1, v131
	s_waitcnt vmcnt(1)
	v_add_co_ci_u32_e32 v2, vcc_lo, v2, v132, vcc_lo
	s_waitcnt vmcnt(0)
	v_add_co_u32 v147, vcc_lo, v3, v131
	scratch_load_b32 v3, off, off offset:28 ; 4-byte Folded Reload
	s_waitcnt vmcnt(0)
	v_add_co_ci_u32_e32 v148, vcc_lo, v3, v132, vcc_lo
	global_load_b64 v[251:252], v[1:2], off
	global_load_b64 v[1:2], v[147:148], off
.LBB28_214:                             ;   in Loop: Header=BB28_147 Depth=1
	s_or_b32 exec_lo, exec_lo, s7
	scratch_load_b64 v[3:4], off, off offset:428 ; 8-byte Folded Reload
	ds_bpermute_b32 v147, v130, v135
	ds_bpermute_b32 v148, v130, v136
	ds_bpermute_b32 v155, v130, v135 offset:4
	ds_bpermute_b32 v156, v130, v136 offset:4
	ds_bpermute_b32 v151, v130, v137
	ds_bpermute_b32 v152, v130, v138
	s_waitcnt vmcnt(0) lgkmcnt(4)
	v_add_f64 v[147:148], v[3:4], -v[147:148]
	scratch_load_b64 v[3:4], off, off offset:448 ; 8-byte Folded Reload
	v_mul_f64 v[147:148], v[139:140], v[147:148]
	s_waitcnt vmcnt(0) lgkmcnt(2)
	v_add_f64 v[155:156], v[3:4], -v[155:156]
	scratch_load_b64 v[3:4], off, off offset:8 ; 8-byte Folded Reload
	s_waitcnt vmcnt(0) lgkmcnt(0)
	v_fma_f64 v[147:148], v[147:148], v[151:152], v[3:4]
	scratch_load_b64 v[3:4], off, off offset:440 ; 8-byte Folded Reload
	v_mul_f64 v[151:152], v[201:202], v[155:156]
	ds_bpermute_b32 v155, v130, v137 offset:4
	ds_bpermute_b32 v156, v130, v138 offset:4
	s_waitcnt lgkmcnt(0)
	v_fma_f64 v[147:148], v[151:152], v[155:156], v[147:148]
	ds_bpermute_b32 v151, v130, v135 offset:8
	ds_bpermute_b32 v152, v130, v136 offset:8
	ds_bpermute_b32 v155, v130, v137 offset:8
	ds_bpermute_b32 v156, v130, v138 offset:8
	s_waitcnt vmcnt(0) lgkmcnt(2)
	v_add_f64 v[151:152], v[3:4], -v[151:152]
	scratch_load_b64 v[3:4], off, off offset:456 ; 8-byte Folded Reload
	v_mul_f64 v[151:152], v[141:142], v[151:152]
	s_waitcnt lgkmcnt(0)
	s_delay_alu instid0(VALU_DEP_1)
	v_fma_f64 v[147:148], v[151:152], v[155:156], v[147:148]
	ds_bpermute_b32 v151, v130, v135 offset:12
	ds_bpermute_b32 v152, v130, v136 offset:12
	ds_bpermute_b32 v155, v130, v137 offset:12
	ds_bpermute_b32 v156, v130, v138 offset:12
	s_waitcnt vmcnt(0) lgkmcnt(2)
	v_add_f64 v[151:152], v[3:4], -v[151:152]
	scratch_load_b64 v[3:4], off, off offset:464 ; 8-byte Folded Reload
	v_mul_f64 v[151:152], v[203:204], v[151:152]
	s_waitcnt lgkmcnt(0)
	s_delay_alu instid0(VALU_DEP_1)
	;; [unrolled: 11-line block ×5, first 2 shown]
	v_fma_f64 v[147:148], v[151:152], v[155:156], v[147:148]
	ds_bpermute_b32 v151, v130, v135 offset:28
	ds_bpermute_b32 v152, v130, v136 offset:28
	;; [unrolled: 1-line block ×4, first 2 shown]
	s_waitcnt vmcnt(0) lgkmcnt(2)
	v_add_f64 v[151:152], v[3:4], -v[151:152]
	scratch_load_b64 v[3:4], off, off offset:420 ; 8-byte Folded Reload
	s_waitcnt vmcnt(0)
	v_mul_f64 v[151:152], v[3:4], v[151:152]
	s_waitcnt lgkmcnt(0)
	s_delay_alu instid0(VALU_DEP_1)
	v_fma_f64 v[147:148], v[151:152], v[155:156], v[147:148]
	scratch_load_b64 v[155:156], off, off offset:496 ; 8-byte Folded Reload
	ds_bpermute_b32 v151, v130, v135 offset:32
	ds_bpermute_b32 v152, v130, v136 offset:32
	s_waitcnt vmcnt(0) lgkmcnt(0)
	v_add_f64 v[151:152], v[155:156], -v[151:152]
	ds_bpermute_b32 v155, v130, v137 offset:32
	ds_bpermute_b32 v156, v130, v138 offset:32
	v_mul_f64 v[151:152], v[153:154], v[151:152]
	s_waitcnt lgkmcnt(0)
	s_delay_alu instid0(VALU_DEP_1)
	v_fma_f64 v[147:148], v[151:152], v[155:156], v[147:148]
	scratch_load_b64 v[155:156], off, off offset:504 ; 8-byte Folded Reload
	ds_bpermute_b32 v151, v130, v135 offset:36
	ds_bpermute_b32 v152, v130, v136 offset:36
	s_waitcnt vmcnt(0) lgkmcnt(0)
	v_add_f64 v[151:152], v[155:156], -v[151:152]
	ds_bpermute_b32 v155, v130, v137 offset:36
	ds_bpermute_b32 v156, v130, v138 offset:36
	;; [unrolled: 11-line block ×10, first 2 shown]
	v_mul_f64 v[151:152], v[195:196], v[151:152]
	s_waitcnt lgkmcnt(0)
	s_delay_alu instid0(VALU_DEP_1) | instskip(SKIP_3) | instid1(VALU_DEP_1)
	v_fma_f64 v[147:148], v[151:152], v[155:156], v[147:148]
	scratch_load_b64 v[151:152], off, off   ; 8-byte Folded Reload
	s_waitcnt vmcnt(0)
	v_add_f64 v[139:140], v[151:152], v[139:140]
	v_add_f64 v[139:140], v[139:140], v[201:202]
	s_delay_alu instid0(VALU_DEP_1) | instskip(SKIP_3) | instid1(VALU_DEP_1)
	v_add_f64 v[139:140], v[139:140], v[141:142]
	ds_bpermute_b32 v141, v130, v135 offset:72
	ds_bpermute_b32 v142, v130, v136 offset:72
	v_add_f64 v[139:140], v[139:140], v[203:204]
	v_add_f64 v[139:140], v[139:140], v[145:146]
	ds_bpermute_b32 v145, v130, v135 offset:76
	ds_bpermute_b32 v146, v130, v136 offset:76
	v_add_f64 v[139:140], v[139:140], v[207:208]
	s_delay_alu instid0(VALU_DEP_1)
	v_add_f64 v[139:140], v[139:140], v[149:150]
	ds_bpermute_b32 v149, v130, v135 offset:80
	ds_bpermute_b32 v150, v130, v136 offset:80
	v_add_f64 v[139:140], v[139:140], v[3:4]
	scratch_load_b64 v[3:4], off, off offset:536 ; 8-byte Folded Reload
	v_add_f64 v[139:140], v[139:140], v[153:154]
	s_delay_alu instid0(VALU_DEP_1) | instskip(NEXT) | instid1(VALU_DEP_1)
	v_add_f64 v[139:140], v[139:140], v[159:160]
	v_add_f64 v[139:140], v[139:140], v[157:158]
	s_delay_alu instid0(VALU_DEP_1) | instskip(NEXT) | instid1(VALU_DEP_1)
	v_add_f64 v[139:140], v[139:140], v[163:164]
	;; [unrolled: 3-line block ×3, first 2 shown]
	v_add_f64 v[139:140], v[139:140], v[165:166]
	s_delay_alu instid0(VALU_DEP_1)
	v_add_f64 v[139:140], v[139:140], v[181:182]
	s_waitcnt vmcnt(0) lgkmcnt(4)
	v_add_f64 v[141:142], v[3:4], -v[141:142]
	scratch_load_b64 v[3:4], off, off offset:568 ; 8-byte Folded Reload
	v_add_f64 v[139:140], v[139:140], v[177:178]
	v_mul_f64 v[141:142], v[189:190], v[141:142]
	s_delay_alu instid0(VALU_DEP_2) | instskip(NEXT) | instid1(VALU_DEP_1)
	v_add_f64 v[139:140], v[139:140], v[195:196]
	v_add_f64 v[139:140], v[139:140], v[189:190]
	s_delay_alu instid0(VALU_DEP_1) | instskip(NEXT) | instid1(VALU_DEP_1)
	v_add_f64 v[139:140], v[139:140], v[205:206]
	v_add_f64 v[139:140], v[139:140], v[199:200]
	s_delay_alu instid0(VALU_DEP_1) | instskip(NEXT) | instid1(VALU_DEP_1)
	v_add_f64 v[139:140], v[139:140], v[219:220]
	v_add_f64 v[139:140], v[139:140], v[211:212]
	s_delay_alu instid0(VALU_DEP_1)
	v_add_f64 v[139:140], v[139:140], v[229:230]
	s_waitcnt vmcnt(0) lgkmcnt(2)
	v_add_f64 v[145:146], v[3:4], -v[145:146]
	scratch_load_b64 v[3:4], off, off offset:592 ; 8-byte Folded Reload
	v_add_f64 v[139:140], v[139:140], v[223:224]
	v_mul_f64 v[145:146], v[205:206], v[145:146]
	s_delay_alu instid0(VALU_DEP_2) | instskip(NEXT) | instid1(VALU_DEP_1)
	v_add_f64 v[139:140], v[139:140], v[237:238]
	v_add_f64 v[139:140], v[139:140], v[231:232]
	s_delay_alu instid0(VALU_DEP_1) | instskip(NEXT) | instid1(VALU_DEP_1)
	v_add_f64 v[139:140], v[139:140], v[245:246]
	v_add_f64 v[139:140], v[139:140], v[239:240]
	s_delay_alu instid0(VALU_DEP_1) | instskip(NEXT) | instid1(VALU_DEP_1)
	v_add_f64 v[139:140], v[139:140], v[143:144]
	v_add_f64 v[139:140], v[139:140], v[253:254]
	s_waitcnt vmcnt(0) lgkmcnt(0)
	v_add_f64 v[3:4], v[3:4], -v[149:150]
	ds_bpermute_b32 v149, v130, v137 offset:72
	ds_bpermute_b32 v150, v130, v138 offset:72
	s_waitcnt lgkmcnt(0)
	v_fma_f64 v[141:142], v[141:142], v[149:150], v[147:148]
	ds_bpermute_b32 v147, v130, v135 offset:84
	ds_bpermute_b32 v148, v130, v136 offset:84
	;; [unrolled: 1-line block ×4, first 2 shown]
	v_mul_f64 v[3:4], v[199:200], v[3:4]
	s_waitcnt lgkmcnt(2)
	v_add_f64 v[147:148], v[233:234], -v[147:148]
	s_waitcnt lgkmcnt(0)
	v_fma_f64 v[141:142], v[145:146], v[149:150], v[141:142]
	ds_bpermute_b32 v145, v130, v135 offset:88
	ds_bpermute_b32 v146, v130, v136 offset:88
	ds_bpermute_b32 v149, v130, v137 offset:80
	ds_bpermute_b32 v150, v130, v138 offset:80
	s_waitcnt lgkmcnt(2)
	v_add_f64 v[145:146], v[235:236], -v[145:146]
	v_mul_f64 v[147:148], v[219:220], v[147:148]
	s_waitcnt lgkmcnt(0)
	v_fma_f64 v[3:4], v[3:4], v[149:150], v[141:142]
	ds_bpermute_b32 v141, v130, v135 offset:92
	ds_bpermute_b32 v142, v130, v136 offset:92
	ds_bpermute_b32 v149, v130, v137 offset:84
	ds_bpermute_b32 v150, v130, v138 offset:84
	s_waitcnt lgkmcnt(2)
	v_add_f64 v[141:142], v[241:242], -v[141:142]
	v_mul_f64 v[145:146], v[211:212], v[145:146]
	;; [unrolled: 9-line block ×8, first 2 shown]
	s_waitcnt lgkmcnt(0)
	v_fma_f64 v[3:4], v[147:148], v[149:150], v[3:4]
	ds_bpermute_b32 v147, v130, v135 offset:120
	ds_bpermute_b32 v148, v130, v136 offset:120
	;; [unrolled: 1-line block ×6, first 2 shown]
	s_waitcnt lgkmcnt(4)
	v_add_f64 v[147:148], v[175:176], -v[147:148]
	v_mul_f64 v[141:142], v[143:144], v[141:142]
	s_waitcnt lgkmcnt(2)
	v_fma_f64 v[3:4], v[145:146], v[149:150], v[3:4]
	ds_bpermute_b32 v145, v130, v137 offset:116
	ds_bpermute_b32 v146, v130, v138 offset:116
	v_mul_f64 v[147:148], v[253:254], v[147:148]
	s_waitcnt lgkmcnt(0)
	v_fma_f64 v[3:4], v[141:142], v[145:146], v[3:4]
	ds_bpermute_b32 v141, v130, v137 offset:120
	ds_bpermute_b32 v142, v130, v138 offset:120
	;; [unrolled: 1-line block ×4, first 2 shown]
	s_waitcnt lgkmcnt(2)
	v_fma_f64 v[161:162], v[147:148], v[141:142], v[3:4]
	s_branch .LBB28_146
.LBB28_215:                             ;   in Loop: Header=BB28_147 Depth=1
                                        ; implicit-def: $vgpr137_vgpr138
                                        ; implicit-def: $vgpr251_vgpr252
                                        ; implicit-def: $vgpr1_vgpr2
                                        ; implicit-def: $vgpr135
                                        ; implicit-def: $vgpr139_vgpr140
                                        ; implicit-def: $vgpr161_vgpr162
	s_cbranch_execz .LBB28_146
; %bb.216:                              ;   in Loop: Header=BB28_147 Depth=1
	s_load_b32 s7, s[4:5], 0x0
	v_mov_b32_e32 v135, 0
	v_mov_b32_e32 v136, 0
	s_waitcnt lgkmcnt(0)
	s_cmp_lt_u32 s14, s7
	s_cselect_b32 s7, 12, 18
	s_delay_alu instid0(SALU_CYCLE_1)
	s_add_u32 s24, s4, s7
	s_addc_u32 s25, s5, 0
	global_load_u16 v1, v130, s[24:25]
	scratch_load_b32 v2, off, off offset:436 ; 4-byte Folded Reload
	s_mov_b32 s7, exec_lo
	s_waitcnt vmcnt(0)
	v_mad_u32_u24 v1, v129, v1, v2
	s_delay_alu instid0(VALU_DEP_1) | instskip(NEXT) | instid1(VALU_DEP_1)
	v_and_b32_e32 v1, 31, v1
	v_add_co_u32 v1, vcc_lo, v133, v1
	v_add_co_ci_u32_e32 v2, vcc_lo, 0, v134, vcc_lo
	v_dual_mov_b32 v133, v135 :: v_dual_mov_b32 v134, v136
	s_delay_alu instid0(VALU_DEP_2)
	v_cmpx_gt_i64_e64 s[16:17], v[1:2]
	s_cbranch_execz .LBB28_145
; %bb.217:                              ;   in Loop: Header=BB28_147 Depth=1
	v_lshlrev_b64 v[1:2], 3, v[1:2]
	s_delay_alu instid0(VALU_DEP_1) | instskip(NEXT) | instid1(VALU_DEP_2)
	v_add_co_u32 v3, vcc_lo, s8, v1
	v_add_co_ci_u32_e32 v4, vcc_lo, s9, v2, vcc_lo
	v_add_co_u32 v1, vcc_lo, s10, v1
	v_add_co_ci_u32_e32 v2, vcc_lo, s11, v2, vcc_lo
	global_load_b64 v[133:134], v[3:4], off
	global_load_b64 v[135:136], v[1:2], off
	s_branch .LBB28_145
.LBB28_218:
	scratch_load_b32 v0, off, off offset:600 ; 4-byte Folded Reload
.LBB28_219:
	s_mov_b32 s15, 0
	s_mov_b32 s3, exec_lo
	s_lshl_b64 s[4:5], s[14:15], 6
	s_waitcnt vmcnt(0)
	v_dual_mov_b32 v2, s5 :: v_dual_and_b32 v1, 0x3ff, v0
	s_delay_alu instid0(VALU_DEP_1) | instskip(NEXT) | instid1(VALU_DEP_1)
	v_or_b32_e32 v1, s4, v1
	v_cmpx_gt_i64_e64 s[18:19], v[1:2]
	s_cbranch_execz .LBB28_224
; %bb.220:
	s_clause 0x1
	s_load_b32 s3, s[0:1], 0x4c
	s_load_b128 s[4:7], s[0:1], 0x30
	v_bfe_u32 v3, v0, 10, 10
	v_mov_b32_e32 v4, 0
	v_lshlrev_b64 v[0:1], 3, v[1:2]
	s_waitcnt lgkmcnt(0)
	s_lshr_b32 s0, s3, 16
	s_cmp_eq_u64 s[4:5], 0
	v_mad_u64_u32 v[5:6], null, s0, s2, v[3:4]
	s_delay_alu instid0(VALU_DEP_1) | instskip(NEXT) | instid1(VALU_DEP_2)
	v_mul_lo_u32 v3, v6, s18
	v_mul_lo_u32 v4, v5, s19
	s_cbranch_scc1 .LBB28_222
; %bb.221:
	scratch_load_b64 v[8:9], off, off offset:8 ; 8-byte Folded Reload
	v_mad_u64_u32 v[6:7], null, v5, s18, 0
	s_delay_alu instid0(VALU_DEP_1) | instskip(NEXT) | instid1(VALU_DEP_1)
	v_add3_u32 v7, v7, v4, v3
	v_lshlrev_b64 v[6:7], 3, v[6:7]
	s_delay_alu instid0(VALU_DEP_1) | instskip(NEXT) | instid1(VALU_DEP_2)
	v_add_co_u32 v2, vcc_lo, s4, v6
	v_add_co_ci_u32_e32 v7, vcc_lo, s5, v7, vcc_lo
	s_delay_alu instid0(VALU_DEP_2) | instskip(NEXT) | instid1(VALU_DEP_2)
	v_add_co_u32 v6, vcc_lo, v2, v0
	v_add_co_ci_u32_e32 v7, vcc_lo, v7, v1, vcc_lo
	s_waitcnt vmcnt(0)
	global_store_b64 v[6:7], v[8:9], off
.LBB28_222:
	s_cmp_eq_u64 s[6:7], 0
	s_cbranch_scc1 .LBB28_224
; %bb.223:
	v_mad_u64_u32 v[6:7], null, v5, s18, 0
	s_delay_alu instid0(VALU_DEP_1) | instskip(NEXT) | instid1(VALU_DEP_1)
	v_add3_u32 v7, v7, v4, v3
	v_lshlrev_b64 v[2:3], 3, v[6:7]
	s_delay_alu instid0(VALU_DEP_1) | instskip(NEXT) | instid1(VALU_DEP_2)
	v_add_co_u32 v2, vcc_lo, s6, v2
	v_add_co_ci_u32_e32 v3, vcc_lo, s7, v3, vcc_lo
	s_delay_alu instid0(VALU_DEP_2) | instskip(NEXT) | instid1(VALU_DEP_2)
	v_add_co_u32 v0, vcc_lo, v2, v0
	v_add_co_ci_u32_e32 v1, vcc_lo, v3, v1, vcc_lo
	scratch_load_b64 v[2:3], off, off       ; 8-byte Folded Reload
	s_waitcnt vmcnt(0)
	global_store_b64 v[0:1], v[2:3], off
.LBB28_224:
	s_endpgm
	.section	.rodata,"a",@progbits
	.p2align	6, 0x0
	.amdhsa_kernel _ZN2at6native12_GLOBAL__N_135GammaBetaBackwardCUDAKernelTemplateIddLj64ELj1ELj32ELb1ELb0ELb0EEEvllPKT_S5_PKT0_S8_PS3_S9_
		.amdhsa_group_segment_fixed_size 0
		.amdhsa_private_segment_fixed_size 608
		.amdhsa_kernarg_size 320
		.amdhsa_user_sgpr_count 14
		.amdhsa_user_sgpr_dispatch_ptr 0
		.amdhsa_user_sgpr_queue_ptr 0
		.amdhsa_user_sgpr_kernarg_segment_ptr 1
		.amdhsa_user_sgpr_dispatch_id 0
		.amdhsa_user_sgpr_private_segment_size 0
		.amdhsa_wavefront_size32 1
		.amdhsa_uses_dynamic_stack 0
		.amdhsa_enable_private_segment 1
		.amdhsa_system_sgpr_workgroup_id_x 1
		.amdhsa_system_sgpr_workgroup_id_y 1
		.amdhsa_system_sgpr_workgroup_id_z 0
		.amdhsa_system_sgpr_workgroup_info 0
		.amdhsa_system_vgpr_workitem_id 1
		.amdhsa_next_free_vgpr 256
		.amdhsa_next_free_sgpr 32
		.amdhsa_reserve_vcc 1
		.amdhsa_float_round_mode_32 0
		.amdhsa_float_round_mode_16_64 0
		.amdhsa_float_denorm_mode_32 3
		.amdhsa_float_denorm_mode_16_64 3
		.amdhsa_dx10_clamp 1
		.amdhsa_ieee_mode 1
		.amdhsa_fp16_overflow 0
		.amdhsa_workgroup_processor_mode 1
		.amdhsa_memory_ordered 1
		.amdhsa_forward_progress 0
		.amdhsa_shared_vgpr_count 0
		.amdhsa_exception_fp_ieee_invalid_op 0
		.amdhsa_exception_fp_denorm_src 0
		.amdhsa_exception_fp_ieee_div_zero 0
		.amdhsa_exception_fp_ieee_overflow 0
		.amdhsa_exception_fp_ieee_underflow 0
		.amdhsa_exception_fp_ieee_inexact 0
		.amdhsa_exception_int_div_zero 0
	.end_amdhsa_kernel
	.section	.text._ZN2at6native12_GLOBAL__N_135GammaBetaBackwardCUDAKernelTemplateIddLj64ELj1ELj32ELb1ELb0ELb0EEEvllPKT_S5_PKT0_S8_PS3_S9_,"axG",@progbits,_ZN2at6native12_GLOBAL__N_135GammaBetaBackwardCUDAKernelTemplateIddLj64ELj1ELj32ELb1ELb0ELb0EEEvllPKT_S5_PKT0_S8_PS3_S9_,comdat
.Lfunc_end28:
	.size	_ZN2at6native12_GLOBAL__N_135GammaBetaBackwardCUDAKernelTemplateIddLj64ELj1ELj32ELb1ELb0ELb0EEEvllPKT_S5_PKT0_S8_PS3_S9_, .Lfunc_end28-_ZN2at6native12_GLOBAL__N_135GammaBetaBackwardCUDAKernelTemplateIddLj64ELj1ELj32ELb1ELb0ELb0EEEvllPKT_S5_PKT0_S8_PS3_S9_
                                        ; -- End function
	.section	.AMDGPU.csdata,"",@progbits
; Kernel info:
; codeLenInByte = 35728
; NumSgprs: 34
; NumVgprs: 256
; ScratchSize: 608
; MemoryBound: 0
; FloatMode: 240
; IeeeMode: 1
; LDSByteSize: 0 bytes/workgroup (compile time only)
; SGPRBlocks: 4
; VGPRBlocks: 31
; NumSGPRsForWavesPerEU: 34
; NumVGPRsForWavesPerEU: 256
; Occupancy: 5
; WaveLimiterHint : 0
; COMPUTE_PGM_RSRC2:SCRATCH_EN: 1
; COMPUTE_PGM_RSRC2:USER_SGPR: 14
; COMPUTE_PGM_RSRC2:TRAP_HANDLER: 0
; COMPUTE_PGM_RSRC2:TGID_X_EN: 1
; COMPUTE_PGM_RSRC2:TGID_Y_EN: 1
; COMPUTE_PGM_RSRC2:TGID_Z_EN: 0
; COMPUTE_PGM_RSRC2:TIDIG_COMP_CNT: 1
	.section	.text._ZN2at6native12_GLOBAL__N_135GammaBetaBackwardCUDAKernelTemplateIddLj64ELj1ELj8ELb1ELb1ELb0EEEvllPKT_S5_PKT0_S8_PS3_S9_,"axG",@progbits,_ZN2at6native12_GLOBAL__N_135GammaBetaBackwardCUDAKernelTemplateIddLj64ELj1ELj8ELb1ELb1ELb0EEEvllPKT_S5_PKT0_S8_PS3_S9_,comdat
	.globl	_ZN2at6native12_GLOBAL__N_135GammaBetaBackwardCUDAKernelTemplateIddLj64ELj1ELj8ELb1ELb1ELb0EEEvllPKT_S5_PKT0_S8_PS3_S9_ ; -- Begin function _ZN2at6native12_GLOBAL__N_135GammaBetaBackwardCUDAKernelTemplateIddLj64ELj1ELj8ELb1ELb1ELb0EEEvllPKT_S5_PKT0_S8_PS3_S9_
	.p2align	8
	.type	_ZN2at6native12_GLOBAL__N_135GammaBetaBackwardCUDAKernelTemplateIddLj64ELj1ELj8ELb1ELb1ELb0EEEvllPKT_S5_PKT0_S8_PS3_S9_,@function
_ZN2at6native12_GLOBAL__N_135GammaBetaBackwardCUDAKernelTemplateIddLj64ELj1ELj8ELb1ELb1ELb0EEEvllPKT_S5_PKT0_S8_PS3_S9_: ; @_ZN2at6native12_GLOBAL__N_135GammaBetaBackwardCUDAKernelTemplateIddLj64ELj1ELj8ELb1ELb1ELb0EEEvllPKT_S5_PKT0_S8_PS3_S9_
; %bb.0:
	s_load_b128 s[16:19], s[0:1], 0x0
	s_mov_b32 s13, 0
	s_lshl_b32 s12, s15, 3
	v_bfe_u32 v16, v0, 10, 10
	s_mov_b32 s2, s15
	s_waitcnt lgkmcnt(0)
	v_cmp_lt_i64_e64 s3, s[12:13], s[16:17]
	s_delay_alu instid0(VALU_DEP_1)
	s_and_b32 vcc_lo, exec_lo, s3
	s_cbranch_vccnz .LBB29_2
; %bb.1:
	v_bfe_u32 v1, v0, 10, 10
	s_add_u32 s24, s0, 64
	s_addc_u32 s25, s1, 0
	s_mov_b64 s[4:5], 0
	s_mov_b32 s3, s13
	s_branch .LBB29_3
.LBB29_2:
	s_mov_b32 s3, -1
                                        ; implicit-def: $sgpr4_sgpr5
                                        ; implicit-def: $sgpr24_sgpr25
                                        ; implicit-def: $vgpr1
.LBB29_3:
	s_load_b128 s[20:23], s[0:1], 0x30
	v_mov_b32_e32 v11, s5
	v_dual_mov_b32 v9, s5 :: v_dual_mov_b32 v8, s4
	v_dual_mov_b32 v10, s4 :: v_dual_and_b32 v17, 0x3ff, v0
	s_and_not1_b32 vcc_lo, exec_lo, s3
	s_cbranch_vccnz .LBB29_11
; %bb.4:
	s_clause 0x2
	s_load_b32 s3, s[0:1], 0x4c
	s_load_b32 s15, s[0:1], 0x44
	s_load_b256 s[4:11], s[0:1], 0x10
	v_dual_mov_b32 v1, 0 :: v_dual_lshlrev_b32 v0, 3, v16
	s_add_u32 s24, s0, 64
	s_addc_u32 s25, s1, 0
	v_dual_mov_b32 v18, 8 :: v_dual_mov_b32 v19, 4
	s_delay_alu instid0(VALU_DEP_2) | instskip(NEXT) | instid1(VALU_DEP_1)
	v_add_co_u32 v2, s0, v0, s12
	v_add_co_ci_u32_e64 v3, null, 0, 0, s0
	v_lshl_add_u32 v0, s14, 6, v17
	s_delay_alu instid0(VALU_DEP_3) | instskip(SKIP_1) | instid1(VALU_DEP_4)
	v_mul_lo_u32 v6, s19, v2
	v_mad_u64_u32 v[4:5], null, s18, v2, 0
	v_mul_lo_u32 v7, s18, v3
	v_dual_mov_b32 v20, 12 :: v_dual_mov_b32 v21, 16
	s_waitcnt lgkmcnt(0)
	s_and_b32 s0, s3, 0xffff
	s_lshl_b32 s26, s15, 3
	v_mad_u32_u24 v8, v16, s0, v17
	s_mul_i32 s1, s19, s26
	s_mul_hi_u32 s3, s18, s26
	v_add3_u32 v5, v5, v7, v6
	v_mov_b32_e32 v6, 0
	v_dual_mov_b32 v7, 0 :: v_dual_and_b32 v12, 31, v8
	v_lshlrev_b64 v[8:9], 3, v[0:1]
	s_delay_alu instid0(VALU_DEP_4) | instskip(SKIP_1) | instid1(VALU_DEP_4)
	v_lshlrev_b64 v[10:11], 3, v[4:5]
	v_mov_b32_e32 v24, 28
	v_add_co_u32 v2, vcc_lo, v2, v12
	v_add_co_ci_u32_e32 v3, vcc_lo, 0, v3, vcc_lo
	s_delay_alu instid0(VALU_DEP_4) | instskip(SKIP_2) | instid1(VALU_DEP_4)
	v_add_co_u32 v0, vcc_lo, v10, v8
	v_add_co_ci_u32_e32 v25, vcc_lo, v11, v9, vcc_lo
	v_mov_b32_e32 v11, v7
	v_lshlrev_b64 v[4:5], 3, v[2:3]
	v_dual_mov_b32 v10, v6 :: v_dual_mov_b32 v9, v7
	v_dual_mov_b32 v22, 20 :: v_dual_mov_b32 v23, 24
	v_cmp_gt_u32_e64 s0, 8, v12
	v_mov_b32_e32 v8, v6
	s_mov_b32 s27, 0
	s_add_i32 s31, s3, s1
	s_mul_i32 s30, s18, s26
	s_lshl_b64 s[28:29], s[26:27], 3
	s_lshl_b64 s[30:31], s[30:31], 3
	;; [unrolled: 1-line block ×3, first 2 shown]
	s_branch .LBB29_7
.LBB29_5:                               ;   in Loop: Header=BB29_7 Depth=1
	s_or_b32 exec_lo, exec_lo, s3
.LBB29_6:                               ;   in Loop: Header=BB29_7 Depth=1
	s_delay_alu instid0(SALU_CYCLE_1)
	s_or_b32 exec_lo, exec_lo, s1
	v_add_co_u32 v26, vcc_lo, s6, v0
	v_add_co_ci_u32_e32 v27, vcc_lo, s7, v25, vcc_lo
	s_waitcnt vmcnt(1)
	ds_bpermute_b32 v58, v1, v14
	ds_bpermute_b32 v59, v1, v15
	s_waitcnt vmcnt(0)
	ds_bpermute_b32 v60, v1, v12
	global_load_b64 v[28:29], v[26:27], off
	v_add_co_u32 v26, vcc_lo, v26, s34
	v_add_co_ci_u32_e32 v27, vcc_lo, s35, v27, vcc_lo
	v_add_co_u32 v30, vcc_lo, s4, v0
	v_add_co_ci_u32_e32 v31, vcc_lo, s5, v25, vcc_lo
	global_load_b64 v[32:33], v[26:27], off
	global_load_b64 v[34:35], v[30:31], off
	v_add_co_u32 v26, vcc_lo, v26, s34
	v_add_co_ci_u32_e32 v27, vcc_lo, s35, v27, vcc_lo
	v_add_co_u32 v30, vcc_lo, v30, s34
	v_add_co_ci_u32_e32 v31, vcc_lo, s35, v31, vcc_lo
	global_load_b64 v[36:37], v[26:27], off
	;; [unrolled: 6-line block ×7, first 2 shown]
	global_load_b64 v[56:57], v[30:31], off
	v_add_co_u32 v30, vcc_lo, v30, s34
	v_add_co_ci_u32_e32 v31, vcc_lo, s35, v31, vcc_lo
	ds_bpermute_b32 v61, v1, v13
	v_add_co_u32 v4, vcc_lo, v4, s28
	global_load_b64 v[30:31], v[30:31], off
	s_add_u32 s12, s12, s26
	v_add_co_ci_u32_e32 v5, vcc_lo, s29, v5, vcc_lo
	s_addc_u32 s13, s13, 0
	v_add_co_u32 v2, vcc_lo, v2, s26
	v_cmp_lt_i64_e64 s1, s[12:13], s[16:17]
	v_add_co_ci_u32_e32 v3, vcc_lo, 0, v3, vcc_lo
	v_add_co_u32 v0, vcc_lo, v0, s30
	v_add_co_ci_u32_e32 v25, vcc_lo, s31, v25, vcc_lo
	s_delay_alu instid0(VALU_DEP_4)
	s_and_b32 vcc_lo, exec_lo, s1
	s_waitcnt vmcnt(15) lgkmcnt(2)
	v_add_f64 v[28:29], v[28:29], -v[58:59]
	ds_bpermute_b32 v58, v19, v14
	ds_bpermute_b32 v59, v19, v15
	s_waitcnt vmcnt(13)
	v_add_f64 v[8:9], v[8:9], v[34:35]
	s_waitcnt lgkmcnt(0)
	v_add_f64 v[32:33], v[32:33], -v[58:59]
	ds_bpermute_b32 v58, v18, v14
	ds_bpermute_b32 v59, v18, v15
	v_mul_f64 v[28:29], v[34:35], v[28:29]
	ds_bpermute_b32 v34, v19, v12
	ds_bpermute_b32 v35, v19, v13
	s_waitcnt vmcnt(12) lgkmcnt(2)
	v_add_f64 v[36:37], v[36:37], -v[58:59]
	s_waitcnt vmcnt(11)
	v_add_f64 v[8:9], v[8:9], v[38:39]
	v_mul_f64 v[32:33], v[38:39], v[32:33]
	v_fma_f64 v[10:11], v[28:29], v[60:61], v[10:11]
	ds_bpermute_b32 v28, v20, v14
	ds_bpermute_b32 v29, v20, v15
	s_waitcnt vmcnt(9)
	v_mul_f64 v[36:37], v[42:43], v[36:37]
	v_add_f64 v[8:9], v[8:9], v[42:43]
	s_waitcnt lgkmcnt(0)
	v_add_f64 v[28:29], v[40:41], -v[28:29]
	v_fma_f64 v[10:11], v[32:33], v[34:35], v[10:11]
	ds_bpermute_b32 v32, v21, v14
	ds_bpermute_b32 v33, v21, v15
	;; [unrolled: 1-line block ×4, first 2 shown]
	s_waitcnt vmcnt(7)
	v_add_f64 v[8:9], v[8:9], v[46:47]
	s_waitcnt lgkmcnt(2)
	v_add_f64 v[32:33], v[44:45], -v[32:33]
	v_mul_f64 v[28:29], v[46:47], v[28:29]
	s_waitcnt lgkmcnt(0)
	v_fma_f64 v[10:11], v[36:37], v[34:35], v[10:11]
	ds_bpermute_b32 v34, v22, v14
	ds_bpermute_b32 v35, v22, v15
	;; [unrolled: 1-line block ×4, first 2 shown]
	s_waitcnt vmcnt(5)
	v_add_f64 v[8:9], v[8:9], v[50:51]
	s_waitcnt lgkmcnt(2)
	v_add_f64 v[34:35], v[48:49], -v[34:35]
	v_mul_f64 v[32:33], v[50:51], v[32:33]
	s_waitcnt lgkmcnt(0)
	v_fma_f64 v[10:11], v[28:29], v[36:37], v[10:11]
	ds_bpermute_b32 v28, v23, v14
	ds_bpermute_b32 v29, v23, v15
	;; [unrolled: 1-line block ×6, first 2 shown]
	s_waitcnt vmcnt(3)
	v_add_f64 v[8:9], v[8:9], v[54:55]
	s_waitcnt lgkmcnt(4)
	v_add_f64 v[28:29], v[52:53], -v[28:29]
	v_mul_f64 v[34:35], v[54:55], v[34:35]
	s_waitcnt vmcnt(2) lgkmcnt(0)
	v_add_f64 v[14:15], v[26:27], -v[14:15]
	v_fma_f64 v[10:11], v[32:33], v[36:37], v[10:11]
	ds_bpermute_b32 v32, v22, v12
	ds_bpermute_b32 v33, v22, v13
	s_waitcnt vmcnt(1)
	v_add_f64 v[8:9], v[8:9], v[56:57]
	v_mul_f64 v[26:27], v[56:57], v[28:29]
	ds_bpermute_b32 v28, v23, v12
	ds_bpermute_b32 v29, v23, v13
	;; [unrolled: 1-line block ×3, first 2 shown]
	s_waitcnt vmcnt(0)
	v_mul_f64 v[14:15], v[30:31], v[14:15]
	ds_bpermute_b32 v13, v24, v13
	s_waitcnt lgkmcnt(4)
	v_fma_f64 v[10:11], v[34:35], v[32:33], v[10:11]
	v_add_f64 v[8:9], v[8:9], v[30:31]
	s_waitcnt lgkmcnt(2)
	s_delay_alu instid0(VALU_DEP_2) | instskip(SKIP_1) | instid1(VALU_DEP_1)
	v_fma_f64 v[10:11], v[26:27], v[28:29], v[10:11]
	s_waitcnt lgkmcnt(0)
	v_fma_f64 v[10:11], v[14:15], v[12:13], v[10:11]
	s_cbranch_vccz .LBB29_10
.LBB29_7:                               ; =>This Inner Loop Header: Depth=1
	v_dual_mov_b32 v13, v7 :: v_dual_mov_b32 v12, v6
	v_dual_mov_b32 v15, v7 :: v_dual_mov_b32 v14, v6
	s_and_saveexec_b32 s1, s0
	s_cbranch_execz .LBB29_6
; %bb.8:                                ;   in Loop: Header=BB29_7 Depth=1
	v_mov_b32_e32 v14, 0
	v_mov_b32_e32 v15, 0
	s_delay_alu instid0(VALU_DEP_2) | instskip(SKIP_1) | instid1(VALU_DEP_2)
	v_mov_b32_e32 v12, v14
	s_mov_b32 s3, exec_lo
	v_mov_b32_e32 v13, v15
	v_cmpx_gt_i64_e64 s[16:17], v[2:3]
	s_cbranch_execz .LBB29_5
; %bb.9:                                ;   in Loop: Header=BB29_7 Depth=1
	v_add_co_u32 v12, vcc_lo, s8, v4
	v_add_co_ci_u32_e32 v13, vcc_lo, s9, v5, vcc_lo
	v_add_co_u32 v26, vcc_lo, s10, v4
	v_add_co_ci_u32_e32 v27, vcc_lo, s11, v5, vcc_lo
	global_load_b64 v[14:15], v[12:13], off
	global_load_b64 v[12:13], v[26:27], off
	s_branch .LBB29_5
.LBB29_10:
	v_mov_b32_e32 v1, v16
.LBB29_11:
	s_load_b32 s0, s[24:25], 0xc
	v_mov_b32_e32 v2, 0
	s_mov_b32 s15, 0
	s_waitcnt lgkmcnt(0)
	s_lshr_b32 s0, s0, 16
	s_delay_alu instid0(VALU_DEP_1) | instid1(SALU_CYCLE_1)
	v_mad_u64_u32 v[3:4], null, s0, s2, v[1:2]
	s_lshl_b64 s[0:1], s[14:15], 6
	s_cmp_eq_u64 s[20:21], 0
	v_add_co_u32 v0, s0, s0, v17
	s_delay_alu instid0(VALU_DEP_1) | instskip(NEXT) | instid1(VALU_DEP_3)
	v_add_co_ci_u32_e64 v1, null, s1, 0, s0
	v_mul_lo_u32 v2, v4, s18
	s_delay_alu instid0(VALU_DEP_4) | instskip(NEXT) | instid1(VALU_DEP_3)
	v_mul_lo_u32 v4, v3, s19
	v_lshlrev_b64 v[0:1], 3, v[0:1]
	s_cbranch_scc1 .LBB29_13
; %bb.12:
	v_mad_u64_u32 v[5:6], null, v3, s18, 0
	s_delay_alu instid0(VALU_DEP_1) | instskip(NEXT) | instid1(VALU_DEP_1)
	v_add3_u32 v6, v6, v4, v2
	v_lshlrev_b64 v[5:6], 3, v[5:6]
	s_delay_alu instid0(VALU_DEP_1) | instskip(NEXT) | instid1(VALU_DEP_2)
	v_add_co_u32 v5, vcc_lo, s20, v5
	v_add_co_ci_u32_e32 v6, vcc_lo, s21, v6, vcc_lo
	s_delay_alu instid0(VALU_DEP_2) | instskip(NEXT) | instid1(VALU_DEP_2)
	v_add_co_u32 v5, vcc_lo, v5, v0
	v_add_co_ci_u32_e32 v6, vcc_lo, v6, v1, vcc_lo
	global_store_b64 v[5:6], v[10:11], off
.LBB29_13:
	s_cmp_eq_u64 s[22:23], 0
	s_cbranch_scc1 .LBB29_15
; %bb.14:
	v_mad_u64_u32 v[5:6], null, v3, s18, 0
	s_delay_alu instid0(VALU_DEP_1) | instskip(NEXT) | instid1(VALU_DEP_1)
	v_add3_u32 v6, v6, v4, v2
	v_lshlrev_b64 v[2:3], 3, v[5:6]
	s_delay_alu instid0(VALU_DEP_1) | instskip(NEXT) | instid1(VALU_DEP_2)
	v_add_co_u32 v2, vcc_lo, s22, v2
	v_add_co_ci_u32_e32 v3, vcc_lo, s23, v3, vcc_lo
	s_delay_alu instid0(VALU_DEP_2) | instskip(NEXT) | instid1(VALU_DEP_2)
	v_add_co_u32 v0, vcc_lo, v2, v0
	v_add_co_ci_u32_e32 v1, vcc_lo, v3, v1, vcc_lo
	global_store_b64 v[0:1], v[8:9], off
.LBB29_15:
	s_nop 0
	s_sendmsg sendmsg(MSG_DEALLOC_VGPRS)
	s_endpgm
	.section	.rodata,"a",@progbits
	.p2align	6, 0x0
	.amdhsa_kernel _ZN2at6native12_GLOBAL__N_135GammaBetaBackwardCUDAKernelTemplateIddLj64ELj1ELj8ELb1ELb1ELb0EEEvllPKT_S5_PKT0_S8_PS3_S9_
		.amdhsa_group_segment_fixed_size 0
		.amdhsa_private_segment_fixed_size 0
		.amdhsa_kernarg_size 320
		.amdhsa_user_sgpr_count 14
		.amdhsa_user_sgpr_dispatch_ptr 0
		.amdhsa_user_sgpr_queue_ptr 0
		.amdhsa_user_sgpr_kernarg_segment_ptr 1
		.amdhsa_user_sgpr_dispatch_id 0
		.amdhsa_user_sgpr_private_segment_size 0
		.amdhsa_wavefront_size32 1
		.amdhsa_uses_dynamic_stack 0
		.amdhsa_enable_private_segment 0
		.amdhsa_system_sgpr_workgroup_id_x 1
		.amdhsa_system_sgpr_workgroup_id_y 1
		.amdhsa_system_sgpr_workgroup_id_z 0
		.amdhsa_system_sgpr_workgroup_info 0
		.amdhsa_system_vgpr_workitem_id 1
		.amdhsa_next_free_vgpr 62
		.amdhsa_next_free_sgpr 36
		.amdhsa_reserve_vcc 1
		.amdhsa_float_round_mode_32 0
		.amdhsa_float_round_mode_16_64 0
		.amdhsa_float_denorm_mode_32 3
		.amdhsa_float_denorm_mode_16_64 3
		.amdhsa_dx10_clamp 1
		.amdhsa_ieee_mode 1
		.amdhsa_fp16_overflow 0
		.amdhsa_workgroup_processor_mode 1
		.amdhsa_memory_ordered 1
		.amdhsa_forward_progress 0
		.amdhsa_shared_vgpr_count 0
		.amdhsa_exception_fp_ieee_invalid_op 0
		.amdhsa_exception_fp_denorm_src 0
		.amdhsa_exception_fp_ieee_div_zero 0
		.amdhsa_exception_fp_ieee_overflow 0
		.amdhsa_exception_fp_ieee_underflow 0
		.amdhsa_exception_fp_ieee_inexact 0
		.amdhsa_exception_int_div_zero 0
	.end_amdhsa_kernel
	.section	.text._ZN2at6native12_GLOBAL__N_135GammaBetaBackwardCUDAKernelTemplateIddLj64ELj1ELj8ELb1ELb1ELb0EEEvllPKT_S5_PKT0_S8_PS3_S9_,"axG",@progbits,_ZN2at6native12_GLOBAL__N_135GammaBetaBackwardCUDAKernelTemplateIddLj64ELj1ELj8ELb1ELb1ELb0EEEvllPKT_S5_PKT0_S8_PS3_S9_,comdat
.Lfunc_end29:
	.size	_ZN2at6native12_GLOBAL__N_135GammaBetaBackwardCUDAKernelTemplateIddLj64ELj1ELj8ELb1ELb1ELb0EEEvllPKT_S5_PKT0_S8_PS3_S9_, .Lfunc_end29-_ZN2at6native12_GLOBAL__N_135GammaBetaBackwardCUDAKernelTemplateIddLj64ELj1ELj8ELb1ELb1ELb0EEEvllPKT_S5_PKT0_S8_PS3_S9_
                                        ; -- End function
	.section	.AMDGPU.csdata,"",@progbits
; Kernel info:
; codeLenInByte = 1776
; NumSgprs: 38
; NumVgprs: 62
; ScratchSize: 0
; MemoryBound: 0
; FloatMode: 240
; IeeeMode: 1
; LDSByteSize: 0 bytes/workgroup (compile time only)
; SGPRBlocks: 4
; VGPRBlocks: 7
; NumSGPRsForWavesPerEU: 38
; NumVGPRsForWavesPerEU: 62
; Occupancy: 16
; WaveLimiterHint : 0
; COMPUTE_PGM_RSRC2:SCRATCH_EN: 0
; COMPUTE_PGM_RSRC2:USER_SGPR: 14
; COMPUTE_PGM_RSRC2:TRAP_HANDLER: 0
; COMPUTE_PGM_RSRC2:TGID_X_EN: 1
; COMPUTE_PGM_RSRC2:TGID_Y_EN: 1
; COMPUTE_PGM_RSRC2:TGID_Z_EN: 0
; COMPUTE_PGM_RSRC2:TIDIG_COMP_CNT: 1
	.section	.text._ZN2at6native12_GLOBAL__N_135GammaBetaBackwardCUDAKernelTemplateIddLj64ELj1ELj8ELb1ELb0ELb0EEEvllPKT_S5_PKT0_S8_PS3_S9_,"axG",@progbits,_ZN2at6native12_GLOBAL__N_135GammaBetaBackwardCUDAKernelTemplateIddLj64ELj1ELj8ELb1ELb0ELb0EEEvllPKT_S5_PKT0_S8_PS3_S9_,comdat
	.globl	_ZN2at6native12_GLOBAL__N_135GammaBetaBackwardCUDAKernelTemplateIddLj64ELj1ELj8ELb1ELb0ELb0EEEvllPKT_S5_PKT0_S8_PS3_S9_ ; -- Begin function _ZN2at6native12_GLOBAL__N_135GammaBetaBackwardCUDAKernelTemplateIddLj64ELj1ELj8ELb1ELb0ELb0EEEvllPKT_S5_PKT0_S8_PS3_S9_
	.p2align	8
	.type	_ZN2at6native12_GLOBAL__N_135GammaBetaBackwardCUDAKernelTemplateIddLj64ELj1ELj8ELb1ELb0ELb0EEEvllPKT_S5_PKT0_S8_PS3_S9_,@function
_ZN2at6native12_GLOBAL__N_135GammaBetaBackwardCUDAKernelTemplateIddLj64ELj1ELj8ELb1ELb0ELb0EEEvllPKT_S5_PKT0_S8_PS3_S9_: ; @_ZN2at6native12_GLOBAL__N_135GammaBetaBackwardCUDAKernelTemplateIddLj64ELj1ELj8ELb1ELb0ELb0EEEvllPKT_S5_PKT0_S8_PS3_S9_
; %bb.0:
	s_clause 0x1
	s_load_b256 s[36:43], s[0:1], 0x0
	s_load_b128 s[8:11], s[0:1], 0x20
	s_mov_b32 s2, s15
	s_lshl_b32 s15, s14, 6
	s_mov_b32 s7, 0
	s_or_b32 s6, s15, 63
	s_waitcnt lgkmcnt(0)
	v_cmp_ge_i64_e64 s3, s[6:7], s[38:39]
	s_lshl_b32 s6, s2, 3
	s_delay_alu instid0(SALU_CYCLE_1) | instskip(NEXT) | instid1(VALU_DEP_2)
	v_cmp_lt_i64_e64 s33, s[6:7], s[36:37]
	s_and_b32 vcc_lo, exec_lo, s3
	s_delay_alu instid0(VALU_DEP_1) | instskip(NEXT) | instid1(VALU_DEP_1)
	v_cndmask_b32_e64 v1, 0, 1, s33
	v_cmp_ne_u32_e64 s3, 1, v1
	s_cbranch_vccz .LBB30_48
; %bb.1:
	v_mov_b32_e32 v51, 0
	v_mov_b32_e32 v52, 0
	s_delay_alu instid0(VALU_DEP_2) | instskip(SKIP_1) | instid1(VALU_DEP_2)
	v_mov_b32_e32 v49, v51
	s_and_b32 vcc_lo, exec_lo, s3
	v_mov_b32_e32 v50, v52
	s_cbranch_vccnz .LBB30_49
; %bb.2:
	v_bfe_u32 v61, v0, 10, 10
	s_load_b32 s4, s[0:1], 0x44
	s_add_u32 s12, s0, 64
	s_addc_u32 s13, s1, 0
	s_mov_b32 s16, 0
	v_dual_mov_b32 v3, 0 :: v_dual_lshlrev_b32 v62, 3, v61
	v_and_b32_e32 v63, 0x3ff, v0
	s_mov_b64 s[44:45], s[6:7]
	v_mov_b32_e32 v49, 0
	s_delay_alu instid0(VALU_DEP_3) | instskip(SKIP_2) | instid1(VALU_DEP_3)
	v_add_co_u32 v8, s3, v62, s6
	v_mov_b32_e32 v64, v3
	v_add_co_ci_u32_e64 v9, null, 0, 0, s3
	v_add_co_u32 v1, vcc_lo, v8, 7
	v_add_nc_u32_e32 v2, s15, v63
	s_delay_alu instid0(VALU_DEP_3) | instskip(NEXT) | instid1(VALU_DEP_3)
	v_add_co_ci_u32_e32 v4, vcc_lo, 0, v9, vcc_lo
	v_mul_lo_u32 v6, s39, v1
	v_add_co_u32 v10, vcc_lo, v8, 6
	s_delay_alu instid0(VALU_DEP_3)
	v_mul_lo_u32 v7, s38, v4
	v_mad_u64_u32 v[4:5], null, s38, v1, 0
	v_add_co_ci_u32_e32 v1, vcc_lo, 0, v9, vcc_lo
	v_cmp_gt_i64_e64 s3, s[38:39], v[2:3]
	v_lshlrev_b64 v[53:54], 3, v[2:3]
	s_waitcnt lgkmcnt(0)
	s_lshl_b32 s46, s4, 3
	v_mov_b32_e32 v50, 0
	v_add3_u32 v5, v5, v7, v6
	v_mul_lo_u32 v6, s39, v10
	v_mul_lo_u32 v7, s38, v1
	s_mul_i32 s4, s39, s46
	s_mul_hi_u32 s5, s38, s46
	v_lshlrev_b64 v[1:2], 3, v[4:5]
	v_mad_u64_u32 v[4:5], null, s38, v10, 0
	s_add_i32 s19, s5, s4
	v_dual_mov_b32 v52, v50 :: v_dual_mov_b32 v51, v49
	s_delay_alu instid0(VALU_DEP_3) | instskip(NEXT) | instid1(VALU_DEP_4)
	v_add_co_u32 v65, vcc_lo, s40, v1
	v_add_co_ci_u32_e32 v66, vcc_lo, s41, v2, vcc_lo
	s_delay_alu instid0(VALU_DEP_4) | instskip(SKIP_2) | instid1(VALU_DEP_1)
	v_add3_u32 v5, v5, v7, v6
	v_add_co_u32 v6, vcc_lo, v8, 5
	v_add_co_u32 v67, s4, s42, v1
	v_add_co_ci_u32_e64 v68, s4, s43, v2, s4
	s_delay_alu instid0(VALU_DEP_4) | instskip(SKIP_3) | instid1(VALU_DEP_3)
	v_lshlrev_b64 v[1:2], 3, v[4:5]
	v_add_co_ci_u32_e32 v4, vcc_lo, 0, v9, vcc_lo
	v_add_co_u32 v11, vcc_lo, v8, 4
	v_mul_lo_u32 v10, s39, v6
	v_mul_lo_u32 v12, s38, v4
	v_mad_u64_u32 v[4:5], null, s38, v6, 0
	v_add_co_ci_u32_e32 v7, vcc_lo, 0, v9, vcc_lo
	v_mul_lo_u32 v13, s39, v11
	v_add_co_u32 v69, vcc_lo, s40, v1
	s_delay_alu instid0(VALU_DEP_3)
	v_mul_lo_u32 v14, s38, v7
	v_mad_u64_u32 v[6:7], null, s38, v11, 0
	v_add3_u32 v5, v5, v12, v10
	v_add_co_ci_u32_e32 v70, vcc_lo, s41, v2, vcc_lo
	v_add_co_u32 v71, vcc_lo, s42, v1
	v_add_co_ci_u32_e32 v72, vcc_lo, s43, v2, vcc_lo
	s_delay_alu instid0(VALU_DEP_4) | instskip(SKIP_3) | instid1(VALU_DEP_4)
	v_lshlrev_b64 v[1:2], 3, v[4:5]
	v_add3_u32 v7, v7, v14, v13
	v_add_co_u32 v10, vcc_lo, v8, 3
	v_add_co_ci_u32_e32 v11, vcc_lo, 0, v9, vcc_lo
	v_add_co_u32 v73, vcc_lo, s40, v1
	s_delay_alu instid0(VALU_DEP_4)
	v_lshlrev_b64 v[4:5], 3, v[6:7]
	v_add_co_ci_u32_e32 v74, vcc_lo, s41, v2, vcc_lo
	v_mul_lo_u32 v12, s39, v10
	v_mul_lo_u32 v11, s38, v11
	v_mad_u64_u32 v[6:7], null, s38, v10, 0
	v_add_co_u32 v75, vcc_lo, s42, v1
	v_add_co_ci_u32_e32 v76, vcc_lo, s43, v2, vcc_lo
	v_add_co_u32 v77, vcc_lo, s40, v4
	v_add_co_ci_u32_e32 v78, vcc_lo, s41, v5, vcc_lo
	v_add_co_u32 v10, vcc_lo, v8, 2
	v_add3_u32 v7, v7, v11, v12
	v_add_co_ci_u32_e32 v11, vcc_lo, 0, v9, vcc_lo
	v_add_co_u32 v79, vcc_lo, s42, v4
	v_add_co_ci_u32_e32 v80, vcc_lo, s43, v5, vcc_lo
	v_mul_lo_u32 v12, s39, v10
	s_delay_alu instid0(VALU_DEP_4)
	v_mul_lo_u32 v11, s38, v11
	v_mad_u64_u32 v[4:5], null, s38, v10, 0
	v_lshlrev_b64 v[1:2], 3, v[6:7]
	v_mul_lo_u32 v10, s39, v8
	v_mul_lo_u32 v9, s38, v9
	v_mad_u64_u32 v[6:7], null, s38, v8, 0
	s_mul_i32 s18, s38, s46
	s_delay_alu instid0(VALU_DEP_4)
	v_add_co_u32 v81, vcc_lo, s40, v1
	v_add3_u32 v5, v5, v11, v12
	v_add_co_ci_u32_e32 v82, vcc_lo, s41, v2, vcc_lo
	v_add_co_u32 v83, vcc_lo, s42, v1
	v_add3_u32 v7, v7, v9, v10
	v_add_co_ci_u32_e32 v84, vcc_lo, s43, v2, vcc_lo
	v_lshlrev_b64 v[1:2], 3, v[4:5]
	v_add_co_u32 v4, vcc_lo, v6, s38
	s_delay_alu instid0(VALU_DEP_4) | instskip(SKIP_1) | instid1(VALU_DEP_3)
	v_add_co_ci_u32_e32 v5, vcc_lo, s39, v7, vcc_lo
	s_mov_b64 s[4:5], 7
	v_add_co_u32 v85, vcc_lo, s40, v1
	s_delay_alu instid0(VALU_DEP_2) | instskip(SKIP_3) | instid1(VALU_DEP_4)
	v_lshlrev_b64 v[4:5], 3, v[4:5]
	v_add_co_ci_u32_e32 v86, vcc_lo, s41, v2, vcc_lo
	v_add_co_u32 v87, vcc_lo, s42, v1
	v_add_co_ci_u32_e32 v88, vcc_lo, s43, v2, vcc_lo
	v_add_co_u32 v89, vcc_lo, s40, v4
	v_lshlrev_b64 v[1:2], 3, v[6:7]
	v_add_co_ci_u32_e32 v90, vcc_lo, s41, v5, vcc_lo
	v_add_co_u32 v91, vcc_lo, s42, v4
	v_add_co_ci_u32_e32 v92, vcc_lo, s43, v5, vcc_lo
	s_delay_alu instid0(VALU_DEP_4)
	v_add_co_u32 v93, vcc_lo, s40, v1
	v_add_co_ci_u32_e32 v94, vcc_lo, s41, v2, vcc_lo
	v_add_co_u32 v95, vcc_lo, s42, v1
	v_add_co_ci_u32_e32 v96, vcc_lo, s43, v2, vcc_lo
	s_lshl_b64 s[34:35], s[18:19], 3
	s_branch .LBB30_5
.LBB30_3:                               ;   in Loop: Header=BB30_5 Depth=1
	s_or_b32 exec_lo, exec_lo, s17
	s_waitcnt vmcnt(1)
	ds_bpermute_b32 v1, v3, v57
	ds_bpermute_b32 v2, v3, v58
	ds_bpermute_b32 v4, v3, v57 offset:4
	ds_bpermute_b32 v5, v3, v58 offset:4
	;; [unrolled: 1-line block ×4, first 2 shown]
	s_waitcnt vmcnt(0)
	ds_bpermute_b32 v8, v3, v59
	ds_bpermute_b32 v9, v3, v60
	ds_bpermute_b32 v10, v3, v57 offset:12
	ds_bpermute_b32 v11, v3, v58 offset:12
	;; [unrolled: 1-line block ×4, first 2 shown]
	s_waitcnt lgkmcnt(10)
	v_add_f64 v[1:2], v[17:18], -v[1:2]
	s_waitcnt lgkmcnt(8)
	v_add_f64 v[4:5], v[19:20], -v[4:5]
	s_waitcnt lgkmcnt(6)
	v_add_f64 v[6:7], v[21:22], -v[6:7]
	s_waitcnt lgkmcnt(2)
	v_add_f64 v[10:11], v[23:24], -v[10:11]
	s_delay_alu instid0(VALU_DEP_4) | instskip(NEXT) | instid1(VALU_DEP_4)
	v_mul_f64 v[1:2], v[33:34], v[1:2]
	v_mul_f64 v[4:5], v[35:36], v[4:5]
	s_delay_alu instid0(VALU_DEP_4) | instskip(NEXT) | instid1(VALU_DEP_4)
	v_mul_f64 v[6:7], v[37:38], v[6:7]
	v_mul_f64 v[10:11], v[39:40], v[10:11]
	s_delay_alu instid0(VALU_DEP_4) | instskip(SKIP_2) | instid1(VALU_DEP_2)
	v_fma_f64 v[1:2], v[1:2], v[8:9], v[49:50]
	v_add_f64 v[8:9], v[51:52], v[33:34]
	s_waitcnt lgkmcnt(0)
	v_fma_f64 v[1:2], v[4:5], v[12:13], v[1:2]
	s_delay_alu instid0(VALU_DEP_2)
	v_add_f64 v[4:5], v[35:36], v[8:9]
	ds_bpermute_b32 v8, v3, v57 offset:16
	ds_bpermute_b32 v9, v3, v58 offset:16
	;; [unrolled: 1-line block ×4, first 2 shown]
	s_waitcnt lgkmcnt(2)
	v_add_f64 v[8:9], v[25:26], -v[8:9]
	s_waitcnt lgkmcnt(0)
	v_fma_f64 v[1:2], v[6:7], v[12:13], v[1:2]
	v_add_f64 v[4:5], v[37:38], v[4:5]
	ds_bpermute_b32 v6, v3, v57 offset:20
	ds_bpermute_b32 v7, v3, v58 offset:20
	;; [unrolled: 1-line block ×4, first 2 shown]
	s_waitcnt lgkmcnt(2)
	v_add_f64 v[6:7], v[27:28], -v[6:7]
	v_mul_f64 v[8:9], v[41:42], v[8:9]
	s_waitcnt lgkmcnt(0)
	v_fma_f64 v[1:2], v[10:11], v[12:13], v[1:2]
	v_add_f64 v[4:5], v[39:40], v[4:5]
	ds_bpermute_b32 v10, v3, v57 offset:24
	ds_bpermute_b32 v11, v3, v58 offset:24
	;; [unrolled: 1-line block ×4, first 2 shown]
	s_waitcnt lgkmcnt(2)
	v_add_f64 v[10:11], v[29:30], -v[10:11]
	v_mul_f64 v[6:7], v[43:44], v[6:7]
	s_waitcnt lgkmcnt(0)
	v_fma_f64 v[1:2], v[8:9], v[12:13], v[1:2]
	v_add_f64 v[4:5], v[41:42], v[4:5]
	ds_bpermute_b32 v8, v3, v59 offset:20
	ds_bpermute_b32 v9, v3, v60 offset:20
	v_mul_f64 v[10:11], v[45:46], v[10:11]
	s_waitcnt lgkmcnt(0)
	v_fma_f64 v[1:2], v[6:7], v[8:9], v[1:2]
	v_add_f64 v[6:7], v[43:44], v[4:5]
	ds_bpermute_b32 v4, v3, v59 offset:24
	ds_bpermute_b32 v5, v3, v60 offset:24
	;; [unrolled: 1-line block ×4, first 2 shown]
	s_waitcnt lgkmcnt(2)
	v_fma_f64 v[4:5], v[10:11], v[4:5], v[1:2]
	v_add_f64 v[6:7], v[45:46], v[6:7]
	ds_bpermute_b32 v1, v3, v59 offset:28
	ds_bpermute_b32 v2, v3, v60 offset:28
.LBB30_4:                               ;   in Loop: Header=BB30_5 Depth=1
	s_waitcnt lgkmcnt(2)
	v_add_f64 v[8:9], v[31:32], -v[8:9]
	v_add_f64 v[51:52], v[6:7], v[47:48]
	v_add_co_u32 v65, vcc_lo, v65, s34
	v_add_co_ci_u32_e32 v66, vcc_lo, s35, v66, vcc_lo
	v_add_co_u32 v67, vcc_lo, v67, s34
	v_add_co_ci_u32_e32 v68, vcc_lo, s35, v68, vcc_lo
	;; [unrolled: 2-line block ×9, first 2 shown]
	v_mul_f64 v[6:7], v[47:48], v[8:9]
	v_add_co_u32 v83, vcc_lo, v83, s34
	v_add_co_ci_u32_e32 v84, vcc_lo, s35, v84, vcc_lo
	v_add_co_u32 v85, vcc_lo, v85, s34
	v_add_co_ci_u32_e32 v86, vcc_lo, s35, v86, vcc_lo
	;; [unrolled: 2-line block ×5, first 2 shown]
	v_add_co_u32 v62, vcc_lo, v62, s46
	s_add_u32 s44, s44, s46
	v_add_co_ci_u32_e32 v64, vcc_lo, 0, v64, vcc_lo
	s_addc_u32 s45, s45, 0
	v_add_co_u32 v93, vcc_lo, v93, s34
	v_add_co_ci_u32_e32 v94, vcc_lo, s35, v94, vcc_lo
	v_cmp_lt_i64_e64 s17, s[44:45], s[36:37]
	v_add_co_u32 v95, vcc_lo, v95, s34
	v_add_co_ci_u32_e32 v96, vcc_lo, s35, v96, vcc_lo
	s_add_u32 s4, s4, s46
	s_addc_u32 s5, s5, 0
	s_waitcnt lgkmcnt(0)
	v_fma_f64 v[49:50], v[6:7], v[1:2], v[4:5]
	s_and_b32 vcc_lo, exec_lo, s17
	s_cbranch_vccz .LBB30_49
.LBB30_5:                               ; =>This Inner Loop Header: Depth=1
	s_add_u32 s18, s6, s4
	s_addc_u32 s19, 0, s5
	v_add_co_u32 v55, vcc_lo, s6, v62
	v_cmp_ge_i64_e64 s17, s[18:19], s[36:37]
	v_add_co_ci_u32_e32 v56, vcc_lo, 0, v64, vcc_lo
	s_delay_alu instid0(VALU_DEP_2)
	s_and_b32 vcc_lo, exec_lo, s17
	s_cbranch_vccz .LBB30_27
; %bb.6:                                ;   in Loop: Header=BB30_5 Depth=1
	s_load_b32 s17, s[12:13], 0xc
	v_mov_b32_e32 v59, 0
	s_waitcnt lgkmcnt(0)
	s_and_b32 s17, s17, 0xffff
	s_delay_alu instid0(SALU_CYCLE_1) | instskip(SKIP_2) | instid1(VALU_DEP_2)
	v_mad_u32_u24 v1, v61, s17, v63
	v_mov_b32_e32 v60, 0
	s_mov_b32 s17, exec_lo
	v_and_b32_e32 v1, 31, v1
	s_delay_alu instid0(VALU_DEP_2) | instskip(NEXT) | instid1(VALU_DEP_2)
	v_dual_mov_b32 v57, v59 :: v_dual_mov_b32 v58, v60
	v_cmpx_gt_u32_e32 8, v1
	s_cbranch_execz .LBB30_10
; %bb.7:                                ;   in Loop: Header=BB30_5 Depth=1
	v_mov_b32_e32 v57, 0
	v_mov_b32_e32 v58, 0
	v_add_co_u32 v1, vcc_lo, v55, v1
	v_add_co_ci_u32_e32 v2, vcc_lo, 0, v56, vcc_lo
	s_delay_alu instid0(VALU_DEP_3) | instskip(SKIP_1) | instid1(VALU_DEP_2)
	v_dual_mov_b32 v60, v58 :: v_dual_mov_b32 v59, v57
	s_mov_b32 s18, exec_lo
	v_cmpx_gt_i64_e64 s[36:37], v[1:2]
	s_cbranch_execz .LBB30_9
; %bb.8:                                ;   in Loop: Header=BB30_5 Depth=1
	v_lshlrev_b64 v[1:2], 3, v[1:2]
	s_delay_alu instid0(VALU_DEP_1) | instskip(NEXT) | instid1(VALU_DEP_2)
	v_add_co_u32 v4, vcc_lo, s8, v1
	v_add_co_ci_u32_e32 v5, vcc_lo, s9, v2, vcc_lo
	v_add_co_u32 v1, vcc_lo, s10, v1
	v_add_co_ci_u32_e32 v2, vcc_lo, s11, v2, vcc_lo
	global_load_b64 v[57:58], v[4:5], off
	global_load_b64 v[59:60], v[1:2], off
.LBB30_9:                               ;   in Loop: Header=BB30_5 Depth=1
	s_or_b32 exec_lo, exec_lo, s18
.LBB30_10:                              ;   in Loop: Header=BB30_5 Depth=1
	s_delay_alu instid0(SALU_CYCLE_1)
	s_or_b32 exec_lo, exec_lo, s17
	s_mov_b32 s31, s16
	s_mov_b32 s17, s16
	;; [unrolled: 1-line block ×15, first 2 shown]
	s_delay_alu instid0(SALU_CYCLE_1)
	v_dual_mov_b32 v32, s31 :: v_dual_mov_b32 v31, s30
	v_dual_mov_b32 v30, s29 :: v_dual_mov_b32 v29, s28
	v_dual_mov_b32 v28, s27 :: v_dual_mov_b32 v27, s26
	v_dual_mov_b32 v26, s25 :: v_dual_mov_b32 v25, s24
	v_dual_mov_b32 v24, s23 :: v_dual_mov_b32 v23, s22
	v_dual_mov_b32 v22, s21 :: v_dual_mov_b32 v21, s20
	v_dual_mov_b32 v20, s19 :: v_dual_mov_b32 v19, s18
	v_dual_mov_b32 v18, s17 :: v_dual_mov_b32 v17, s16
	v_cmp_gt_i64_e32 vcc_lo, s[36:37], v[55:56]
	v_dual_mov_b32 v48, v32 :: v_dual_mov_b32 v47, v31
	v_dual_mov_b32 v46, v30 :: v_dual_mov_b32 v45, v29
	;; [unrolled: 1-line block ×8, first 2 shown]
	s_and_b32 s18, s3, vcc_lo
	s_delay_alu instid0(SALU_CYCLE_1)
	s_and_saveexec_b32 s17, s18
	s_cbranch_execz .LBB30_12
; %bb.11:                               ;   in Loop: Header=BB30_5 Depth=1
	v_add_co_u32 v1, vcc_lo, v93, v53
	v_add_co_ci_u32_e32 v2, vcc_lo, v94, v54, vcc_lo
	v_add_co_u32 v4, vcc_lo, v95, v53
	v_add_co_ci_u32_e32 v5, vcc_lo, v96, v54, vcc_lo
	global_load_b64 v[1:2], v[1:2], off
	v_mov_b32_e32 v16, v3
	v_mov_b32_e32 v6, v3
	global_load_b64 v[17:18], v[4:5], off
	v_mov_b32_e32 v4, v3
	v_mov_b32_e32 v5, v3
	v_mov_b32_e32 v7, v3
	v_mov_b32_e32 v8, v3
	v_mov_b32_e32 v9, v3
	v_mov_b32_e32 v10, v3
	v_mov_b32_e32 v11, v3
	v_mov_b32_e32 v12, v3
	v_mov_b32_e32 v13, v3
	v_mov_b32_e32 v14, v3
	v_mov_b32_e32 v15, v3
	s_waitcnt vmcnt(1)
	v_dual_mov_b32 v19, v3 :: v_dual_mov_b32 v48, v16
	v_dual_mov_b32 v20, v3 :: v_dual_mov_b32 v45, v13
	v_dual_mov_b32 v21, v3 :: v_dual_mov_b32 v46, v14
	v_dual_mov_b32 v22, v3 :: v_dual_mov_b32 v41, v9
	v_dual_mov_b32 v23, v3 :: v_dual_mov_b32 v44, v12
	v_dual_mov_b32 v24, v3 :: v_dual_mov_b32 v37, v5
	v_dual_mov_b32 v25, v3 :: v_dual_mov_b32 v42, v10
	v_mov_b32_e32 v26, v3
	v_dual_mov_b32 v27, v3 :: v_dual_mov_b32 v40, v8
	v_mov_b32_e32 v28, v3
	v_dual_mov_b32 v29, v3 :: v_dual_mov_b32 v38, v6
	;; [unrolled: 2-line block ×3, first 2 shown]
	v_mov_b32_e32 v47, v15
	v_mov_b32_e32 v43, v11
	;; [unrolled: 1-line block ×5, first 2 shown]
	v_dual_mov_b32 v34, v2 :: v_dual_mov_b32 v33, v1
.LBB30_12:                              ;   in Loop: Header=BB30_5 Depth=1
	s_or_b32 exec_lo, exec_lo, s17
	v_add_co_u32 v1, vcc_lo, v55, 1
	v_add_co_ci_u32_e32 v2, vcc_lo, 0, v56, vcc_lo
	s_delay_alu instid0(VALU_DEP_1) | instskip(SKIP_1) | instid1(SALU_CYCLE_1)
	v_cmp_gt_i64_e32 vcc_lo, s[36:37], v[1:2]
	s_and_b32 s18, s3, vcc_lo
	s_and_saveexec_b32 s17, s18
	s_cbranch_execz .LBB30_14
; %bb.13:                               ;   in Loop: Header=BB30_5 Depth=1
	v_add_co_u32 v1, vcc_lo, v89, v53
	v_add_co_ci_u32_e32 v2, vcc_lo, v90, v54, vcc_lo
	v_add_co_u32 v4, vcc_lo, v91, v53
	v_add_co_ci_u32_e32 v5, vcc_lo, v92, v54, vcc_lo
	global_load_b64 v[35:36], v[1:2], off
	global_load_b64 v[19:20], v[4:5], off
.LBB30_14:                              ;   in Loop: Header=BB30_5 Depth=1
	s_or_b32 exec_lo, exec_lo, s17
	v_add_co_u32 v1, vcc_lo, v55, 2
	v_add_co_ci_u32_e32 v2, vcc_lo, 0, v56, vcc_lo
	s_delay_alu instid0(VALU_DEP_1) | instskip(SKIP_1) | instid1(SALU_CYCLE_1)
	v_cmp_gt_i64_e32 vcc_lo, s[36:37], v[1:2]
	s_and_b32 s18, s3, vcc_lo
	s_and_saveexec_b32 s17, s18
	s_cbranch_execz .LBB30_16
; %bb.15:                               ;   in Loop: Header=BB30_5 Depth=1
	v_add_co_u32 v1, vcc_lo, v85, v53
	v_add_co_ci_u32_e32 v2, vcc_lo, v86, v54, vcc_lo
	v_add_co_u32 v4, vcc_lo, v87, v53
	v_add_co_ci_u32_e32 v5, vcc_lo, v88, v54, vcc_lo
	global_load_b64 v[37:38], v[1:2], off
	global_load_b64 v[21:22], v[4:5], off
.LBB30_16:                              ;   in Loop: Header=BB30_5 Depth=1
	;; [unrolled: 16-line block ×7, first 2 shown]
	s_or_b32 exec_lo, exec_lo, s17
	s_waitcnt vmcnt(1)
	ds_bpermute_b32 v1, v3, v57
	ds_bpermute_b32 v2, v3, v58
	ds_bpermute_b32 v4, v3, v57 offset:4
	ds_bpermute_b32 v5, v3, v58 offset:4
	;; [unrolled: 1-line block ×4, first 2 shown]
	s_waitcnt vmcnt(0)
	ds_bpermute_b32 v8, v3, v59
	ds_bpermute_b32 v9, v3, v60
	ds_bpermute_b32 v10, v3, v57 offset:12
	ds_bpermute_b32 v11, v3, v58 offset:12
	;; [unrolled: 1-line block ×4, first 2 shown]
	s_waitcnt lgkmcnt(10)
	v_add_f64 v[1:2], v[17:18], -v[1:2]
	s_waitcnt lgkmcnt(8)
	v_add_f64 v[4:5], v[19:20], -v[4:5]
	;; [unrolled: 2-line block ×4, first 2 shown]
	s_delay_alu instid0(VALU_DEP_4) | instskip(NEXT) | instid1(VALU_DEP_4)
	v_mul_f64 v[1:2], v[33:34], v[1:2]
	v_mul_f64 v[4:5], v[35:36], v[4:5]
	s_delay_alu instid0(VALU_DEP_4) | instskip(NEXT) | instid1(VALU_DEP_4)
	v_mul_f64 v[6:7], v[37:38], v[6:7]
	v_mul_f64 v[10:11], v[39:40], v[10:11]
	s_delay_alu instid0(VALU_DEP_4) | instskip(SKIP_2) | instid1(VALU_DEP_2)
	v_fma_f64 v[1:2], v[1:2], v[8:9], v[49:50]
	v_add_f64 v[8:9], v[51:52], v[33:34]
	s_waitcnt lgkmcnt(0)
	v_fma_f64 v[1:2], v[4:5], v[12:13], v[1:2]
	s_delay_alu instid0(VALU_DEP_2)
	v_add_f64 v[4:5], v[35:36], v[8:9]
	ds_bpermute_b32 v8, v3, v57 offset:16
	ds_bpermute_b32 v9, v3, v58 offset:16
	;; [unrolled: 1-line block ×4, first 2 shown]
	s_waitcnt lgkmcnt(2)
	v_add_f64 v[8:9], v[25:26], -v[8:9]
	s_waitcnt lgkmcnt(0)
	v_fma_f64 v[1:2], v[6:7], v[12:13], v[1:2]
	v_add_f64 v[4:5], v[37:38], v[4:5]
	ds_bpermute_b32 v6, v3, v57 offset:20
	ds_bpermute_b32 v7, v3, v58 offset:20
	;; [unrolled: 1-line block ×4, first 2 shown]
	s_waitcnt lgkmcnt(2)
	v_add_f64 v[6:7], v[27:28], -v[6:7]
	v_mul_f64 v[8:9], v[41:42], v[8:9]
	s_waitcnt lgkmcnt(0)
	v_fma_f64 v[1:2], v[10:11], v[12:13], v[1:2]
	v_add_f64 v[4:5], v[39:40], v[4:5]
	ds_bpermute_b32 v10, v3, v57 offset:24
	ds_bpermute_b32 v11, v3, v58 offset:24
	;; [unrolled: 1-line block ×4, first 2 shown]
	s_waitcnt lgkmcnt(2)
	v_add_f64 v[10:11], v[29:30], -v[10:11]
	v_mul_f64 v[6:7], v[43:44], v[6:7]
	s_waitcnt lgkmcnt(0)
	v_fma_f64 v[1:2], v[8:9], v[12:13], v[1:2]
	v_add_f64 v[4:5], v[41:42], v[4:5]
	ds_bpermute_b32 v8, v3, v59 offset:20
	ds_bpermute_b32 v9, v3, v60 offset:20
	v_mul_f64 v[10:11], v[45:46], v[10:11]
	s_waitcnt lgkmcnt(0)
	v_fma_f64 v[1:2], v[6:7], v[8:9], v[1:2]
	v_add_f64 v[6:7], v[43:44], v[4:5]
	ds_bpermute_b32 v4, v3, v59 offset:24
	ds_bpermute_b32 v5, v3, v60 offset:24
	;; [unrolled: 1-line block ×4, first 2 shown]
	s_waitcnt lgkmcnt(2)
	v_fma_f64 v[4:5], v[10:11], v[4:5], v[1:2]
	v_add_f64 v[6:7], v[45:46], v[6:7]
	ds_bpermute_b32 v1, v3, v59 offset:28
	ds_bpermute_b32 v2, v3, v60 offset:28
	s_branch .LBB30_4
.LBB30_27:                              ;   in Loop: Header=BB30_5 Depth=1
                                        ; implicit-def: $vgpr1_vgpr2
                                        ; implicit-def: $vgpr17_vgpr18_vgpr19_vgpr20_vgpr21_vgpr22_vgpr23_vgpr24_vgpr25_vgpr26_vgpr27_vgpr28_vgpr29_vgpr30_vgpr31_vgpr32
                                        ; implicit-def: $vgpr33_vgpr34_vgpr35_vgpr36_vgpr37_vgpr38_vgpr39_vgpr40_vgpr41_vgpr42_vgpr43_vgpr44_vgpr45_vgpr46_vgpr47_vgpr48
                                        ; implicit-def: $vgpr8
                                        ; implicit-def: $vgpr6_vgpr7
                                        ; implicit-def: $vgpr4_vgpr5
	s_cbranch_execz .LBB30_4
; %bb.28:                               ;   in Loop: Header=BB30_5 Depth=1
	s_load_b32 s17, s[12:13], 0x0
	v_mov_b32_e32 v59, 0
	s_waitcnt lgkmcnt(0)
	s_cmp_lt_u32 s14, s17
	s_cselect_b32 s17, 12, 18
	s_delay_alu instid0(SALU_CYCLE_1)
	s_add_u32 s18, s12, s17
	s_addc_u32 s19, s13, 0
	s_mov_b32 s17, exec_lo
	global_load_u16 v1, v3, s[18:19]
	s_waitcnt vmcnt(0)
	v_mad_u32_u24 v1, v61, v1, v63
	s_delay_alu instid0(VALU_DEP_1) | instskip(NEXT) | instid1(VALU_DEP_1)
	v_dual_mov_b32 v60, 0 :: v_dual_and_b32 v1, 31, v1
	v_dual_mov_b32 v57, v59 :: v_dual_mov_b32 v58, v60
	s_delay_alu instid0(VALU_DEP_2)
	v_cmpx_gt_u32_e32 8, v1
	s_cbranch_execz .LBB30_32
; %bb.29:                               ;   in Loop: Header=BB30_5 Depth=1
	v_mov_b32_e32 v57, 0
	v_mov_b32_e32 v58, 0
	v_add_co_u32 v1, vcc_lo, v55, v1
	v_add_co_ci_u32_e32 v2, vcc_lo, 0, v56, vcc_lo
	s_delay_alu instid0(VALU_DEP_3) | instskip(SKIP_1) | instid1(VALU_DEP_2)
	v_dual_mov_b32 v60, v58 :: v_dual_mov_b32 v59, v57
	s_mov_b32 s18, exec_lo
	v_cmpx_gt_i64_e64 s[36:37], v[1:2]
	s_cbranch_execz .LBB30_31
; %bb.30:                               ;   in Loop: Header=BB30_5 Depth=1
	v_lshlrev_b64 v[1:2], 3, v[1:2]
	s_delay_alu instid0(VALU_DEP_1) | instskip(NEXT) | instid1(VALU_DEP_2)
	v_add_co_u32 v4, vcc_lo, s8, v1
	v_add_co_ci_u32_e32 v5, vcc_lo, s9, v2, vcc_lo
	v_add_co_u32 v1, vcc_lo, s10, v1
	v_add_co_ci_u32_e32 v2, vcc_lo, s11, v2, vcc_lo
	global_load_b64 v[57:58], v[4:5], off
	global_load_b64 v[59:60], v[1:2], off
.LBB30_31:                              ;   in Loop: Header=BB30_5 Depth=1
	s_or_b32 exec_lo, exec_lo, s18
.LBB30_32:                              ;   in Loop: Header=BB30_5 Depth=1
	s_delay_alu instid0(SALU_CYCLE_1)
	s_or_b32 exec_lo, exec_lo, s17
	s_mov_b32 s31, s16
	s_mov_b32 s17, s16
	;; [unrolled: 1-line block ×15, first 2 shown]
	s_delay_alu instid0(SALU_CYCLE_1)
	v_dual_mov_b32 v32, s31 :: v_dual_mov_b32 v31, s30
	v_dual_mov_b32 v30, s29 :: v_dual_mov_b32 v29, s28
	;; [unrolled: 1-line block ×16, first 2 shown]
	s_and_saveexec_b32 s17, s3
	s_cbranch_execnz .LBB30_40
; %bb.33:                               ;   in Loop: Header=BB30_5 Depth=1
	s_or_b32 exec_lo, exec_lo, s17
	s_and_saveexec_b32 s17, s3
	s_cbranch_execnz .LBB30_41
.LBB30_34:                              ;   in Loop: Header=BB30_5 Depth=1
	s_or_b32 exec_lo, exec_lo, s17
	s_and_saveexec_b32 s17, s3
	s_cbranch_execnz .LBB30_42
.LBB30_35:                              ;   in Loop: Header=BB30_5 Depth=1
	s_or_b32 exec_lo, exec_lo, s17
	s_and_saveexec_b32 s17, s3
	s_cbranch_execnz .LBB30_43
.LBB30_36:                              ;   in Loop: Header=BB30_5 Depth=1
	s_or_b32 exec_lo, exec_lo, s17
	s_and_saveexec_b32 s17, s3
	s_cbranch_execnz .LBB30_44
.LBB30_37:                              ;   in Loop: Header=BB30_5 Depth=1
	s_or_b32 exec_lo, exec_lo, s17
	s_and_saveexec_b32 s17, s3
	s_cbranch_execnz .LBB30_45
.LBB30_38:                              ;   in Loop: Header=BB30_5 Depth=1
	s_or_b32 exec_lo, exec_lo, s17
	s_and_saveexec_b32 s17, s3
	s_cbranch_execnz .LBB30_46
.LBB30_39:                              ;   in Loop: Header=BB30_5 Depth=1
	s_or_b32 exec_lo, exec_lo, s17
	s_and_saveexec_b32 s17, s3
	s_cbranch_execz .LBB30_3
	s_branch .LBB30_47
.LBB30_40:                              ;   in Loop: Header=BB30_5 Depth=1
	v_add_co_u32 v1, vcc_lo, v93, v53
	v_add_co_ci_u32_e32 v2, vcc_lo, v94, v54, vcc_lo
	v_add_co_u32 v4, vcc_lo, v95, v53
	v_add_co_ci_u32_e32 v5, vcc_lo, v96, v54, vcc_lo
	global_load_b64 v[1:2], v[1:2], off
	v_mov_b32_e32 v16, v3
	v_mov_b32_e32 v6, v3
	global_load_b64 v[17:18], v[4:5], off
	v_mov_b32_e32 v4, v3
	v_mov_b32_e32 v5, v3
	v_mov_b32_e32 v7, v3
	v_mov_b32_e32 v8, v3
	v_mov_b32_e32 v9, v3
	v_mov_b32_e32 v10, v3
	v_mov_b32_e32 v11, v3
	v_mov_b32_e32 v12, v3
	v_mov_b32_e32 v13, v3
	v_mov_b32_e32 v14, v3
	v_mov_b32_e32 v15, v3
	s_waitcnt vmcnt(1)
	v_dual_mov_b32 v19, v3 :: v_dual_mov_b32 v48, v16
	v_dual_mov_b32 v20, v3 :: v_dual_mov_b32 v45, v13
	v_dual_mov_b32 v21, v3 :: v_dual_mov_b32 v46, v14
	v_dual_mov_b32 v22, v3 :: v_dual_mov_b32 v41, v9
	v_dual_mov_b32 v23, v3 :: v_dual_mov_b32 v44, v12
	v_dual_mov_b32 v24, v3 :: v_dual_mov_b32 v37, v5
	v_dual_mov_b32 v25, v3 :: v_dual_mov_b32 v42, v10
	v_mov_b32_e32 v26, v3
	v_dual_mov_b32 v27, v3 :: v_dual_mov_b32 v40, v8
	v_mov_b32_e32 v28, v3
	v_dual_mov_b32 v29, v3 :: v_dual_mov_b32 v38, v6
	;; [unrolled: 2-line block ×3, first 2 shown]
	v_mov_b32_e32 v47, v15
	v_mov_b32_e32 v43, v11
	;; [unrolled: 1-line block ×5, first 2 shown]
	v_dual_mov_b32 v34, v2 :: v_dual_mov_b32 v33, v1
	s_or_b32 exec_lo, exec_lo, s17
	s_and_saveexec_b32 s17, s3
	s_cbranch_execz .LBB30_34
.LBB30_41:                              ;   in Loop: Header=BB30_5 Depth=1
	v_add_co_u32 v1, vcc_lo, v89, v53
	v_add_co_ci_u32_e32 v2, vcc_lo, v90, v54, vcc_lo
	v_add_co_u32 v4, vcc_lo, v91, v53
	v_add_co_ci_u32_e32 v5, vcc_lo, v92, v54, vcc_lo
	global_load_b64 v[35:36], v[1:2], off
	global_load_b64 v[19:20], v[4:5], off
	s_or_b32 exec_lo, exec_lo, s17
	s_and_saveexec_b32 s17, s3
	s_cbranch_execz .LBB30_35
.LBB30_42:                              ;   in Loop: Header=BB30_5 Depth=1
	v_add_co_u32 v1, vcc_lo, v85, v53
	v_add_co_ci_u32_e32 v2, vcc_lo, v86, v54, vcc_lo
	v_add_co_u32 v4, vcc_lo, v87, v53
	v_add_co_ci_u32_e32 v5, vcc_lo, v88, v54, vcc_lo
	global_load_b64 v[37:38], v[1:2], off
	global_load_b64 v[21:22], v[4:5], off
	s_or_b32 exec_lo, exec_lo, s17
	s_and_saveexec_b32 s17, s3
	s_cbranch_execz .LBB30_36
.LBB30_43:                              ;   in Loop: Header=BB30_5 Depth=1
	v_add_co_u32 v1, vcc_lo, v81, v53
	v_add_co_ci_u32_e32 v2, vcc_lo, v82, v54, vcc_lo
	v_add_co_u32 v4, vcc_lo, v83, v53
	v_add_co_ci_u32_e32 v5, vcc_lo, v84, v54, vcc_lo
	global_load_b64 v[39:40], v[1:2], off
	global_load_b64 v[23:24], v[4:5], off
	s_or_b32 exec_lo, exec_lo, s17
	s_and_saveexec_b32 s17, s3
	s_cbranch_execz .LBB30_37
.LBB30_44:                              ;   in Loop: Header=BB30_5 Depth=1
	v_add_co_u32 v1, vcc_lo, v77, v53
	v_add_co_ci_u32_e32 v2, vcc_lo, v78, v54, vcc_lo
	v_add_co_u32 v4, vcc_lo, v79, v53
	v_add_co_ci_u32_e32 v5, vcc_lo, v80, v54, vcc_lo
	global_load_b64 v[41:42], v[1:2], off
	global_load_b64 v[25:26], v[4:5], off
	s_or_b32 exec_lo, exec_lo, s17
	s_and_saveexec_b32 s17, s3
	s_cbranch_execz .LBB30_38
.LBB30_45:                              ;   in Loop: Header=BB30_5 Depth=1
	v_add_co_u32 v1, vcc_lo, v73, v53
	v_add_co_ci_u32_e32 v2, vcc_lo, v74, v54, vcc_lo
	v_add_co_u32 v4, vcc_lo, v75, v53
	v_add_co_ci_u32_e32 v5, vcc_lo, v76, v54, vcc_lo
	global_load_b64 v[43:44], v[1:2], off
	global_load_b64 v[27:28], v[4:5], off
	s_or_b32 exec_lo, exec_lo, s17
	s_and_saveexec_b32 s17, s3
	s_cbranch_execz .LBB30_39
.LBB30_46:                              ;   in Loop: Header=BB30_5 Depth=1
	v_add_co_u32 v1, vcc_lo, v69, v53
	v_add_co_ci_u32_e32 v2, vcc_lo, v70, v54, vcc_lo
	v_add_co_u32 v4, vcc_lo, v71, v53
	v_add_co_ci_u32_e32 v5, vcc_lo, v72, v54, vcc_lo
	global_load_b64 v[45:46], v[1:2], off
	global_load_b64 v[29:30], v[4:5], off
	s_or_b32 exec_lo, exec_lo, s17
	s_and_saveexec_b32 s17, s3
	s_cbranch_execz .LBB30_3
.LBB30_47:                              ;   in Loop: Header=BB30_5 Depth=1
	v_add_co_u32 v1, vcc_lo, v65, v53
	v_add_co_ci_u32_e32 v2, vcc_lo, v66, v54, vcc_lo
	v_add_co_u32 v4, vcc_lo, v67, v53
	v_add_co_ci_u32_e32 v5, vcc_lo, v68, v54, vcc_lo
	global_load_b64 v[47:48], v[1:2], off
	global_load_b64 v[31:32], v[4:5], off
	s_branch .LBB30_3
.LBB30_48:
                                        ; implicit-def: $vgpr51_vgpr52
                                        ; implicit-def: $vgpr49_vgpr50
	s_branch .LBB30_50
.LBB30_49:
	s_cbranch_execnz .LBB30_81
.LBB30_50:
	v_mov_b32_e32 v51, 0
	v_mov_b32_e32 v52, 0
	s_delay_alu instid0(VALU_DEP_2) | instskip(SKIP_1) | instid1(VALU_DEP_2)
	v_mov_b32_e32 v49, v51
	s_and_not1_b32 vcc_lo, exec_lo, s33
	v_mov_b32_e32 v50, v52
	s_cbranch_vccnz .LBB30_81
; %bb.51:
	v_bfe_u32 v48, v0, 10, 10
	v_mov_b32_e32 v49, 0
	v_dual_mov_b32 v50, 0 :: v_dual_and_b32 v77, 0x3ff, v0
	s_add_u32 s4, s0, 64
	s_delay_alu instid0(VALU_DEP_3)
	v_lshlrev_b32_e32 v1, 6, v48
	s_load_b32 s3, s[0:1], 0x44
	s_addc_u32 s5, s1, 0
	v_mov_b32_e32 v52, v50
	s_lshl_b64 s[12:13], s[6:7], 3
	v_dual_mov_b32 v3, 0 :: v_dual_add_nc_u32 v2, s15, v77
	v_add_co_u32 v1, s12, v1, s12
	s_delay_alu instid0(VALU_DEP_1) | instskip(NEXT) | instid1(VALU_DEP_3)
	v_add_co_ci_u32_e64 v4, null, 0, s13, s12
	v_lshlrev_b64 v[38:39], 3, v[2:3]
	s_delay_alu instid0(VALU_DEP_3) | instskip(NEXT) | instid1(VALU_DEP_3)
	v_add_co_u32 v6, vcc_lo, v1, 8
	v_add_co_ci_u32_e32 v5, vcc_lo, 0, v4, vcc_lo
	v_add_co_u32 v9, vcc_lo, v1, 16
	v_add_co_ci_u32_e32 v2, vcc_lo, 0, v4, vcc_lo
	v_add_co_u32 v11, vcc_lo, v1, 24
	v_dual_mov_b32 v79, v3 :: v_dual_lshlrev_b32 v78, 3, v48
	s_delay_alu instid0(VALU_DEP_3)
	v_mul_lo_u32 v10, s38, v2
	v_add_co_ci_u32_e32 v2, vcc_lo, 0, v4, vcc_lo
	v_add_co_u32 v13, vcc_lo, v1, 32
	s_waitcnt lgkmcnt(0)
	s_lshl_b32 s15, s3, 3
	v_mul_lo_u32 v7, s38, v5
	v_add_co_ci_u32_e32 v5, vcc_lo, 0, v4, vcc_lo
	v_add_co_u32 v17, vcc_lo, v1, 40
	s_mul_i32 s3, s39, s15
	s_mul_hi_u32 s12, s38, s15
	v_mul_lo_u32 v14, s38, v2
	v_add_co_ci_u32_e32 v2, vcc_lo, 0, v4, vcc_lo
	s_add_i32 s13, s12, s3
	v_add_co_u32 v19, vcc_lo, v1, 48
	v_add_co_u32 v24, s3, v78, s6
	v_mul_lo_u32 v16, s38, v5
	v_add_co_ci_u32_e32 v5, vcc_lo, 0, v4, vcc_lo
	v_add_co_ci_u32_e64 v25, null, 0, 0, s3
	v_mul_lo_u32 v20, s38, v2
	s_delay_alu instid0(VALU_DEP_3)
	v_mul_lo_u32 v22, s38, v5
	v_add_co_u32 v26, vcc_lo, v1, 56
	v_mul_lo_u32 v5, s39, v24
	v_mul_lo_u32 v27, s38, v25
	v_mad_u64_u32 v[1:2], null, s38, v24, 0
	v_add_co_ci_u32_e32 v4, vcc_lo, 0, v4, vcc_lo
	v_mad_u64_u32 v[36:37], null, s38, v6, s[40:41]
	v_mul_lo_u32 v8, s39, v6
	s_delay_alu instid0(VALU_DEP_3) | instskip(SKIP_3) | instid1(VALU_DEP_3)
	v_mul_lo_u32 v28, s38, v4
	v_add3_u32 v2, v2, v27, v5
	v_mad_u64_u32 v[57:58], null, s38, v6, s[42:43]
	v_mad_u64_u32 v[40:41], null, s38, v9, s[40:41]
	v_lshlrev_b64 v[4:5], 3, v[1:2]
	v_mul_lo_u32 v12, s39, v9
	v_mad_u64_u32 v[59:60], null, s38, v9, s[42:43]
	v_add3_u32 v37, v8, v37, v7
	v_add3_u32 v58, v8, v58, v7
	v_add_co_u32 v80, vcc_lo, s40, v4
	v_add_co_ci_u32_e32 v81, vcc_lo, s41, v5, vcc_lo
	v_add_co_u32 v8, vcc_lo, v24, 7
	v_add_co_ci_u32_e32 v6, vcc_lo, 0, v25, vcc_lo
	v_mad_u64_u32 v[42:43], null, s38, v11, s[40:41]
	v_mul_lo_u32 v15, s39, v11
	v_mad_u64_u32 v[61:62], null, s38, v11, s[42:43]
	v_add3_u32 v41, v12, v41, v10
	v_add3_u32 v60, v12, v60, v10
	v_add_co_u32 v12, vcc_lo, v24, 6
	v_mul_lo_u32 v10, s39, v8
	v_mul_lo_u32 v11, s38, v6
	v_mad_u64_u32 v[6:7], null, s38, v8, 0
	v_add_co_ci_u32_e32 v9, vcc_lo, 0, v25, vcc_lo
	v_mad_u64_u32 v[44:45], null, s38, v13, s[40:41]
	v_mul_lo_u32 v18, s39, v13
	v_add3_u32 v43, v15, v43, v14
	v_mad_u64_u32 v[63:64], null, s38, v13, s[42:43]
	v_add3_u32 v62, v15, v62, v14
	v_mul_lo_u32 v13, s39, v12
	v_mul_lo_u32 v14, s38, v9
	v_mad_u64_u32 v[8:9], null, s38, v12, 0
	v_add3_u32 v7, v7, v11, v10
	v_add_co_u32 v82, vcc_lo, s42, v4
	v_add_co_ci_u32_e32 v83, vcc_lo, s43, v5, vcc_lo
	s_delay_alu instid0(VALU_DEP_3) | instskip(SKIP_3) | instid1(VALU_DEP_4)
	v_lshlrev_b64 v[4:5], 3, v[6:7]
	v_add3_u32 v9, v9, v14, v13
	v_add_co_u32 v10, vcc_lo, v24, 5
	v_add_co_ci_u32_e32 v11, vcc_lo, 0, v25, vcc_lo
	v_add_co_u32 v84, vcc_lo, s40, v4
	s_delay_alu instid0(VALU_DEP_4)
	v_lshlrev_b64 v[6:7], 3, v[8:9]
	v_add_co_ci_u32_e32 v85, vcc_lo, s41, v5, vcc_lo
	v_mul_lo_u32 v12, s39, v10
	v_mul_lo_u32 v11, s38, v11
	v_mad_u64_u32 v[8:9], null, s38, v10, 0
	v_add_co_u32 v86, vcc_lo, s42, v4
	v_add_co_ci_u32_e32 v87, vcc_lo, s43, v5, vcc_lo
	v_add_co_u32 v88, vcc_lo, s40, v6
	v_add_co_ci_u32_e32 v89, vcc_lo, s41, v7, vcc_lo
	v_add_co_u32 v10, vcc_lo, v24, 4
	v_add3_u32 v9, v9, v11, v12
	v_add_co_u32 v90, s3, s42, v6
	v_add_co_ci_u32_e32 v6, vcc_lo, 0, v25, vcc_lo
	v_add_co_u32 v12, vcc_lo, v24, 3
	s_delay_alu instid0(VALU_DEP_4)
	v_lshlrev_b64 v[4:5], 3, v[8:9]
	v_add_co_ci_u32_e32 v8, vcc_lo, 0, v25, vcc_lo
	v_add_co_ci_u32_e64 v91, s3, s43, v7, s3
	v_mul_lo_u32 v11, s39, v10
	v_mul_lo_u32 v13, s38, v6
	v_mad_u64_u32 v[6:7], null, s38, v10, 0
	v_mul_lo_u32 v10, s39, v12
	v_mul_lo_u32 v14, s38, v8
	v_mad_u64_u32 v[8:9], null, s38, v12, 0
	v_add_co_u32 v92, vcc_lo, s40, v4
	v_add_co_ci_u32_e32 v93, vcc_lo, s41, v5, vcc_lo
	v_add3_u32 v7, v7, v13, v11
	v_add_co_u32 v94, vcc_lo, s42, v4
	v_add_co_ci_u32_e32 v95, vcc_lo, s43, v5, vcc_lo
	v_add3_u32 v9, v9, v14, v10
	v_add_co_u32 v10, vcc_lo, v24, 2
	v_lshlrev_b64 v[4:5], 3, v[6:7]
	v_add_co_ci_u32_e32 v11, vcc_lo, 0, v25, vcc_lo
	s_delay_alu instid0(VALU_DEP_4) | instskip(NEXT) | instid1(VALU_DEP_4)
	v_lshlrev_b64 v[6:7], 3, v[8:9]
	v_mul_lo_u32 v12, s39, v10
	v_mad_u64_u32 v[8:9], null, s38, v10, 0
	v_add_co_u32 v96, vcc_lo, s40, v4
	v_mul_lo_u32 v11, s38, v11
	v_add_co_ci_u32_e32 v97, vcc_lo, s41, v5, vcc_lo
	v_add_co_u32 v98, vcc_lo, s42, v4
	v_add_co_ci_u32_e32 v99, vcc_lo, s43, v5, vcc_lo
	v_add_co_u32 v100, vcc_lo, s40, v6
	v_add_co_ci_u32_e32 v101, vcc_lo, s41, v7, vcc_lo
	v_add3_u32 v9, v9, v11, v12
	v_add_co_u32 v102, vcc_lo, s42, v6
	v_add_co_ci_u32_e32 v103, vcc_lo, s43, v7, vcc_lo
	v_add_co_u32 v1, vcc_lo, v1, s38
	s_delay_alu instid0(VALU_DEP_4) | instskip(SKIP_3) | instid1(VALU_DEP_4)
	v_lshlrev_b64 v[4:5], 3, v[8:9]
	v_add_co_ci_u32_e32 v2, vcc_lo, s39, v2, vcc_lo
	v_mad_u64_u32 v[46:47], null, s38, v17, s[40:41]
	v_mul_lo_u32 v21, s39, v17
	v_add_co_u32 v104, vcc_lo, s40, v4
	s_delay_alu instid0(VALU_DEP_4)
	v_lshlrev_b64 v[1:2], 3, v[1:2]
	v_add_co_ci_u32_e32 v105, vcc_lo, s41, v5, vcc_lo
	v_mad_u64_u32 v[53:54], null, s38, v19, s[40:41]
	v_mul_lo_u32 v23, s39, v19
	v_mad_u64_u32 v[55:56], null, s38, v26, s[40:41]
	v_mul_lo_u32 v29, s39, v26
	v_mad_u64_u32 v[65:66], null, s38, v17, s[42:43]
	v_mad_u64_u32 v[67:68], null, s38, v19, s[42:43]
	;; [unrolled: 1-line block ×3, first 2 shown]
	v_add_co_u32 v106, vcc_lo, s42, v4
	v_add_co_ci_u32_e32 v107, vcc_lo, s43, v5, vcc_lo
	v_add_co_u32 v108, vcc_lo, s40, v1
	v_add_co_ci_u32_e32 v109, vcc_lo, s41, v2, vcc_lo
	v_add_co_u32 v110, vcc_lo, s42, v1
	v_add3_u32 v45, v18, v45, v16
	v_add3_u32 v47, v21, v47, v20
	;; [unrolled: 1-line block ×8, first 2 shown]
	v_add_co_ci_u32_e32 v111, vcc_lo, s43, v2, vcc_lo
	v_mov_b32_e32 v51, v49
	s_mul_i32 s12, s38, s15
	s_mov_b32 s16, 0
	s_lshl_b64 s[12:13], s[12:13], 3
	s_mov_b64 s[34:35], 7
	s_mov_b64 s[40:41], s[6:7]
	s_branch .LBB30_55
.LBB30_52:                              ;   in Loop: Header=BB30_55 Depth=1
	s_or_b32 exec_lo, exec_lo, s7
.LBB30_53:                              ;   in Loop: Header=BB30_55 Depth=1
	s_delay_alu instid0(SALU_CYCLE_1)
	s_or_b32 exec_lo, exec_lo, s3
	v_add_co_u32 v6, vcc_lo, v82, v38
	v_add_co_ci_u32_e32 v7, vcc_lo, v83, v39, vcc_lo
	v_add_co_u32 v8, vcc_lo, v57, v38
	v_add_co_ci_u32_e32 v9, vcc_lo, v58, v39, vcc_lo
	global_load_b64 v[6:7], v[6:7], off
	v_add_co_u32 v10, vcc_lo, v80, v38
	v_add_co_ci_u32_e32 v11, vcc_lo, v81, v39, vcc_lo
	global_load_b64 v[8:9], v[8:9], off
	global_load_b64 v[10:11], v[10:11], off
	v_add_co_u32 v12, vcc_lo, v59, v38
	v_add_co_ci_u32_e32 v13, vcc_lo, v60, v39, vcc_lo
	v_add_co_u32 v14, vcc_lo, v36, v38
	v_add_co_ci_u32_e32 v15, vcc_lo, v37, v39, vcc_lo
	global_load_b64 v[12:13], v[12:13], off
	global_load_b64 v[14:15], v[14:15], off
	v_add_co_u32 v16, vcc_lo, v61, v38
	v_add_co_ci_u32_e32 v17, vcc_lo, v62, v39, vcc_lo
	;; [unrolled: 6-line block ×5, first 2 shown]
	v_add_co_u32 v30, vcc_lo, v67, v38
	v_add_co_ci_u32_e32 v31, vcc_lo, v68, v39, vcc_lo
	v_add_co_u32 v32, vcc_lo, v69, v38
	v_add_co_ci_u32_e32 v33, vcc_lo, v70, v39, vcc_lo
	global_load_b64 v[30:31], v[30:31], off
	global_load_b64 v[34:35], v[18:19], off
	;; [unrolled: 1-line block ×3, first 2 shown]
	v_add_co_u32 v18, vcc_lo, v53, v38
	v_add_co_ci_u32_e32 v19, vcc_lo, v54, v39, vcc_lo
	v_add_co_u32 v71, vcc_lo, v55, v38
	v_add_co_ci_u32_e32 v72, vcc_lo, v56, v39, vcc_lo
	global_load_b64 v[73:74], v[18:19], off
	global_load_b64 v[18:19], v[71:72], off
	s_waitcnt vmcnt(17)
	ds_bpermute_b32 v71, v3, v4
	ds_bpermute_b32 v72, v3, v5
	s_waitcnt vmcnt(16)
	ds_bpermute_b32 v75, v3, v1
	ds_bpermute_b32 v76, v3, v2
	s_waitcnt vmcnt(15) lgkmcnt(2)
	v_add_f64 v[6:7], v[6:7], -v[71:72]
	ds_bpermute_b32 v71, v3, v4 offset:4
	ds_bpermute_b32 v72, v3, v5 offset:4
	s_waitcnt vmcnt(14) lgkmcnt(0)
	v_add_f64 v[8:9], v[8:9], -v[71:72]
	ds_bpermute_b32 v71, v3, v4 offset:8
	ds_bpermute_b32 v72, v3, v5 offset:8
	s_waitcnt vmcnt(13)
	v_mul_f64 v[6:7], v[10:11], v[6:7]
	v_add_f64 v[10:11], v[51:52], v[10:11]
	ds_bpermute_b32 v51, v3, v1 offset:4
	ds_bpermute_b32 v52, v3, v2 offset:4
	s_waitcnt vmcnt(12) lgkmcnt(2)
	v_add_f64 v[12:13], v[12:13], -v[71:72]
	s_waitcnt vmcnt(11)
	v_mul_f64 v[8:9], v[14:15], v[8:9]
	v_fma_f64 v[6:7], v[6:7], v[75:76], v[49:50]
	ds_bpermute_b32 v49, v3, v4 offset:12
	ds_bpermute_b32 v50, v3, v5 offset:12
	v_add_f64 v[10:11], v[10:11], v[14:15]
	ds_bpermute_b32 v14, v3, v1 offset:8
	ds_bpermute_b32 v15, v3, v2 offset:8
	s_waitcnt vmcnt(9)
	v_mul_f64 v[12:13], v[20:21], v[12:13]
	s_waitcnt lgkmcnt(2)
	v_add_f64 v[16:17], v[16:17], -v[49:50]
	v_fma_f64 v[6:7], v[8:9], v[51:52], v[6:7]
	ds_bpermute_b32 v8, v3, v4 offset:16
	ds_bpermute_b32 v9, v3, v5 offset:16
	v_add_f64 v[10:11], v[10:11], v[20:21]
	s_waitcnt vmcnt(8) lgkmcnt(0)
	v_add_f64 v[8:9], v[24:25], -v[8:9]
	s_waitcnt vmcnt(7)
	v_mul_f64 v[16:17], v[22:23], v[16:17]
	v_fma_f64 v[6:7], v[12:13], v[14:15], v[6:7]
	ds_bpermute_b32 v12, v3, v4 offset:20
	ds_bpermute_b32 v13, v3, v5 offset:20
	;; [unrolled: 1-line block ×4, first 2 shown]
	v_add_f64 v[10:11], v[10:11], v[22:23]
	s_waitcnt vmcnt(6) lgkmcnt(2)
	v_add_f64 v[12:13], v[28:29], -v[12:13]
	s_waitcnt vmcnt(5)
	v_mul_f64 v[8:9], v[26:27], v[8:9]
	s_waitcnt lgkmcnt(0)
	v_fma_f64 v[6:7], v[16:17], v[14:15], v[6:7]
	ds_bpermute_b32 v14, v3, v4 offset:24
	ds_bpermute_b32 v15, v3, v5 offset:24
	;; [unrolled: 1-line block ×6, first 2 shown]
	v_add_f64 v[10:11], v[10:11], v[26:27]
	s_waitcnt vmcnt(4) lgkmcnt(4)
	v_add_f64 v[14:15], v[30:31], -v[14:15]
	s_waitcnt vmcnt(3)
	v_mul_f64 v[12:13], v[34:35], v[12:13]
	s_waitcnt vmcnt(2) lgkmcnt(0)
	v_add_f64 v[4:5], v[32:33], -v[4:5]
	v_fma_f64 v[6:7], v[8:9], v[16:17], v[6:7]
	ds_bpermute_b32 v8, v3, v1 offset:20
	ds_bpermute_b32 v9, v3, v2 offset:20
	v_add_f64 v[10:11], v[10:11], v[34:35]
	s_waitcnt vmcnt(1)
	v_mul_f64 v[14:15], v[73:74], v[14:15]
	s_waitcnt vmcnt(0)
	v_mul_f64 v[4:5], v[18:19], v[4:5]
	s_waitcnt lgkmcnt(0)
	v_fma_f64 v[6:7], v[12:13], v[8:9], v[6:7]
	ds_bpermute_b32 v8, v3, v1 offset:24
	ds_bpermute_b32 v9, v3, v2 offset:24
	;; [unrolled: 1-line block ×4, first 2 shown]
	v_add_f64 v[1:2], v[10:11], v[73:74]
	s_waitcnt lgkmcnt(0)
	v_mul_f64 v[4:5], v[4:5], v[12:13]
	v_fma_f64 v[6:7], v[14:15], v[8:9], v[6:7]
.LBB30_54:                              ;   in Loop: Header=BB30_55 Depth=1
	v_add_co_u32 v78, vcc_lo, v78, s15
	v_add_co_ci_u32_e32 v79, vcc_lo, 0, v79, vcc_lo
	v_add_co_u32 v36, vcc_lo, v36, s12
	v_add_co_ci_u32_e32 v37, vcc_lo, s13, v37, vcc_lo
	;; [unrolled: 2-line block ×19, first 2 shown]
	v_add_co_u32 v88, vcc_lo, v88, s12
	v_add_f64 v[49:50], v[6:7], v[4:5]
	v_add_f64 v[51:52], v[1:2], v[18:19]
	v_add_co_ci_u32_e32 v89, vcc_lo, s13, v89, vcc_lo
	v_add_co_u32 v90, vcc_lo, v90, s12
	v_add_co_ci_u32_e32 v91, vcc_lo, s13, v91, vcc_lo
	v_add_co_u32 v92, vcc_lo, v92, s12
	;; [unrolled: 2-line block ×9, first 2 shown]
	s_add_u32 s40, s40, s15
	v_add_co_ci_u32_e32 v107, vcc_lo, s13, v107, vcc_lo
	s_addc_u32 s41, s41, 0
	v_add_co_u32 v108, vcc_lo, v108, s12
	v_add_co_ci_u32_e32 v109, vcc_lo, s13, v109, vcc_lo
	v_cmp_ge_i64_e64 s3, s[40:41], s[36:37]
	v_add_co_u32 v110, vcc_lo, v110, s12
	v_add_co_ci_u32_e32 v111, vcc_lo, s13, v111, vcc_lo
	s_add_u32 s34, s34, s15
	s_addc_u32 s35, s35, 0
	s_delay_alu instid0(VALU_DEP_3)
	s_and_b32 vcc_lo, exec_lo, s3
	s_cbranch_vccnz .LBB30_81
.LBB30_55:                              ; =>This Inner Loop Header: Depth=1
	s_add_u32 s18, s6, s34
	s_addc_u32 s19, 0, s35
	v_add_co_u32 v71, vcc_lo, s6, v78
	v_cmp_ge_i64_e64 s3, s[18:19], s[36:37]
	v_add_co_ci_u32_e32 v72, vcc_lo, 0, v79, vcc_lo
	s_delay_alu instid0(VALU_DEP_2)
	s_and_b32 vcc_lo, exec_lo, s3
	s_cbranch_vccz .LBB30_77
; %bb.56:                               ;   in Loop: Header=BB30_55 Depth=1
	s_load_b32 s3, s[4:5], 0xc
	v_mov_b32_e32 v73, 0
	s_waitcnt lgkmcnt(0)
	s_and_b32 s3, s3, 0xffff
	s_delay_alu instid0(SALU_CYCLE_1) | instskip(SKIP_2) | instid1(VALU_DEP_1)
	v_mad_u32_u24 v1, v48, s3, v77
	v_mov_b32_e32 v74, 0
	s_mov_b32 s3, exec_lo
	v_dual_mov_b32 v76, v74 :: v_dual_and_b32 v1, 31, v1
	v_mov_b32_e32 v75, v73
	s_delay_alu instid0(VALU_DEP_2)
	v_cmpx_gt_u32_e32 8, v1
	s_cbranch_execz .LBB30_60
; %bb.57:                               ;   in Loop: Header=BB30_55 Depth=1
	v_mov_b32_e32 v75, 0
	v_mov_b32_e32 v76, 0
	v_add_co_u32 v1, vcc_lo, v71, v1
	v_add_co_ci_u32_e32 v2, vcc_lo, 0, v72, vcc_lo
	s_delay_alu instid0(VALU_DEP_3) | instskip(SKIP_1) | instid1(VALU_DEP_2)
	v_dual_mov_b32 v73, v75 :: v_dual_mov_b32 v74, v76
	s_mov_b32 s7, exec_lo
	v_cmpx_gt_i64_e64 s[36:37], v[1:2]
	s_cbranch_execz .LBB30_59
; %bb.58:                               ;   in Loop: Header=BB30_55 Depth=1
	v_lshlrev_b64 v[1:2], 3, v[1:2]
	s_delay_alu instid0(VALU_DEP_1) | instskip(NEXT) | instid1(VALU_DEP_2)
	v_add_co_u32 v4, vcc_lo, s8, v1
	v_add_co_ci_u32_e32 v5, vcc_lo, s9, v2, vcc_lo
	v_add_co_u32 v1, vcc_lo, s10, v1
	v_add_co_ci_u32_e32 v2, vcc_lo, s11, v2, vcc_lo
	global_load_b64 v[75:76], v[4:5], off
	global_load_b64 v[73:74], v[1:2], off
.LBB30_59:                              ;   in Loop: Header=BB30_55 Depth=1
	s_or_b32 exec_lo, exec_lo, s7
.LBB30_60:                              ;   in Loop: Header=BB30_55 Depth=1
	s_delay_alu instid0(SALU_CYCLE_1)
	s_or_b32 exec_lo, exec_lo, s3
	s_mov_b32 s31, s16
	s_mov_b32 s17, s16
	;; [unrolled: 1-line block ×15, first 2 shown]
	s_delay_alu instid0(SALU_CYCLE_1)
	v_dual_mov_b32 v35, s31 :: v_dual_mov_b32 v34, s30
	v_dual_mov_b32 v21, s17 :: v_dual_mov_b32 v20, s16
	v_dual_mov_b32 v33, s29 :: v_dual_mov_b32 v32, s28
	v_dual_mov_b32 v31, s27 :: v_dual_mov_b32 v30, s26
	v_dual_mov_b32 v29, s25 :: v_dual_mov_b32 v28, s24
	v_dual_mov_b32 v27, s23 :: v_dual_mov_b32 v26, s22
	v_dual_mov_b32 v25, s21 :: v_dual_mov_b32 v24, s20
	v_dual_mov_b32 v23, s19 :: v_dual_mov_b32 v22, s18
	v_dual_mov_b32 v4, v20 :: v_dual_mov_b32 v5, v21
	s_delay_alu instid0(VALU_DEP_3) | instskip(NEXT) | instid1(VALU_DEP_3)
	v_dual_mov_b32 v8, v24 :: v_dual_mov_b32 v9, v25
	v_dual_mov_b32 v6, v22 :: v_dual_mov_b32 v7, v23
	;; [unrolled: 1-line block ×7, first 2 shown]
	s_mov_b32 s3, exec_lo
	v_cmpx_gt_i64_e64 s[36:37], v[71:72]
	s_cbranch_execz .LBB30_62
; %bb.61:                               ;   in Loop: Header=BB30_55 Depth=1
	v_add_co_u32 v1, vcc_lo, v80, v38
	v_add_co_ci_u32_e32 v2, vcc_lo, v81, v39, vcc_lo
	v_add_co_u32 v4, vcc_lo, v82, v38
	v_add_co_ci_u32_e32 v5, vcc_lo, v83, v39, vcc_lo
	global_load_b64 v[1:2], v[1:2], off
	v_mov_b32_e32 v16, v3
	v_mov_b32_e32 v6, v3
	global_load_b64 v[20:21], v[4:5], off
	v_mov_b32_e32 v4, v3
	v_mov_b32_e32 v5, v3
	;; [unrolled: 1-line block ×11, first 2 shown]
	s_waitcnt vmcnt(1)
	v_dual_mov_b32 v22, v3 :: v_dual_mov_b32 v19, v16
	v_mov_b32_e32 v23, v3
	v_dual_mov_b32 v24, v3 :: v_dual_mov_b32 v17, v14
	v_mov_b32_e32 v31, v3
	v_mov_b32_e32 v33, v3
	;; [unrolled: 1-line block ×4, first 2 shown]
	v_dual_mov_b32 v26, v3 :: v_dual_mov_b32 v15, v12
	v_mov_b32_e32 v14, v11
	v_dual_mov_b32 v28, v3 :: v_dual_mov_b32 v13, v10
	v_dual_mov_b32 v25, v3 :: v_dual_mov_b32 v12, v9
	;; [unrolled: 1-line block ×3, first 2 shown]
	v_mov_b32_e32 v10, v7
	v_dual_mov_b32 v32, v3 :: v_dual_mov_b32 v9, v6
	v_dual_mov_b32 v27, v3 :: v_dual_mov_b32 v8, v5
	;; [unrolled: 1-line block ×3, first 2 shown]
	v_mov_b32_e32 v6, v3
	v_mov_b32_e32 v35, v3
	;; [unrolled: 1-line block ×3, first 2 shown]
	v_dual_mov_b32 v29, v3 :: v_dual_mov_b32 v4, v1
.LBB30_62:                              ;   in Loop: Header=BB30_55 Depth=1
	s_or_b32 exec_lo, exec_lo, s3
	v_add_co_u32 v1, vcc_lo, v71, 1
	v_add_co_ci_u32_e32 v2, vcc_lo, 0, v72, vcc_lo
	s_mov_b32 s3, exec_lo
	s_delay_alu instid0(VALU_DEP_1)
	v_cmpx_gt_i64_e64 s[36:37], v[1:2]
	s_cbranch_execz .LBB30_64
; %bb.63:                               ;   in Loop: Header=BB30_55 Depth=1
	v_add_co_u32 v1, vcc_lo, v108, v38
	v_add_co_ci_u32_e32 v2, vcc_lo, v109, v39, vcc_lo
	v_add_co_u32 v22, vcc_lo, v110, v38
	v_add_co_ci_u32_e32 v23, vcc_lo, v111, v39, vcc_lo
	global_load_b64 v[6:7], v[1:2], off
	global_load_b64 v[22:23], v[22:23], off
.LBB30_64:                              ;   in Loop: Header=BB30_55 Depth=1
	s_or_b32 exec_lo, exec_lo, s3
	v_add_co_u32 v1, vcc_lo, v71, 2
	v_add_co_ci_u32_e32 v2, vcc_lo, 0, v72, vcc_lo
	s_mov_b32 s3, exec_lo
	s_delay_alu instid0(VALU_DEP_1)
	v_cmpx_gt_i64_e64 s[36:37], v[1:2]
	s_cbranch_execz .LBB30_66
; %bb.65:                               ;   in Loop: Header=BB30_55 Depth=1
	v_add_co_u32 v1, vcc_lo, v104, v38
	v_add_co_ci_u32_e32 v2, vcc_lo, v105, v39, vcc_lo
	v_add_co_u32 v24, vcc_lo, v106, v38
	v_add_co_ci_u32_e32 v25, vcc_lo, v107, v39, vcc_lo
	global_load_b64 v[8:9], v[1:2], off
	global_load_b64 v[24:25], v[24:25], off
.LBB30_66:                              ;   in Loop: Header=BB30_55 Depth=1
	;; [unrolled: 15-line block ×7, first 2 shown]
	s_or_b32 exec_lo, exec_lo, s3
	s_waitcnt vmcnt(1)
	ds_bpermute_b32 v1, v3, v75
	ds_bpermute_b32 v2, v3, v76
	s_waitcnt vmcnt(0)
	ds_bpermute_b32 v112, v3, v73
	ds_bpermute_b32 v113, v3, v74
	s_waitcnt lgkmcnt(2)
	v_add_f64 v[1:2], v[20:21], -v[1:2]
	ds_bpermute_b32 v20, v3, v75 offset:4
	ds_bpermute_b32 v21, v3, v76 offset:4
	s_waitcnt lgkmcnt(0)
	v_add_f64 v[20:21], v[22:23], -v[20:21]
	ds_bpermute_b32 v22, v3, v75 offset:8
	ds_bpermute_b32 v23, v3, v76 offset:8
	v_mul_f64 v[1:2], v[4:5], v[1:2]
	v_add_f64 v[4:5], v[51:52], v[4:5]
	s_waitcnt lgkmcnt(0)
	v_add_f64 v[22:23], v[24:25], -v[22:23]
	ds_bpermute_b32 v24, v3, v75 offset:12
	ds_bpermute_b32 v25, v3, v76 offset:12
	v_mul_f64 v[20:21], v[6:7], v[20:21]
	s_waitcnt lgkmcnt(0)
	v_add_f64 v[24:25], v[26:27], -v[24:25]
	v_fma_f64 v[1:2], v[1:2], v[112:113], v[49:50]
	ds_bpermute_b32 v112, v3, v73 offset:4
	ds_bpermute_b32 v113, v3, v74 offset:4
	v_add_f64 v[4:5], v[6:7], v[4:5]
	v_mul_f64 v[6:7], v[8:9], v[22:23]
	ds_bpermute_b32 v22, v3, v73 offset:8
	ds_bpermute_b32 v23, v3, v74 offset:8
	v_mul_f64 v[24:25], v[10:11], v[24:25]
	s_waitcnt lgkmcnt(2)
	v_fma_f64 v[1:2], v[20:21], v[112:113], v[1:2]
	ds_bpermute_b32 v20, v3, v75 offset:16
	ds_bpermute_b32 v21, v3, v76 offset:16
	v_add_f64 v[4:5], v[8:9], v[4:5]
	ds_bpermute_b32 v8, v3, v73 offset:12
	ds_bpermute_b32 v9, v3, v74 offset:12
	s_waitcnt lgkmcnt(2)
	v_add_f64 v[20:21], v[28:29], -v[20:21]
	v_fma_f64 v[1:2], v[6:7], v[22:23], v[1:2]
	ds_bpermute_b32 v6, v3, v75 offset:20
	ds_bpermute_b32 v7, v3, v76 offset:20
	v_add_f64 v[4:5], v[10:11], v[4:5]
	ds_bpermute_b32 v10, v3, v73 offset:16
	ds_bpermute_b32 v11, v3, v74 offset:16
	;; [unrolled: 1-line block ×4, first 2 shown]
	s_waitcnt lgkmcnt(4)
	v_add_f64 v[6:7], v[30:31], -v[6:7]
	v_mul_f64 v[20:21], v[12:13], v[20:21]
	v_fma_f64 v[1:2], v[24:25], v[8:9], v[1:2]
	ds_bpermute_b32 v8, v3, v75 offset:24
	ds_bpermute_b32 v9, v3, v76 offset:24
	v_add_f64 v[4:5], v[12:13], v[4:5]
	ds_bpermute_b32 v12, v3, v73 offset:20
	ds_bpermute_b32 v13, v3, v74 offset:20
	s_waitcnt lgkmcnt(2)
	v_add_f64 v[8:9], v[32:33], -v[8:9]
	v_mul_f64 v[6:7], v[14:15], v[6:7]
	v_fma_f64 v[1:2], v[20:21], v[10:11], v[1:2]
	v_add_f64 v[10:11], v[34:35], -v[22:23]
	v_add_f64 v[4:5], v[14:15], v[4:5]
	ds_bpermute_b32 v14, v3, v73 offset:28
	ds_bpermute_b32 v15, v3, v74 offset:28
	v_mul_f64 v[8:9], v[16:17], v[8:9]
	s_waitcnt lgkmcnt(2)
	v_fma_f64 v[6:7], v[6:7], v[12:13], v[1:2]
	v_mul_f64 v[10:11], v[18:19], v[10:11]
	ds_bpermute_b32 v12, v3, v73 offset:24
	ds_bpermute_b32 v13, v3, v74 offset:24
	v_add_f64 v[1:2], v[16:17], v[4:5]
	s_waitcnt lgkmcnt(0)
	v_fma_f64 v[6:7], v[8:9], v[12:13], v[6:7]
	v_mul_f64 v[4:5], v[10:11], v[14:15]
	s_branch .LBB30_54
.LBB30_77:                              ;   in Loop: Header=BB30_55 Depth=1
                                        ; implicit-def: $vgpr18_vgpr19
                                        ; implicit-def: $vgpr4_vgpr5
                                        ; implicit-def: $vgpr1_vgpr2
                                        ; implicit-def: $vgpr6_vgpr7
	s_cbranch_execz .LBB30_54
; %bb.78:                               ;   in Loop: Header=BB30_55 Depth=1
	s_load_b32 s3, s[4:5], 0x0
	s_waitcnt lgkmcnt(0)
	s_cmp_lt_u32 s14, s3
	s_cselect_b32 s3, 12, 18
	s_delay_alu instid0(SALU_CYCLE_1)
	s_add_u32 s18, s4, s3
	s_addc_u32 s19, s5, 0
	s_mov_b32 s3, exec_lo
	global_load_u16 v1, v3, s[18:19]
	s_waitcnt vmcnt(0)
	v_mad_u32_u24 v4, v48, v1, v77
	v_mov_b32_e32 v1, 0
	v_mov_b32_e32 v2, 0
	s_delay_alu instid0(VALU_DEP_1) | instskip(NEXT) | instid1(VALU_DEP_3)
	v_dual_mov_b32 v5, v2 :: v_dual_and_b32 v6, 31, v4
	v_mov_b32_e32 v4, v1
	s_delay_alu instid0(VALU_DEP_2)
	v_cmpx_gt_u32_e32 8, v6
	s_cbranch_execz .LBB30_53
; %bb.79:                               ;   in Loop: Header=BB30_55 Depth=1
	v_mov_b32_e32 v4, 0
	v_mov_b32_e32 v5, 0
	v_add_co_u32 v6, vcc_lo, v71, v6
	v_add_co_ci_u32_e32 v7, vcc_lo, 0, v72, vcc_lo
	s_delay_alu instid0(VALU_DEP_3) | instskip(SKIP_1) | instid1(VALU_DEP_2)
	v_dual_mov_b32 v1, v4 :: v_dual_mov_b32 v2, v5
	s_mov_b32 s7, exec_lo
	v_cmpx_gt_i64_e64 s[36:37], v[6:7]
	s_cbranch_execz .LBB30_52
; %bb.80:                               ;   in Loop: Header=BB30_55 Depth=1
	v_lshlrev_b64 v[1:2], 3, v[6:7]
	s_delay_alu instid0(VALU_DEP_1) | instskip(NEXT) | instid1(VALU_DEP_2)
	v_add_co_u32 v4, vcc_lo, s8, v1
	v_add_co_ci_u32_e32 v5, vcc_lo, s9, v2, vcc_lo
	v_add_co_u32 v1, vcc_lo, s10, v1
	v_add_co_ci_u32_e32 v2, vcc_lo, s11, v2, vcc_lo
	global_load_b64 v[4:5], v[4:5], off
	global_load_b64 v[1:2], v[1:2], off
	s_branch .LBB30_52
.LBB30_81:
	v_and_b32_e32 v1, 0x3ff, v0
	s_mov_b32 s15, 0
	s_mov_b32 s3, exec_lo
	s_lshl_b64 s[4:5], s[14:15], 6
	s_delay_alu instid0(SALU_CYCLE_1) | instskip(SKIP_1) | instid1(VALU_DEP_1)
	v_mov_b32_e32 v5, s5
	v_or_b32_e32 v4, s4, v1
	v_cmpx_gt_i64_e64 s[38:39], v[4:5]
	s_cbranch_execz .LBB30_86
; %bb.82:
	s_clause 0x1
	s_load_b32 s3, s[0:1], 0x4c
	s_load_b128 s[4:7], s[0:1], 0x30
	v_bfe_u32 v0, v0, 10, 10
	v_mov_b32_e32 v1, 0
	s_waitcnt lgkmcnt(0)
	s_lshr_b32 s0, s3, 16
	s_cmp_eq_u64 s[4:5], 0
	s_delay_alu instid0(VALU_DEP_1) | instskip(SKIP_1) | instid1(VALU_DEP_2)
	v_mad_u64_u32 v[2:3], null, s0, s2, v[0:1]
	v_lshlrev_b64 v[0:1], 3, v[4:5]
	v_mul_lo_u32 v3, v3, s38
	s_delay_alu instid0(VALU_DEP_3)
	v_mul_lo_u32 v6, v2, s39
	s_cbranch_scc1 .LBB30_84
; %bb.83:
	v_mad_u64_u32 v[4:5], null, v2, s38, 0
	s_delay_alu instid0(VALU_DEP_1) | instskip(NEXT) | instid1(VALU_DEP_1)
	v_add3_u32 v5, v5, v6, v3
	v_lshlrev_b64 v[4:5], 3, v[4:5]
	s_delay_alu instid0(VALU_DEP_1) | instskip(NEXT) | instid1(VALU_DEP_2)
	v_add_co_u32 v4, vcc_lo, s4, v4
	v_add_co_ci_u32_e32 v5, vcc_lo, s5, v5, vcc_lo
	s_delay_alu instid0(VALU_DEP_2) | instskip(NEXT) | instid1(VALU_DEP_2)
	v_add_co_u32 v4, vcc_lo, v4, v0
	v_add_co_ci_u32_e32 v5, vcc_lo, v5, v1, vcc_lo
	global_store_b64 v[4:5], v[49:50], off
.LBB30_84:
	s_cmp_eq_u64 s[6:7], 0
	s_cbranch_scc1 .LBB30_86
; %bb.85:
	v_mad_u64_u32 v[4:5], null, v2, s38, 0
	s_delay_alu instid0(VALU_DEP_1) | instskip(NEXT) | instid1(VALU_DEP_1)
	v_add3_u32 v5, v5, v6, v3
	v_lshlrev_b64 v[2:3], 3, v[4:5]
	s_delay_alu instid0(VALU_DEP_1) | instskip(NEXT) | instid1(VALU_DEP_2)
	v_add_co_u32 v2, vcc_lo, s6, v2
	v_add_co_ci_u32_e32 v3, vcc_lo, s7, v3, vcc_lo
	s_delay_alu instid0(VALU_DEP_2) | instskip(NEXT) | instid1(VALU_DEP_2)
	v_add_co_u32 v0, vcc_lo, v2, v0
	v_add_co_ci_u32_e32 v1, vcc_lo, v3, v1, vcc_lo
	global_store_b64 v[0:1], v[51:52], off
.LBB30_86:
	s_nop 0
	s_sendmsg sendmsg(MSG_DEALLOC_VGPRS)
	s_endpgm
	.section	.rodata,"a",@progbits
	.p2align	6, 0x0
	.amdhsa_kernel _ZN2at6native12_GLOBAL__N_135GammaBetaBackwardCUDAKernelTemplateIddLj64ELj1ELj8ELb1ELb0ELb0EEEvllPKT_S5_PKT0_S8_PS3_S9_
		.amdhsa_group_segment_fixed_size 0
		.amdhsa_private_segment_fixed_size 0
		.amdhsa_kernarg_size 320
		.amdhsa_user_sgpr_count 14
		.amdhsa_user_sgpr_dispatch_ptr 0
		.amdhsa_user_sgpr_queue_ptr 0
		.amdhsa_user_sgpr_kernarg_segment_ptr 1
		.amdhsa_user_sgpr_dispatch_id 0
		.amdhsa_user_sgpr_private_segment_size 0
		.amdhsa_wavefront_size32 1
		.amdhsa_uses_dynamic_stack 0
		.amdhsa_enable_private_segment 0
		.amdhsa_system_sgpr_workgroup_id_x 1
		.amdhsa_system_sgpr_workgroup_id_y 1
		.amdhsa_system_sgpr_workgroup_id_z 0
		.amdhsa_system_sgpr_workgroup_info 0
		.amdhsa_system_vgpr_workitem_id 1
		.amdhsa_next_free_vgpr 114
		.amdhsa_next_free_sgpr 47
		.amdhsa_reserve_vcc 1
		.amdhsa_float_round_mode_32 0
		.amdhsa_float_round_mode_16_64 0
		.amdhsa_float_denorm_mode_32 3
		.amdhsa_float_denorm_mode_16_64 3
		.amdhsa_dx10_clamp 1
		.amdhsa_ieee_mode 1
		.amdhsa_fp16_overflow 0
		.amdhsa_workgroup_processor_mode 1
		.amdhsa_memory_ordered 1
		.amdhsa_forward_progress 0
		.amdhsa_shared_vgpr_count 0
		.amdhsa_exception_fp_ieee_invalid_op 0
		.amdhsa_exception_fp_denorm_src 0
		.amdhsa_exception_fp_ieee_div_zero 0
		.amdhsa_exception_fp_ieee_overflow 0
		.amdhsa_exception_fp_ieee_underflow 0
		.amdhsa_exception_fp_ieee_inexact 0
		.amdhsa_exception_int_div_zero 0
	.end_amdhsa_kernel
	.section	.text._ZN2at6native12_GLOBAL__N_135GammaBetaBackwardCUDAKernelTemplateIddLj64ELj1ELj8ELb1ELb0ELb0EEEvllPKT_S5_PKT0_S8_PS3_S9_,"axG",@progbits,_ZN2at6native12_GLOBAL__N_135GammaBetaBackwardCUDAKernelTemplateIddLj64ELj1ELj8ELb1ELb0ELb0EEEvllPKT_S5_PKT0_S8_PS3_S9_,comdat
.Lfunc_end30:
	.size	_ZN2at6native12_GLOBAL__N_135GammaBetaBackwardCUDAKernelTemplateIddLj64ELj1ELj8ELb1ELb0ELb0EEEvllPKT_S5_PKT0_S8_PS3_S9_, .Lfunc_end30-_ZN2at6native12_GLOBAL__N_135GammaBetaBackwardCUDAKernelTemplateIddLj64ELj1ELj8ELb1ELb0ELb0EEEvllPKT_S5_PKT0_S8_PS3_S9_
                                        ; -- End function
	.section	.AMDGPU.csdata,"",@progbits
; Kernel info:
; codeLenInByte = 9344
; NumSgprs: 49
; NumVgprs: 114
; ScratchSize: 0
; MemoryBound: 1
; FloatMode: 240
; IeeeMode: 1
; LDSByteSize: 0 bytes/workgroup (compile time only)
; SGPRBlocks: 6
; VGPRBlocks: 14
; NumSGPRsForWavesPerEU: 49
; NumVGPRsForWavesPerEU: 114
; Occupancy: 12
; WaveLimiterHint : 0
; COMPUTE_PGM_RSRC2:SCRATCH_EN: 0
; COMPUTE_PGM_RSRC2:USER_SGPR: 14
; COMPUTE_PGM_RSRC2:TRAP_HANDLER: 0
; COMPUTE_PGM_RSRC2:TGID_X_EN: 1
; COMPUTE_PGM_RSRC2:TGID_Y_EN: 1
; COMPUTE_PGM_RSRC2:TGID_Z_EN: 0
; COMPUTE_PGM_RSRC2:TIDIG_COMP_CNT: 1
	.section	.text._ZN2at6native12_GLOBAL__N_135GammaBetaBackwardCUDAKernelTemplateIddLj64ELj8ELj64ELb0ELb1ELb0EEEvllPKT_S5_PKT0_S8_PS3_S9_,"axG",@progbits,_ZN2at6native12_GLOBAL__N_135GammaBetaBackwardCUDAKernelTemplateIddLj64ELj8ELj64ELb0ELb1ELb0EEEvllPKT_S5_PKT0_S8_PS3_S9_,comdat
	.globl	_ZN2at6native12_GLOBAL__N_135GammaBetaBackwardCUDAKernelTemplateIddLj64ELj8ELj64ELb0ELb1ELb0EEEvllPKT_S5_PKT0_S8_PS3_S9_ ; -- Begin function _ZN2at6native12_GLOBAL__N_135GammaBetaBackwardCUDAKernelTemplateIddLj64ELj8ELj64ELb0ELb1ELb0EEEvllPKT_S5_PKT0_S8_PS3_S9_
	.p2align	8
	.type	_ZN2at6native12_GLOBAL__N_135GammaBetaBackwardCUDAKernelTemplateIddLj64ELj8ELj64ELb0ELb1ELb0EEEvllPKT_S5_PKT0_S8_PS3_S9_,@function
_ZN2at6native12_GLOBAL__N_135GammaBetaBackwardCUDAKernelTemplateIddLj64ELj8ELj64ELb0ELb1ELb0EEEvllPKT_S5_PKT0_S8_PS3_S9_: ; @_ZN2at6native12_GLOBAL__N_135GammaBetaBackwardCUDAKernelTemplateIddLj64ELj8ELj64ELb0ELb1ELb0EEEvllPKT_S5_PKT0_S8_PS3_S9_
; %bb.0:
	s_load_b128 s[20:23], s[0:1], 0x0
	s_mov_b32 s3, 0
	s_lshl_b32 s2, s15, 6
	v_bfe_u32 v17, v0, 10, 10
	s_waitcnt lgkmcnt(0)
	v_cmp_lt_i64_e64 s4, s[2:3], s[20:21]
	s_delay_alu instid0(VALU_DEP_1)
	s_and_b32 vcc_lo, exec_lo, s4
	s_cbranch_vccnz .LBB31_2
; %bb.1:
	v_bfe_u32 v1, v0, 10, 10
	s_mov_b64 s[4:5], 0
	s_mov_b32 s6, s3
	s_branch .LBB31_3
.LBB31_2:
	s_mov_b32 s6, -1
                                        ; implicit-def: $sgpr4_sgpr5
                                        ; implicit-def: $vgpr1
.LBB31_3:
	s_load_b128 s[16:19], s[0:1], 0x30
	v_dual_mov_b32 v11, s5 :: v_dual_and_b32 v16, 0x3ff, v0
	v_dual_mov_b32 v9, s5 :: v_dual_mov_b32 v8, s4
	v_mov_b32_e32 v10, s4
	s_and_not1_b32 vcc_lo, exec_lo, s6
	s_cbranch_vccnz .LBB31_11
; %bb.4:
	s_clause 0x2
	s_load_b32 s12, s[0:1], 0x4c
	s_load_b32 s15, s[0:1], 0x44
	s_load_b256 s[4:11], s[0:1], 0x10
	v_dual_mov_b32 v19, 4 :: v_dual_lshlrev_b32 v2, 3, v17
	v_dual_mov_b32 v18, 8 :: v_dual_mov_b32 v1, 0
	v_lshl_add_u32 v0, s14, 6, v16
	s_delay_alu instid0(VALU_DEP_3) | instskip(NEXT) | instid1(VALU_DEP_1)
	v_add_co_u32 v4, s0, v2, s2
	v_add_co_ci_u32_e64 v5, null, 0, 0, s0
	v_mov_b32_e32 v2, 0
	s_delay_alu instid0(VALU_DEP_3) | instskip(SKIP_1) | instid1(VALU_DEP_4)
	v_mul_lo_u32 v10, s23, v4
	v_mad_u64_u32 v[6:7], null, s22, v4, 0
	v_mul_lo_u32 v11, s22, v5
	v_dual_mov_b32 v24, 28 :: v_dual_mov_b32 v3, 0
	v_dual_mov_b32 v20, 12 :: v_dual_mov_b32 v21, 16
	s_waitcnt lgkmcnt(0)
	s_and_b32 s0, s12, 0xffff
	s_lshl_b32 s12, s15, 6
	v_mad_u32_u24 v8, v17, s0, v16
	s_delay_alu instid0(VALU_DEP_4)
	v_add3_u32 v7, v7, v11, v10
	s_mul_i32 s1, s23, s12
	s_mul_hi_u32 s15, s22, s12
	v_dual_mov_b32 v22, 20 :: v_dual_mov_b32 v23, 24
	v_and_b32_e32 v12, 31, v8
	v_lshlrev_b64 v[8:9], 3, v[0:1]
	v_lshlrev_b64 v[10:11], 3, v[6:7]
	s_mov_b32 s13, 0
	s_add_i32 s27, s15, s1
	v_add_co_u32 v4, vcc_lo, v4, v12
	v_add_co_ci_u32_e32 v5, vcc_lo, 0, v5, vcc_lo
	s_delay_alu instid0(VALU_DEP_3) | instskip(SKIP_2) | instid1(VALU_DEP_4)
	v_add_co_u32 v0, vcc_lo, v10, v8
	v_add_co_ci_u32_e32 v25, vcc_lo, v11, v9, vcc_lo
	v_mov_b32_e32 v11, v3
	v_lshlrev_b64 v[6:7], 3, v[4:5]
	v_dual_mov_b32 v10, v2 :: v_dual_mov_b32 v9, v3
	v_cmp_gt_u32_e64 s0, 8, v12
	v_mov_b32_e32 v8, v2
	s_mul_i32 s26, s22, s12
	s_lshl_b64 s[24:25], s[12:13], 3
	s_lshl_b64 s[26:27], s[26:27], 3
	;; [unrolled: 1-line block ×3, first 2 shown]
	s_branch .LBB31_7
.LBB31_5:                               ;   in Loop: Header=BB31_7 Depth=1
	s_or_b32 exec_lo, exec_lo, s13
.LBB31_6:                               ;   in Loop: Header=BB31_7 Depth=1
	s_delay_alu instid0(SALU_CYCLE_1)
	s_or_b32 exec_lo, exec_lo, s1
	v_add_co_u32 v26, vcc_lo, s6, v0
	v_add_co_ci_u32_e32 v27, vcc_lo, s7, v25, vcc_lo
	s_waitcnt vmcnt(1)
	ds_bpermute_b32 v58, v1, v14
	ds_bpermute_b32 v59, v1, v15
	s_waitcnt vmcnt(0)
	ds_bpermute_b32 v60, v1, v12
	global_load_b64 v[28:29], v[26:27], off
	v_add_co_u32 v26, vcc_lo, v26, s22
	v_add_co_ci_u32_e32 v27, vcc_lo, s23, v27, vcc_lo
	v_add_co_u32 v30, vcc_lo, s4, v0
	v_add_co_ci_u32_e32 v31, vcc_lo, s5, v25, vcc_lo
	global_load_b64 v[32:33], v[26:27], off
	global_load_b64 v[34:35], v[30:31], off
	v_add_co_u32 v26, vcc_lo, v26, s22
	v_add_co_ci_u32_e32 v27, vcc_lo, s23, v27, vcc_lo
	v_add_co_u32 v30, vcc_lo, v30, s22
	v_add_co_ci_u32_e32 v31, vcc_lo, s23, v31, vcc_lo
	global_load_b64 v[36:37], v[26:27], off
	;; [unrolled: 6-line block ×7, first 2 shown]
	global_load_b64 v[56:57], v[30:31], off
	v_add_co_u32 v30, vcc_lo, v30, s22
	v_add_co_ci_u32_e32 v31, vcc_lo, s23, v31, vcc_lo
	ds_bpermute_b32 v61, v1, v13
	v_add_co_u32 v6, vcc_lo, v6, s24
	global_load_b64 v[30:31], v[30:31], off
	s_add_u32 s2, s2, s12
	v_add_co_ci_u32_e32 v7, vcc_lo, s25, v7, vcc_lo
	s_addc_u32 s3, s3, 0
	v_add_co_u32 v4, vcc_lo, v4, s12
	v_cmp_lt_i64_e64 s1, s[2:3], s[20:21]
	v_add_co_ci_u32_e32 v5, vcc_lo, 0, v5, vcc_lo
	v_add_co_u32 v0, vcc_lo, v0, s26
	v_add_co_ci_u32_e32 v25, vcc_lo, s27, v25, vcc_lo
	s_delay_alu instid0(VALU_DEP_4)
	s_and_b32 vcc_lo, exec_lo, s1
	s_waitcnt vmcnt(15) lgkmcnt(2)
	v_add_f64 v[28:29], v[28:29], -v[58:59]
	ds_bpermute_b32 v58, v19, v14
	ds_bpermute_b32 v59, v19, v15
	s_waitcnt vmcnt(13)
	v_add_f64 v[8:9], v[8:9], v[34:35]
	s_waitcnt lgkmcnt(0)
	v_add_f64 v[32:33], v[32:33], -v[58:59]
	ds_bpermute_b32 v58, v18, v14
	ds_bpermute_b32 v59, v18, v15
	v_mul_f64 v[28:29], v[34:35], v[28:29]
	ds_bpermute_b32 v34, v19, v12
	ds_bpermute_b32 v35, v19, v13
	s_waitcnt vmcnt(12) lgkmcnt(2)
	v_add_f64 v[36:37], v[36:37], -v[58:59]
	s_waitcnt vmcnt(11)
	v_add_f64 v[8:9], v[8:9], v[38:39]
	v_mul_f64 v[32:33], v[38:39], v[32:33]
	v_fma_f64 v[10:11], v[28:29], v[60:61], v[10:11]
	ds_bpermute_b32 v28, v20, v14
	ds_bpermute_b32 v29, v20, v15
	s_waitcnt vmcnt(9)
	v_mul_f64 v[36:37], v[42:43], v[36:37]
	v_add_f64 v[8:9], v[8:9], v[42:43]
	s_waitcnt lgkmcnt(0)
	v_add_f64 v[28:29], v[40:41], -v[28:29]
	v_fma_f64 v[10:11], v[32:33], v[34:35], v[10:11]
	ds_bpermute_b32 v32, v21, v14
	ds_bpermute_b32 v33, v21, v15
	;; [unrolled: 1-line block ×4, first 2 shown]
	s_waitcnt vmcnt(7)
	v_add_f64 v[8:9], v[8:9], v[46:47]
	s_waitcnt lgkmcnt(2)
	v_add_f64 v[32:33], v[44:45], -v[32:33]
	v_mul_f64 v[28:29], v[46:47], v[28:29]
	s_waitcnt lgkmcnt(0)
	v_fma_f64 v[10:11], v[36:37], v[34:35], v[10:11]
	ds_bpermute_b32 v34, v22, v14
	ds_bpermute_b32 v35, v22, v15
	;; [unrolled: 1-line block ×4, first 2 shown]
	s_waitcnt vmcnt(5)
	v_add_f64 v[8:9], v[8:9], v[50:51]
	s_waitcnt lgkmcnt(2)
	v_add_f64 v[34:35], v[48:49], -v[34:35]
	v_mul_f64 v[32:33], v[50:51], v[32:33]
	s_waitcnt lgkmcnt(0)
	v_fma_f64 v[10:11], v[28:29], v[36:37], v[10:11]
	ds_bpermute_b32 v28, v23, v14
	ds_bpermute_b32 v29, v23, v15
	;; [unrolled: 1-line block ×6, first 2 shown]
	s_waitcnt vmcnt(3)
	v_add_f64 v[8:9], v[8:9], v[54:55]
	s_waitcnt lgkmcnt(4)
	v_add_f64 v[28:29], v[52:53], -v[28:29]
	v_mul_f64 v[34:35], v[54:55], v[34:35]
	s_waitcnt vmcnt(2) lgkmcnt(0)
	v_add_f64 v[14:15], v[26:27], -v[14:15]
	v_fma_f64 v[10:11], v[32:33], v[36:37], v[10:11]
	ds_bpermute_b32 v32, v22, v12
	ds_bpermute_b32 v33, v22, v13
	s_waitcnt vmcnt(1)
	v_add_f64 v[8:9], v[8:9], v[56:57]
	v_mul_f64 v[26:27], v[56:57], v[28:29]
	ds_bpermute_b32 v28, v23, v12
	ds_bpermute_b32 v29, v23, v13
	ds_bpermute_b32 v12, v24, v12
	s_waitcnt vmcnt(0)
	v_mul_f64 v[14:15], v[30:31], v[14:15]
	ds_bpermute_b32 v13, v24, v13
	s_waitcnt lgkmcnt(4)
	v_fma_f64 v[10:11], v[34:35], v[32:33], v[10:11]
	v_add_f64 v[8:9], v[8:9], v[30:31]
	s_waitcnt lgkmcnt(2)
	s_delay_alu instid0(VALU_DEP_2) | instskip(SKIP_1) | instid1(VALU_DEP_1)
	v_fma_f64 v[10:11], v[26:27], v[28:29], v[10:11]
	s_waitcnt lgkmcnt(0)
	v_fma_f64 v[10:11], v[14:15], v[12:13], v[10:11]
	s_cbranch_vccz .LBB31_10
.LBB31_7:                               ; =>This Inner Loop Header: Depth=1
	v_dual_mov_b32 v13, v3 :: v_dual_mov_b32 v12, v2
	v_dual_mov_b32 v15, v3 :: v_dual_mov_b32 v14, v2
	s_and_saveexec_b32 s1, s0
	s_cbranch_execz .LBB31_6
; %bb.8:                                ;   in Loop: Header=BB31_7 Depth=1
	v_mov_b32_e32 v14, 0
	v_mov_b32_e32 v15, 0
	s_delay_alu instid0(VALU_DEP_2) | instskip(SKIP_1) | instid1(VALU_DEP_2)
	v_mov_b32_e32 v12, v14
	s_mov_b32 s13, exec_lo
	v_mov_b32_e32 v13, v15
	v_cmpx_gt_i64_e64 s[20:21], v[4:5]
	s_cbranch_execz .LBB31_5
; %bb.9:                                ;   in Loop: Header=BB31_7 Depth=1
	v_add_co_u32 v12, vcc_lo, s8, v6
	v_add_co_ci_u32_e32 v13, vcc_lo, s9, v7, vcc_lo
	v_add_co_u32 v26, vcc_lo, s10, v6
	v_add_co_ci_u32_e32 v27, vcc_lo, s11, v7, vcc_lo
	global_load_b64 v[14:15], v[12:13], off
	global_load_b64 v[12:13], v[26:27], off
	s_branch .LBB31_5
.LBB31_10:
	v_mov_b32_e32 v1, v17
.LBB31_11:
	s_delay_alu instid0(VALU_DEP_1) | instskip(SKIP_2) | instid1(VALU_DEP_1)
	v_mad_u32_u24 v2, 0x41, v1, v16
	s_mov_b32 s15, 0
	s_mov_b32 s0, exec_lo
	v_sub_nc_u32_e32 v0, v2, v1
	v_lshl_add_u32 v1, v2, 3, 0
	ds_store_b64 v1, v[10:11]
	ds_store_b64 v1, v[8:9] offset:4160
	s_waitcnt lgkmcnt(0)
	s_barrier
	buffer_gl0_inv
	v_cmpx_gt_u32_e32 0x800, v0
	s_cbranch_execz .LBB31_21
; %bb.12:
	v_mbcnt_lo_u32_b32 v1, -1, 0
	v_lshrrev_b32_e32 v3, 5, v0
	s_cmp_lg_u64 s[16:17], 0
	v_cmp_eq_u32_e64 s0, 0, v16
	s_cselect_b32 s3, -1, 0
	v_xor_b32_e32 v0, 4, v1
	v_xor_b32_e32 v4, 2, v1
	;; [unrolled: 1-line block ×3, first 2 shown]
	s_cmp_lg_u64 s[18:19], 0
	v_add_nc_u32_e32 v11, -16, v3
	v_cmp_gt_i32_e32 vcc_lo, 32, v0
	s_cselect_b32 s4, -1, 0
	s_lshl_b64 s[6:7], s[14:15], 9
	v_cndmask_b32_e32 v0, v1, v0, vcc_lo
	v_cmp_gt_i32_e32 vcc_lo, 32, v4
	s_delay_alu instid0(VALU_DEP_2) | instskip(SKIP_4) | instid1(VALU_DEP_4)
	v_lshlrev_b32_e32 v8, 2, v0
	v_cndmask_b32_e32 v4, v1, v4, vcc_lo
	v_lshlrev_b32_e32 v0, 3, v3
	v_cmp_gt_i32_e32 vcc_lo, 32, v5
	v_and_b32_e32 v2, 31, v16
	v_lshlrev_b32_e32 v9, 2, v4
	s_delay_alu instid0(VALU_DEP_4) | instskip(SKIP_2) | instid1(VALU_DEP_3)
	v_add_co_u32 v4, s2, s6, v0
	v_cndmask_b32_e32 v1, v1, v5, vcc_lo
	v_add_co_ci_u32_e64 v5, null, s7, 0, s2
	v_add_co_u32 v0, vcc_lo, s18, v4
	v_mad_u32_u24 v6, 0x41, v2, v3
	s_delay_alu instid0(VALU_DEP_4) | instskip(NEXT) | instid1(VALU_DEP_4)
	v_lshlrev_b32_e32 v10, 2, v1
	v_add_co_ci_u32_e32 v1, vcc_lo, s19, v5, vcc_lo
	v_cmp_gt_u32_e64 s1, 8, v2
	v_add_co_u32 v2, vcc_lo, s16, v4
	v_add_co_ci_u32_e32 v3, vcc_lo, s17, v5, vcc_lo
	v_lshl_add_u32 v12, v6, 3, 0
                                        ; implicit-def: $vgpr4_vgpr5
                                        ; implicit-def: $vgpr6_vgpr7
	s_branch .LBB31_14
.LBB31_13:                              ;   in Loop: Header=BB31_14 Depth=1
	s_or_b32 exec_lo, exec_lo, s2
	v_add_nc_u32_e32 v11, 16, v11
	v_add_co_u32 v0, vcc_lo, 0x80, v0
	v_add_co_ci_u32_e32 v1, vcc_lo, 0, v1, vcc_lo
	s_delay_alu instid0(VALU_DEP_3) | instskip(SKIP_1) | instid1(VALU_DEP_1)
	v_cmp_lt_u32_e32 vcc_lo, 47, v11
	v_add_co_u32 v2, s2, 0x80, v2
	v_add_co_ci_u32_e64 v3, s2, 0, v3, s2
	v_add_nc_u32_e32 v12, 0x80, v12
	s_or_b32 s15, vcc_lo, s15
	s_delay_alu instid0(SALU_CYCLE_1)
	s_and_not1_b32 exec_lo, exec_lo, s15
	s_cbranch_execz .LBB31_21
.LBB31_14:                              ; =>This Inner Loop Header: Depth=1
	s_and_saveexec_b32 s2, s1
	s_cbranch_execz .LBB31_16
; %bb.15:                               ;   in Loop: Header=BB31_14 Depth=1
	ds_load_b64 v[4:5], v12
	ds_load_b64 v[6:7], v12 offset:4160
.LBB31_16:                              ;   in Loop: Header=BB31_14 Depth=1
	s_or_b32 exec_lo, exec_lo, s2
	s_waitcnt lgkmcnt(1)
	ds_bpermute_b32 v13, v8, v4
	ds_bpermute_b32 v14, v8, v5
	s_waitcnt lgkmcnt(2)
	ds_bpermute_b32 v15, v8, v6
	ds_bpermute_b32 v16, v8, v7
	s_waitcnt lgkmcnt(2)
	v_add_f64 v[4:5], v[4:5], v[13:14]
	s_waitcnt lgkmcnt(0)
	v_add_f64 v[6:7], v[6:7], v[15:16]
	ds_bpermute_b32 v13, v9, v4
	ds_bpermute_b32 v14, v9, v5
	;; [unrolled: 1-line block ×4, first 2 shown]
	s_waitcnt lgkmcnt(2)
	v_add_f64 v[4:5], v[4:5], v[13:14]
	s_waitcnt lgkmcnt(0)
	v_add_f64 v[6:7], v[6:7], v[15:16]
	ds_bpermute_b32 v13, v10, v4
	ds_bpermute_b32 v14, v10, v5
	;; [unrolled: 1-line block ×4, first 2 shown]
	s_waitcnt lgkmcnt(2)
	v_add_f64 v[4:5], v[4:5], v[13:14]
	s_waitcnt lgkmcnt(0)
	v_add_f64 v[6:7], v[6:7], v[15:16]
	s_and_saveexec_b32 s2, s0
	s_cbranch_execz .LBB31_13
; %bb.17:                               ;   in Loop: Header=BB31_14 Depth=1
	s_and_not1_b32 vcc_lo, exec_lo, s3
	s_cbranch_vccnz .LBB31_19
; %bb.18:                               ;   in Loop: Header=BB31_14 Depth=1
	global_store_b64 v[2:3], v[4:5], off
.LBB31_19:                              ;   in Loop: Header=BB31_14 Depth=1
	s_and_not1_b32 vcc_lo, exec_lo, s4
	s_cbranch_vccnz .LBB31_13
; %bb.20:                               ;   in Loop: Header=BB31_14 Depth=1
	global_store_b64 v[0:1], v[6:7], off
	s_branch .LBB31_13
.LBB31_21:
	s_nop 0
	s_sendmsg sendmsg(MSG_DEALLOC_VGPRS)
	s_endpgm
	.section	.rodata,"a",@progbits
	.p2align	6, 0x0
	.amdhsa_kernel _ZN2at6native12_GLOBAL__N_135GammaBetaBackwardCUDAKernelTemplateIddLj64ELj8ELj64ELb0ELb1ELb0EEEvllPKT_S5_PKT0_S8_PS3_S9_
		.amdhsa_group_segment_fixed_size 0
		.amdhsa_private_segment_fixed_size 0
		.amdhsa_kernarg_size 320
		.amdhsa_user_sgpr_count 14
		.amdhsa_user_sgpr_dispatch_ptr 0
		.amdhsa_user_sgpr_queue_ptr 0
		.amdhsa_user_sgpr_kernarg_segment_ptr 1
		.amdhsa_user_sgpr_dispatch_id 0
		.amdhsa_user_sgpr_private_segment_size 0
		.amdhsa_wavefront_size32 1
		.amdhsa_uses_dynamic_stack 0
		.amdhsa_enable_private_segment 0
		.amdhsa_system_sgpr_workgroup_id_x 1
		.amdhsa_system_sgpr_workgroup_id_y 1
		.amdhsa_system_sgpr_workgroup_id_z 0
		.amdhsa_system_sgpr_workgroup_info 0
		.amdhsa_system_vgpr_workitem_id 1
		.amdhsa_next_free_vgpr 62
		.amdhsa_next_free_sgpr 28
		.amdhsa_reserve_vcc 1
		.amdhsa_float_round_mode_32 0
		.amdhsa_float_round_mode_16_64 0
		.amdhsa_float_denorm_mode_32 3
		.amdhsa_float_denorm_mode_16_64 3
		.amdhsa_dx10_clamp 1
		.amdhsa_ieee_mode 1
		.amdhsa_fp16_overflow 0
		.amdhsa_workgroup_processor_mode 1
		.amdhsa_memory_ordered 1
		.amdhsa_forward_progress 0
		.amdhsa_shared_vgpr_count 0
		.amdhsa_exception_fp_ieee_invalid_op 0
		.amdhsa_exception_fp_denorm_src 0
		.amdhsa_exception_fp_ieee_div_zero 0
		.amdhsa_exception_fp_ieee_overflow 0
		.amdhsa_exception_fp_ieee_underflow 0
		.amdhsa_exception_fp_ieee_inexact 0
		.amdhsa_exception_int_div_zero 0
	.end_amdhsa_kernel
	.section	.text._ZN2at6native12_GLOBAL__N_135GammaBetaBackwardCUDAKernelTemplateIddLj64ELj8ELj64ELb0ELb1ELb0EEEvllPKT_S5_PKT0_S8_PS3_S9_,"axG",@progbits,_ZN2at6native12_GLOBAL__N_135GammaBetaBackwardCUDAKernelTemplateIddLj64ELj8ELj64ELb0ELb1ELb0EEEvllPKT_S5_PKT0_S8_PS3_S9_,comdat
.Lfunc_end31:
	.size	_ZN2at6native12_GLOBAL__N_135GammaBetaBackwardCUDAKernelTemplateIddLj64ELj8ELj64ELb0ELb1ELb0EEEvllPKT_S5_PKT0_S8_PS3_S9_, .Lfunc_end31-_ZN2at6native12_GLOBAL__N_135GammaBetaBackwardCUDAKernelTemplateIddLj64ELj8ELj64ELb0ELb1ELb0EEEvllPKT_S5_PKT0_S8_PS3_S9_
                                        ; -- End function
	.section	.AMDGPU.csdata,"",@progbits
; Kernel info:
; codeLenInByte = 2104
; NumSgprs: 30
; NumVgprs: 62
; ScratchSize: 0
; MemoryBound: 0
; FloatMode: 240
; IeeeMode: 1
; LDSByteSize: 0 bytes/workgroup (compile time only)
; SGPRBlocks: 3
; VGPRBlocks: 7
; NumSGPRsForWavesPerEU: 30
; NumVGPRsForWavesPerEU: 62
; Occupancy: 16
; WaveLimiterHint : 0
; COMPUTE_PGM_RSRC2:SCRATCH_EN: 0
; COMPUTE_PGM_RSRC2:USER_SGPR: 14
; COMPUTE_PGM_RSRC2:TRAP_HANDLER: 0
; COMPUTE_PGM_RSRC2:TGID_X_EN: 1
; COMPUTE_PGM_RSRC2:TGID_Y_EN: 1
; COMPUTE_PGM_RSRC2:TGID_Z_EN: 0
; COMPUTE_PGM_RSRC2:TIDIG_COMP_CNT: 1
	.section	.text._ZN2at6native12_GLOBAL__N_135GammaBetaBackwardCUDAKernelTemplateIddLj64ELj8ELj64ELb0ELb0ELb0EEEvllPKT_S5_PKT0_S8_PS3_S9_,"axG",@progbits,_ZN2at6native12_GLOBAL__N_135GammaBetaBackwardCUDAKernelTemplateIddLj64ELj8ELj64ELb0ELb0ELb0EEEvllPKT_S5_PKT0_S8_PS3_S9_,comdat
	.globl	_ZN2at6native12_GLOBAL__N_135GammaBetaBackwardCUDAKernelTemplateIddLj64ELj8ELj64ELb0ELb0ELb0EEEvllPKT_S5_PKT0_S8_PS3_S9_ ; -- Begin function _ZN2at6native12_GLOBAL__N_135GammaBetaBackwardCUDAKernelTemplateIddLj64ELj8ELj64ELb0ELb0ELb0EEEvllPKT_S5_PKT0_S8_PS3_S9_
	.p2align	8
	.type	_ZN2at6native12_GLOBAL__N_135GammaBetaBackwardCUDAKernelTemplateIddLj64ELj8ELj64ELb0ELb0ELb0EEEvllPKT_S5_PKT0_S8_PS3_S9_,@function
_ZN2at6native12_GLOBAL__N_135GammaBetaBackwardCUDAKernelTemplateIddLj64ELj8ELj64ELb0ELb0ELb0EEEvllPKT_S5_PKT0_S8_PS3_S9_: ; @_ZN2at6native12_GLOBAL__N_135GammaBetaBackwardCUDAKernelTemplateIddLj64ELj8ELj64ELb0ELb0ELb0EEEvllPKT_S5_PKT0_S8_PS3_S9_
; %bb.0:
	s_clause 0x1
	s_load_b256 s[4:11], s[0:1], 0x0
	s_load_b128 s[36:39], s[0:1], 0x20
	s_lshl_b32 s33, s14, 6
	s_mov_b32 s13, 0
	s_or_b32 s12, s33, 63
	s_waitcnt lgkmcnt(0)
	v_cmp_ge_i64_e64 s2, s[12:13], s[6:7]
	s_lshl_b32 s12, s15, 6
	s_delay_alu instid0(SALU_CYCLE_1) | instskip(NEXT) | instid1(VALU_DEP_2)
	v_cmp_lt_i64_e64 s15, s[12:13], s[4:5]
	s_and_b32 vcc_lo, exec_lo, s2
	s_delay_alu instid0(VALU_DEP_1) | instskip(NEXT) | instid1(VALU_DEP_1)
	v_cndmask_b32_e64 v1, 0, 1, s15
	v_cmp_ne_u32_e64 s2, 1, v1
	s_cbranch_vccz .LBB32_48
; %bb.1:
	v_mov_b32_e32 v51, 0
	v_mov_b32_e32 v52, 0
	s_delay_alu instid0(VALU_DEP_2) | instskip(SKIP_1) | instid1(VALU_DEP_2)
	v_mov_b32_e32 v49, v51
	s_and_b32 vcc_lo, exec_lo, s2
	v_mov_b32_e32 v50, v52
	s_cbranch_vccnz .LBB32_49
; %bb.2:
	v_bfe_u32 v59, v0, 10, 10
	s_load_b32 s3, s[0:1], 0x44
	v_and_b32_e32 v61, 0x3ff, v0
	v_mov_b32_e32 v49, 0
	v_mov_b32_e32 v50, 0
	v_dual_mov_b32 v3, 0 :: v_dual_lshlrev_b32 v60, 3, v59
	s_delay_alu instid0(VALU_DEP_4) | instskip(SKIP_1) | instid1(VALU_DEP_3)
	v_add_nc_u32_e32 v2, s33, v61
	s_add_u32 s34, s0, 64
	v_dual_mov_b32 v52, v50 :: v_dual_mov_b32 v51, v49
	s_delay_alu instid0(VALU_DEP_3) | instskip(NEXT) | instid1(VALU_DEP_1)
	v_add_co_u32 v8, s2, v60, s12
	v_add_co_ci_u32_e64 v9, null, 0, 0, s2
	v_cmp_gt_i64_e64 s2, s[6:7], v[2:3]
	s_delay_alu instid0(VALU_DEP_3) | instskip(NEXT) | instid1(VALU_DEP_3)
	v_add_co_u32 v1, vcc_lo, v8, 7
	v_add_co_ci_u32_e32 v4, vcc_lo, 0, v9, vcc_lo
	v_add_co_u32 v10, vcc_lo, v8, 6
	s_delay_alu instid0(VALU_DEP_3) | instskip(NEXT) | instid1(VALU_DEP_3)
	v_mul_lo_u32 v6, s7, v1
	v_mul_lo_u32 v7, s6, v4
	v_mad_u64_u32 v[4:5], null, s6, v1, 0
	v_add_co_ci_u32_e32 v1, vcc_lo, 0, v9, vcc_lo
	v_lshlrev_b64 v[53:54], 3, v[2:3]
	s_addc_u32 s35, s1, 0
	s_waitcnt lgkmcnt(0)
	s_lshl_b32 s46, s3, 6
	s_mov_b32 s16, 0
	s_delay_alu instid0(VALU_DEP_3) | instskip(SKIP_3) | instid1(VALU_DEP_4)
	v_add3_u32 v5, v5, v7, v6
	v_mul_lo_u32 v6, s7, v10
	v_mul_lo_u32 v7, s6, v1
	v_mad_u64_u32 v[1:2], null, s6, v10, 0
	v_lshlrev_b64 v[4:5], 3, v[4:5]
	s_mul_i32 s3, s7, s46
	s_mul_hi_u32 s17, s6, s46
	s_mul_i32 s18, s6, s46
	s_add_i32 s19, s17, s3
	s_mov_b64 s[44:45], s[12:13]
	v_add_co_u32 v62, vcc_lo, s8, v4
	v_add_co_ci_u32_e32 v63, vcc_lo, s9, v5, vcc_lo
	v_add3_u32 v2, v2, v7, v6
	v_add_co_u32 v6, vcc_lo, v8, 5
	v_add_co_u32 v64, s3, s10, v4
	v_add_co_ci_u32_e32 v4, vcc_lo, 0, v9, vcc_lo
	v_add_co_u32 v11, vcc_lo, v8, 4
	v_add_co_ci_u32_e64 v65, s3, s11, v5, s3
	v_mul_lo_u32 v10, s7, v6
	s_delay_alu instid0(VALU_DEP_4)
	v_mul_lo_u32 v12, s6, v4
	v_mad_u64_u32 v[4:5], null, s6, v6, 0
	v_add_co_ci_u32_e32 v7, vcc_lo, 0, v9, vcc_lo
	v_lshlrev_b64 v[1:2], 3, v[1:2]
	v_mul_lo_u32 v13, s7, v11
	s_lshl_b64 s[40:41], s[18:19], 3
	s_delay_alu instid0(VALU_DEP_3) | instskip(SKIP_1) | instid1(VALU_DEP_4)
	v_mul_lo_u32 v14, s6, v7
	v_mad_u64_u32 v[6:7], null, s6, v11, 0
	v_add_co_u32 v66, vcc_lo, s8, v1
	v_add3_u32 v5, v5, v12, v10
	v_add_co_ci_u32_e32 v67, vcc_lo, s9, v2, vcc_lo
	v_add_co_u32 v68, vcc_lo, s10, v1
	v_add_co_ci_u32_e32 v69, vcc_lo, s11, v2, vcc_lo
	s_delay_alu instid0(VALU_DEP_4) | instskip(SKIP_3) | instid1(VALU_DEP_4)
	v_lshlrev_b64 v[1:2], 3, v[4:5]
	v_add3_u32 v7, v7, v14, v13
	v_add_co_u32 v10, vcc_lo, v8, 3
	v_add_co_ci_u32_e32 v11, vcc_lo, 0, v9, vcc_lo
	v_add_co_u32 v70, vcc_lo, s8, v1
	s_delay_alu instid0(VALU_DEP_4)
	v_lshlrev_b64 v[4:5], 3, v[6:7]
	v_add_co_ci_u32_e32 v71, vcc_lo, s9, v2, vcc_lo
	v_mul_lo_u32 v12, s7, v10
	v_mul_lo_u32 v11, s6, v11
	v_mad_u64_u32 v[6:7], null, s6, v10, 0
	v_add_co_u32 v72, vcc_lo, s10, v1
	v_add_co_ci_u32_e32 v73, vcc_lo, s11, v2, vcc_lo
	v_add_co_u32 v74, vcc_lo, s8, v4
	v_add_co_ci_u32_e32 v75, vcc_lo, s9, v5, vcc_lo
	v_add_co_u32 v10, vcc_lo, v8, 2
	v_add3_u32 v7, v7, v11, v12
	v_add_co_ci_u32_e32 v11, vcc_lo, 0, v9, vcc_lo
	v_add_co_u32 v76, vcc_lo, s10, v4
	v_add_co_ci_u32_e32 v77, vcc_lo, s11, v5, vcc_lo
	v_mul_lo_u32 v12, s7, v10
	s_delay_alu instid0(VALU_DEP_4)
	v_mul_lo_u32 v11, s6, v11
	v_mad_u64_u32 v[4:5], null, s6, v10, 0
	v_lshlrev_b64 v[1:2], 3, v[6:7]
	v_mul_lo_u32 v10, s7, v8
	v_mul_lo_u32 v9, s6, v9
	v_mad_u64_u32 v[6:7], null, s6, v8, 0
	s_add_u32 s42, s12, 63
	s_delay_alu instid0(VALU_DEP_4)
	v_add_co_u32 v78, vcc_lo, s8, v1
	v_add3_u32 v5, v5, v11, v12
	v_add_co_ci_u32_e32 v79, vcc_lo, s9, v2, vcc_lo
	v_add_co_u32 v80, vcc_lo, s10, v1
	v_add3_u32 v7, v7, v9, v10
	v_add_co_ci_u32_e32 v81, vcc_lo, s11, v2, vcc_lo
	v_lshlrev_b64 v[1:2], 3, v[4:5]
	v_add_co_u32 v4, vcc_lo, v6, s6
	s_delay_alu instid0(VALU_DEP_4) | instskip(SKIP_1) | instid1(VALU_DEP_3)
	v_add_co_ci_u32_e32 v5, vcc_lo, s7, v7, vcc_lo
	s_addc_u32 s43, 0, 0
	v_add_co_u32 v82, vcc_lo, s8, v1
	s_delay_alu instid0(VALU_DEP_2) | instskip(SKIP_3) | instid1(VALU_DEP_4)
	v_lshlrev_b64 v[4:5], 3, v[4:5]
	v_add_co_ci_u32_e32 v83, vcc_lo, s9, v2, vcc_lo
	v_add_co_u32 v84, vcc_lo, s10, v1
	v_add_co_ci_u32_e32 v85, vcc_lo, s11, v2, vcc_lo
	v_add_co_u32 v86, vcc_lo, s8, v4
	v_lshlrev_b64 v[1:2], 3, v[6:7]
	v_add_co_ci_u32_e32 v87, vcc_lo, s9, v5, vcc_lo
	v_add_co_u32 v88, vcc_lo, s10, v4
	v_add_co_ci_u32_e32 v89, vcc_lo, s11, v5, vcc_lo
	s_delay_alu instid0(VALU_DEP_4)
	v_add_co_u32 v90, vcc_lo, s8, v1
	v_add_co_ci_u32_e32 v91, vcc_lo, s9, v2, vcc_lo
	v_add_co_u32 v92, vcc_lo, s10, v1
	v_add_co_ci_u32_e32 v93, vcc_lo, s11, v2, vcc_lo
	s_branch .LBB32_5
.LBB32_3:                               ;   in Loop: Header=BB32_5 Depth=1
	s_or_b32 exec_lo, exec_lo, s3
	s_waitcnt vmcnt(1)
	ds_bpermute_b32 v1, v3, v55
	ds_bpermute_b32 v2, v3, v56
	ds_bpermute_b32 v4, v3, v55 offset:4
	ds_bpermute_b32 v5, v3, v56 offset:4
	;; [unrolled: 1-line block ×4, first 2 shown]
	s_waitcnt vmcnt(0)
	ds_bpermute_b32 v8, v3, v57
	ds_bpermute_b32 v9, v3, v58
	ds_bpermute_b32 v10, v3, v55 offset:12
	ds_bpermute_b32 v11, v3, v56 offset:12
	;; [unrolled: 1-line block ×4, first 2 shown]
	s_waitcnt lgkmcnt(10)
	v_add_f64 v[1:2], v[17:18], -v[1:2]
	s_waitcnt lgkmcnt(8)
	v_add_f64 v[4:5], v[19:20], -v[4:5]
	;; [unrolled: 2-line block ×4, first 2 shown]
	s_delay_alu instid0(VALU_DEP_4) | instskip(NEXT) | instid1(VALU_DEP_4)
	v_mul_f64 v[1:2], v[33:34], v[1:2]
	v_mul_f64 v[4:5], v[35:36], v[4:5]
	s_delay_alu instid0(VALU_DEP_4) | instskip(NEXT) | instid1(VALU_DEP_4)
	v_mul_f64 v[6:7], v[37:38], v[6:7]
	v_mul_f64 v[10:11], v[39:40], v[10:11]
	s_delay_alu instid0(VALU_DEP_4) | instskip(SKIP_2) | instid1(VALU_DEP_2)
	v_fma_f64 v[1:2], v[1:2], v[8:9], v[49:50]
	v_add_f64 v[8:9], v[51:52], v[33:34]
	s_waitcnt lgkmcnt(0)
	v_fma_f64 v[1:2], v[4:5], v[12:13], v[1:2]
	s_delay_alu instid0(VALU_DEP_2)
	v_add_f64 v[4:5], v[35:36], v[8:9]
	ds_bpermute_b32 v8, v3, v55 offset:16
	ds_bpermute_b32 v9, v3, v56 offset:16
	;; [unrolled: 1-line block ×4, first 2 shown]
	s_waitcnt lgkmcnt(2)
	v_add_f64 v[8:9], v[25:26], -v[8:9]
	s_waitcnt lgkmcnt(0)
	v_fma_f64 v[1:2], v[6:7], v[12:13], v[1:2]
	v_add_f64 v[4:5], v[37:38], v[4:5]
	ds_bpermute_b32 v6, v3, v55 offset:20
	ds_bpermute_b32 v7, v3, v56 offset:20
	ds_bpermute_b32 v12, v3, v57 offset:12
	ds_bpermute_b32 v13, v3, v58 offset:12
	s_waitcnt lgkmcnt(2)
	v_add_f64 v[6:7], v[27:28], -v[6:7]
	v_mul_f64 v[8:9], v[41:42], v[8:9]
	s_waitcnt lgkmcnt(0)
	v_fma_f64 v[1:2], v[10:11], v[12:13], v[1:2]
	v_add_f64 v[4:5], v[39:40], v[4:5]
	ds_bpermute_b32 v10, v3, v55 offset:24
	ds_bpermute_b32 v11, v3, v56 offset:24
	;; [unrolled: 1-line block ×4, first 2 shown]
	s_waitcnt lgkmcnt(2)
	v_add_f64 v[10:11], v[29:30], -v[10:11]
	v_mul_f64 v[6:7], v[43:44], v[6:7]
	s_waitcnt lgkmcnt(0)
	v_fma_f64 v[1:2], v[8:9], v[12:13], v[1:2]
	v_add_f64 v[4:5], v[41:42], v[4:5]
	ds_bpermute_b32 v8, v3, v57 offset:20
	ds_bpermute_b32 v9, v3, v58 offset:20
	v_mul_f64 v[10:11], v[45:46], v[10:11]
	s_waitcnt lgkmcnt(0)
	v_fma_f64 v[1:2], v[6:7], v[8:9], v[1:2]
	v_add_f64 v[6:7], v[43:44], v[4:5]
	ds_bpermute_b32 v4, v3, v57 offset:24
	ds_bpermute_b32 v5, v3, v58 offset:24
	;; [unrolled: 1-line block ×4, first 2 shown]
	s_waitcnt lgkmcnt(2)
	v_fma_f64 v[4:5], v[10:11], v[4:5], v[1:2]
	v_add_f64 v[6:7], v[45:46], v[6:7]
	ds_bpermute_b32 v1, v3, v57 offset:28
	ds_bpermute_b32 v2, v3, v58 offset:28
.LBB32_4:                               ;   in Loop: Header=BB32_5 Depth=1
	s_waitcnt lgkmcnt(2)
	v_add_f64 v[8:9], v[31:32], -v[8:9]
	v_add_co_u32 v62, vcc_lo, v62, s40
	v_add_co_ci_u32_e32 v63, vcc_lo, s41, v63, vcc_lo
	v_add_co_u32 v64, vcc_lo, v64, s40
	v_add_co_ci_u32_e32 v65, vcc_lo, s41, v65, vcc_lo
	;; [unrolled: 2-line block ×4, first 2 shown]
	v_add_co_u32 v70, vcc_lo, v70, s40
	v_add_f64 v[51:52], v[6:7], v[47:48]
	v_add_co_ci_u32_e32 v71, vcc_lo, s41, v71, vcc_lo
	v_add_co_u32 v72, vcc_lo, v72, s40
	v_add_co_ci_u32_e32 v73, vcc_lo, s41, v73, vcc_lo
	v_add_co_u32 v74, vcc_lo, v74, s40
	v_add_co_ci_u32_e32 v75, vcc_lo, s41, v75, vcc_lo
	v_add_co_u32 v76, vcc_lo, v76, s40
	v_add_co_ci_u32_e32 v77, vcc_lo, s41, v77, vcc_lo
	v_add_co_u32 v78, vcc_lo, v78, s40
	v_add_co_ci_u32_e32 v79, vcc_lo, s41, v79, vcc_lo
	v_mul_f64 v[8:9], v[47:48], v[8:9]
	v_add_co_u32 v80, vcc_lo, v80, s40
	v_add_co_ci_u32_e32 v81, vcc_lo, s41, v81, vcc_lo
	v_add_co_u32 v82, vcc_lo, v82, s40
	v_add_co_ci_u32_e32 v83, vcc_lo, s41, v83, vcc_lo
	v_add_co_u32 v84, vcc_lo, v84, s40
	v_add_co_ci_u32_e32 v85, vcc_lo, s41, v85, vcc_lo
	v_add_co_u32 v86, vcc_lo, v86, s40
	v_add_co_ci_u32_e32 v87, vcc_lo, s41, v87, vcc_lo
	v_add_co_u32 v88, vcc_lo, v88, s40
	s_add_u32 s44, s44, s46
	v_add_co_ci_u32_e32 v89, vcc_lo, s41, v89, vcc_lo
	s_addc_u32 s45, s45, 0
	v_add_co_u32 v90, vcc_lo, v90, s40
	v_cmp_lt_i64_e64 s3, s[44:45], s[4:5]
	v_add_co_ci_u32_e32 v91, vcc_lo, s41, v91, vcc_lo
	v_add_co_u32 v92, vcc_lo, v92, s40
	v_add_co_ci_u32_e32 v93, vcc_lo, s41, v93, vcc_lo
	s_add_u32 s42, s42, s46
	s_addc_u32 s43, s43, 0
	s_and_b32 vcc_lo, exec_lo, s3
	s_waitcnt lgkmcnt(0)
	v_fma_f64 v[49:50], v[8:9], v[1:2], v[4:5]
	s_cbranch_vccz .LBB32_49
.LBB32_5:                               ; =>This Inner Loop Header: Depth=1
	v_cmp_ge_i64_e64 s3, s[42:43], s[4:5]
	v_add_co_u32 v94, s17, v60, s42
	s_delay_alu instid0(VALU_DEP_1) | instskip(NEXT) | instid1(VALU_DEP_3)
	v_add_co_ci_u32_e64 v95, null, 0, s43, s17
	s_and_b32 vcc_lo, exec_lo, s3
	s_cbranch_vccz .LBB32_27
; %bb.6:                                ;   in Loop: Header=BB32_5 Depth=1
	s_load_b32 s3, s[34:35], 0xc
	v_mov_b32_e32 v57, 0
	s_waitcnt lgkmcnt(0)
	s_and_b32 s3, s3, 0xffff
	s_delay_alu instid0(SALU_CYCLE_1) | instskip(SKIP_2) | instid1(VALU_DEP_2)
	v_mad_u32_u24 v1, v59, s3, v61
	v_mov_b32_e32 v58, 0
	s_mov_b32 s3, exec_lo
	v_and_b32_e32 v1, 31, v1
	s_delay_alu instid0(VALU_DEP_2) | instskip(NEXT) | instid1(VALU_DEP_2)
	v_dual_mov_b32 v55, v57 :: v_dual_mov_b32 v56, v58
	v_cmpx_gt_u32_e32 8, v1
	s_cbranch_execz .LBB32_10
; %bb.7:                                ;   in Loop: Header=BB32_5 Depth=1
	v_add_co_u32 v1, vcc_lo, v94, v1
	v_mov_b32_e32 v55, 0
	v_add_co_ci_u32_e32 v2, vcc_lo, 0, v95, vcc_lo
	v_mov_b32_e32 v56, 0
	s_delay_alu instid0(VALU_DEP_4) | instskip(NEXT) | instid1(VALU_DEP_3)
	v_add_co_u32 v1, vcc_lo, 0xffffffc1, v1
	v_add_co_ci_u32_e32 v2, vcc_lo, -1, v2, vcc_lo
	s_delay_alu instid0(VALU_DEP_3) | instskip(SKIP_1) | instid1(VALU_DEP_2)
	v_dual_mov_b32 v58, v56 :: v_dual_mov_b32 v57, v55
	s_mov_b32 s17, exec_lo
	v_cmpx_gt_i64_e64 s[4:5], v[1:2]
	s_cbranch_execz .LBB32_9
; %bb.8:                                ;   in Loop: Header=BB32_5 Depth=1
	v_lshlrev_b64 v[1:2], 3, v[1:2]
	s_delay_alu instid0(VALU_DEP_1) | instskip(NEXT) | instid1(VALU_DEP_2)
	v_add_co_u32 v4, vcc_lo, s36, v1
	v_add_co_ci_u32_e32 v5, vcc_lo, s37, v2, vcc_lo
	v_add_co_u32 v1, vcc_lo, s38, v1
	v_add_co_ci_u32_e32 v2, vcc_lo, s39, v2, vcc_lo
	global_load_b64 v[55:56], v[4:5], off
	global_load_b64 v[57:58], v[1:2], off
.LBB32_9:                               ;   in Loop: Header=BB32_5 Depth=1
	s_or_b32 exec_lo, exec_lo, s17
.LBB32_10:                              ;   in Loop: Header=BB32_5 Depth=1
	s_delay_alu instid0(SALU_CYCLE_1)
	s_or_b32 exec_lo, exec_lo, s3
	v_add_co_u32 v1, vcc_lo, 0xffffffc1, v94
	s_mov_b32 s31, s16
	v_add_co_ci_u32_e32 v2, vcc_lo, -1, v95, vcc_lo
	s_mov_b32 s17, s16
	s_mov_b32 s18, s16
	;; [unrolled: 1-line block ×14, first 2 shown]
	s_delay_alu instid0(SALU_CYCLE_1)
	v_dual_mov_b32 v32, s31 :: v_dual_mov_b32 v31, s30
	v_dual_mov_b32 v30, s29 :: v_dual_mov_b32 v29, s28
	;; [unrolled: 1-line block ×8, first 2 shown]
	v_cmp_gt_i64_e32 vcc_lo, s[4:5], v[1:2]
	v_dual_mov_b32 v48, v32 :: v_dual_mov_b32 v47, v31
	v_dual_mov_b32 v46, v30 :: v_dual_mov_b32 v45, v29
	;; [unrolled: 1-line block ×8, first 2 shown]
	s_and_b32 s17, s2, vcc_lo
	s_delay_alu instid0(SALU_CYCLE_1)
	s_and_saveexec_b32 s3, s17
	s_cbranch_execz .LBB32_12
; %bb.11:                               ;   in Loop: Header=BB32_5 Depth=1
	v_add_co_u32 v1, vcc_lo, v90, v53
	v_add_co_ci_u32_e32 v2, vcc_lo, v91, v54, vcc_lo
	v_add_co_u32 v4, vcc_lo, v92, v53
	v_add_co_ci_u32_e32 v5, vcc_lo, v93, v54, vcc_lo
	global_load_b64 v[1:2], v[1:2], off
	v_mov_b32_e32 v16, v3
	v_mov_b32_e32 v6, v3
	global_load_b64 v[17:18], v[4:5], off
	v_mov_b32_e32 v4, v3
	v_mov_b32_e32 v5, v3
	;; [unrolled: 1-line block ×11, first 2 shown]
	s_waitcnt vmcnt(1)
	v_dual_mov_b32 v19, v3 :: v_dual_mov_b32 v48, v16
	v_dual_mov_b32 v20, v3 :: v_dual_mov_b32 v45, v13
	;; [unrolled: 1-line block ×7, first 2 shown]
	v_mov_b32_e32 v26, v3
	v_dual_mov_b32 v27, v3 :: v_dual_mov_b32 v40, v8
	v_mov_b32_e32 v28, v3
	v_dual_mov_b32 v29, v3 :: v_dual_mov_b32 v38, v6
	;; [unrolled: 2-line block ×3, first 2 shown]
	v_mov_b32_e32 v47, v15
	v_mov_b32_e32 v43, v11
	;; [unrolled: 1-line block ×5, first 2 shown]
	v_dual_mov_b32 v34, v2 :: v_dual_mov_b32 v33, v1
.LBB32_12:                              ;   in Loop: Header=BB32_5 Depth=1
	s_or_b32 exec_lo, exec_lo, s3
	v_add_co_u32 v1, vcc_lo, 0xffffffc2, v94
	v_add_co_ci_u32_e32 v2, vcc_lo, -1, v95, vcc_lo
	s_delay_alu instid0(VALU_DEP_1) | instskip(SKIP_1) | instid1(SALU_CYCLE_1)
	v_cmp_gt_i64_e32 vcc_lo, s[4:5], v[1:2]
	s_and_b32 s17, s2, vcc_lo
	s_and_saveexec_b32 s3, s17
	s_cbranch_execz .LBB32_14
; %bb.13:                               ;   in Loop: Header=BB32_5 Depth=1
	v_add_co_u32 v1, vcc_lo, v86, v53
	v_add_co_ci_u32_e32 v2, vcc_lo, v87, v54, vcc_lo
	v_add_co_u32 v4, vcc_lo, v88, v53
	v_add_co_ci_u32_e32 v5, vcc_lo, v89, v54, vcc_lo
	global_load_b64 v[35:36], v[1:2], off
	global_load_b64 v[19:20], v[4:5], off
.LBB32_14:                              ;   in Loop: Header=BB32_5 Depth=1
	s_or_b32 exec_lo, exec_lo, s3
	v_add_co_u32 v1, vcc_lo, 0xffffffc3, v94
	v_add_co_ci_u32_e32 v2, vcc_lo, -1, v95, vcc_lo
	s_delay_alu instid0(VALU_DEP_1) | instskip(SKIP_1) | instid1(SALU_CYCLE_1)
	v_cmp_gt_i64_e32 vcc_lo, s[4:5], v[1:2]
	s_and_b32 s17, s2, vcc_lo
	s_and_saveexec_b32 s3, s17
	s_cbranch_execz .LBB32_16
; %bb.15:                               ;   in Loop: Header=BB32_5 Depth=1
	v_add_co_u32 v1, vcc_lo, v82, v53
	v_add_co_ci_u32_e32 v2, vcc_lo, v83, v54, vcc_lo
	v_add_co_u32 v4, vcc_lo, v84, v53
	v_add_co_ci_u32_e32 v5, vcc_lo, v85, v54, vcc_lo
	global_load_b64 v[37:38], v[1:2], off
	global_load_b64 v[21:22], v[4:5], off
.LBB32_16:                              ;   in Loop: Header=BB32_5 Depth=1
	;; [unrolled: 16-line block ×7, first 2 shown]
	s_or_b32 exec_lo, exec_lo, s3
	s_waitcnt vmcnt(1)
	ds_bpermute_b32 v1, v3, v55
	ds_bpermute_b32 v2, v3, v56
	ds_bpermute_b32 v4, v3, v55 offset:4
	ds_bpermute_b32 v5, v3, v56 offset:4
	;; [unrolled: 1-line block ×4, first 2 shown]
	s_waitcnt vmcnt(0)
	ds_bpermute_b32 v8, v3, v57
	ds_bpermute_b32 v9, v3, v58
	ds_bpermute_b32 v10, v3, v55 offset:12
	ds_bpermute_b32 v11, v3, v56 offset:12
	;; [unrolled: 1-line block ×4, first 2 shown]
	s_waitcnt lgkmcnt(10)
	v_add_f64 v[1:2], v[17:18], -v[1:2]
	s_waitcnt lgkmcnt(8)
	v_add_f64 v[4:5], v[19:20], -v[4:5]
	;; [unrolled: 2-line block ×4, first 2 shown]
	s_delay_alu instid0(VALU_DEP_4) | instskip(NEXT) | instid1(VALU_DEP_4)
	v_mul_f64 v[1:2], v[33:34], v[1:2]
	v_mul_f64 v[4:5], v[35:36], v[4:5]
	s_delay_alu instid0(VALU_DEP_4) | instskip(NEXT) | instid1(VALU_DEP_4)
	v_mul_f64 v[6:7], v[37:38], v[6:7]
	v_mul_f64 v[10:11], v[39:40], v[10:11]
	s_delay_alu instid0(VALU_DEP_4) | instskip(SKIP_2) | instid1(VALU_DEP_2)
	v_fma_f64 v[1:2], v[1:2], v[8:9], v[49:50]
	v_add_f64 v[8:9], v[51:52], v[33:34]
	s_waitcnt lgkmcnt(0)
	v_fma_f64 v[1:2], v[4:5], v[12:13], v[1:2]
	s_delay_alu instid0(VALU_DEP_2)
	v_add_f64 v[4:5], v[35:36], v[8:9]
	ds_bpermute_b32 v8, v3, v55 offset:16
	ds_bpermute_b32 v9, v3, v56 offset:16
	ds_bpermute_b32 v12, v3, v57 offset:8
	ds_bpermute_b32 v13, v3, v58 offset:8
	s_waitcnt lgkmcnt(2)
	v_add_f64 v[8:9], v[25:26], -v[8:9]
	s_waitcnt lgkmcnt(0)
	v_fma_f64 v[1:2], v[6:7], v[12:13], v[1:2]
	v_add_f64 v[4:5], v[37:38], v[4:5]
	ds_bpermute_b32 v6, v3, v55 offset:20
	ds_bpermute_b32 v7, v3, v56 offset:20
	;; [unrolled: 1-line block ×4, first 2 shown]
	s_waitcnt lgkmcnt(2)
	v_add_f64 v[6:7], v[27:28], -v[6:7]
	v_mul_f64 v[8:9], v[41:42], v[8:9]
	s_waitcnt lgkmcnt(0)
	v_fma_f64 v[1:2], v[10:11], v[12:13], v[1:2]
	v_add_f64 v[4:5], v[39:40], v[4:5]
	ds_bpermute_b32 v10, v3, v55 offset:24
	ds_bpermute_b32 v11, v3, v56 offset:24
	;; [unrolled: 1-line block ×4, first 2 shown]
	s_waitcnt lgkmcnt(2)
	v_add_f64 v[10:11], v[29:30], -v[10:11]
	v_mul_f64 v[6:7], v[43:44], v[6:7]
	s_waitcnt lgkmcnt(0)
	v_fma_f64 v[1:2], v[8:9], v[12:13], v[1:2]
	v_add_f64 v[4:5], v[41:42], v[4:5]
	ds_bpermute_b32 v8, v3, v57 offset:20
	ds_bpermute_b32 v9, v3, v58 offset:20
	v_mul_f64 v[10:11], v[45:46], v[10:11]
	s_waitcnt lgkmcnt(0)
	v_fma_f64 v[1:2], v[6:7], v[8:9], v[1:2]
	v_add_f64 v[6:7], v[43:44], v[4:5]
	ds_bpermute_b32 v4, v3, v57 offset:24
	ds_bpermute_b32 v5, v3, v58 offset:24
	;; [unrolled: 1-line block ×4, first 2 shown]
	s_waitcnt lgkmcnt(2)
	v_fma_f64 v[4:5], v[10:11], v[4:5], v[1:2]
	v_add_f64 v[6:7], v[45:46], v[6:7]
	ds_bpermute_b32 v1, v3, v57 offset:28
	ds_bpermute_b32 v2, v3, v58 offset:28
	s_branch .LBB32_4
.LBB32_27:                              ;   in Loop: Header=BB32_5 Depth=1
                                        ; implicit-def: $vgpr1_vgpr2
                                        ; implicit-def: $vgpr17_vgpr18_vgpr19_vgpr20_vgpr21_vgpr22_vgpr23_vgpr24_vgpr25_vgpr26_vgpr27_vgpr28_vgpr29_vgpr30_vgpr31_vgpr32
                                        ; implicit-def: $vgpr33_vgpr34_vgpr35_vgpr36_vgpr37_vgpr38_vgpr39_vgpr40_vgpr41_vgpr42_vgpr43_vgpr44_vgpr45_vgpr46_vgpr47_vgpr48
                                        ; implicit-def: $vgpr8
                                        ; implicit-def: $vgpr6_vgpr7
                                        ; implicit-def: $vgpr4_vgpr5
	s_cbranch_execz .LBB32_4
; %bb.28:                               ;   in Loop: Header=BB32_5 Depth=1
	s_load_b32 s3, s[34:35], 0x0
	v_mov_b32_e32 v57, 0
	s_waitcnt lgkmcnt(0)
	s_cmp_lt_u32 s14, s3
	s_cselect_b32 s3, 12, 18
	s_delay_alu instid0(SALU_CYCLE_1)
	s_add_u32 s18, s34, s3
	s_addc_u32 s19, s35, 0
	s_mov_b32 s3, exec_lo
	global_load_u16 v1, v3, s[18:19]
	s_waitcnt vmcnt(0)
	v_mad_u32_u24 v1, v59, v1, v61
	s_delay_alu instid0(VALU_DEP_1) | instskip(NEXT) | instid1(VALU_DEP_1)
	v_dual_mov_b32 v58, 0 :: v_dual_and_b32 v1, 31, v1
	v_dual_mov_b32 v55, v57 :: v_dual_mov_b32 v56, v58
	s_delay_alu instid0(VALU_DEP_2)
	v_cmpx_gt_u32_e32 8, v1
	s_cbranch_execz .LBB32_32
; %bb.29:                               ;   in Loop: Header=BB32_5 Depth=1
	v_add_co_u32 v1, vcc_lo, v94, v1
	v_mov_b32_e32 v55, 0
	v_add_co_ci_u32_e32 v2, vcc_lo, 0, v95, vcc_lo
	v_mov_b32_e32 v56, 0
	s_delay_alu instid0(VALU_DEP_4) | instskip(NEXT) | instid1(VALU_DEP_3)
	v_add_co_u32 v1, vcc_lo, 0xffffffc1, v1
	v_add_co_ci_u32_e32 v2, vcc_lo, -1, v2, vcc_lo
	s_delay_alu instid0(VALU_DEP_3) | instskip(SKIP_1) | instid1(VALU_DEP_2)
	v_dual_mov_b32 v58, v56 :: v_dual_mov_b32 v57, v55
	s_mov_b32 s17, exec_lo
	v_cmpx_gt_i64_e64 s[4:5], v[1:2]
	s_cbranch_execz .LBB32_31
; %bb.30:                               ;   in Loop: Header=BB32_5 Depth=1
	v_lshlrev_b64 v[1:2], 3, v[1:2]
	s_delay_alu instid0(VALU_DEP_1) | instskip(NEXT) | instid1(VALU_DEP_2)
	v_add_co_u32 v4, vcc_lo, s36, v1
	v_add_co_ci_u32_e32 v5, vcc_lo, s37, v2, vcc_lo
	v_add_co_u32 v1, vcc_lo, s38, v1
	v_add_co_ci_u32_e32 v2, vcc_lo, s39, v2, vcc_lo
	global_load_b64 v[55:56], v[4:5], off
	global_load_b64 v[57:58], v[1:2], off
.LBB32_31:                              ;   in Loop: Header=BB32_5 Depth=1
	s_or_b32 exec_lo, exec_lo, s17
.LBB32_32:                              ;   in Loop: Header=BB32_5 Depth=1
	s_delay_alu instid0(SALU_CYCLE_1)
	s_or_b32 exec_lo, exec_lo, s3
	s_mov_b32 s31, s16
	s_mov_b32 s17, s16
	;; [unrolled: 1-line block ×15, first 2 shown]
	s_delay_alu instid0(SALU_CYCLE_1)
	v_dual_mov_b32 v32, s31 :: v_dual_mov_b32 v31, s30
	v_dual_mov_b32 v30, s29 :: v_dual_mov_b32 v29, s28
	;; [unrolled: 1-line block ×16, first 2 shown]
	s_and_saveexec_b32 s3, s2
	s_cbranch_execnz .LBB32_40
; %bb.33:                               ;   in Loop: Header=BB32_5 Depth=1
	s_or_b32 exec_lo, exec_lo, s3
	s_and_saveexec_b32 s3, s2
	s_cbranch_execnz .LBB32_41
.LBB32_34:                              ;   in Loop: Header=BB32_5 Depth=1
	s_or_b32 exec_lo, exec_lo, s3
	s_and_saveexec_b32 s3, s2
	s_cbranch_execnz .LBB32_42
.LBB32_35:                              ;   in Loop: Header=BB32_5 Depth=1
	s_or_b32 exec_lo, exec_lo, s3
	s_and_saveexec_b32 s3, s2
	s_cbranch_execnz .LBB32_43
.LBB32_36:                              ;   in Loop: Header=BB32_5 Depth=1
	s_or_b32 exec_lo, exec_lo, s3
	s_and_saveexec_b32 s3, s2
	s_cbranch_execnz .LBB32_44
.LBB32_37:                              ;   in Loop: Header=BB32_5 Depth=1
	s_or_b32 exec_lo, exec_lo, s3
	s_and_saveexec_b32 s3, s2
	s_cbranch_execnz .LBB32_45
.LBB32_38:                              ;   in Loop: Header=BB32_5 Depth=1
	s_or_b32 exec_lo, exec_lo, s3
	s_and_saveexec_b32 s3, s2
	s_cbranch_execnz .LBB32_46
.LBB32_39:                              ;   in Loop: Header=BB32_5 Depth=1
	s_or_b32 exec_lo, exec_lo, s3
	s_and_saveexec_b32 s3, s2
	s_cbranch_execz .LBB32_3
	s_branch .LBB32_47
.LBB32_40:                              ;   in Loop: Header=BB32_5 Depth=1
	v_add_co_u32 v1, vcc_lo, v90, v53
	v_add_co_ci_u32_e32 v2, vcc_lo, v91, v54, vcc_lo
	v_add_co_u32 v4, vcc_lo, v92, v53
	v_add_co_ci_u32_e32 v5, vcc_lo, v93, v54, vcc_lo
	global_load_b64 v[1:2], v[1:2], off
	v_mov_b32_e32 v16, v3
	v_mov_b32_e32 v6, v3
	global_load_b64 v[17:18], v[4:5], off
	v_mov_b32_e32 v4, v3
	v_mov_b32_e32 v5, v3
	;; [unrolled: 1-line block ×11, first 2 shown]
	s_waitcnt vmcnt(1)
	v_dual_mov_b32 v19, v3 :: v_dual_mov_b32 v48, v16
	v_dual_mov_b32 v20, v3 :: v_dual_mov_b32 v45, v13
	;; [unrolled: 1-line block ×7, first 2 shown]
	v_mov_b32_e32 v26, v3
	v_dual_mov_b32 v27, v3 :: v_dual_mov_b32 v40, v8
	v_mov_b32_e32 v28, v3
	v_dual_mov_b32 v29, v3 :: v_dual_mov_b32 v38, v6
	;; [unrolled: 2-line block ×3, first 2 shown]
	v_mov_b32_e32 v47, v15
	v_mov_b32_e32 v43, v11
	;; [unrolled: 1-line block ×5, first 2 shown]
	v_dual_mov_b32 v34, v2 :: v_dual_mov_b32 v33, v1
	s_or_b32 exec_lo, exec_lo, s3
	s_and_saveexec_b32 s3, s2
	s_cbranch_execz .LBB32_34
.LBB32_41:                              ;   in Loop: Header=BB32_5 Depth=1
	v_add_co_u32 v1, vcc_lo, v86, v53
	v_add_co_ci_u32_e32 v2, vcc_lo, v87, v54, vcc_lo
	v_add_co_u32 v4, vcc_lo, v88, v53
	v_add_co_ci_u32_e32 v5, vcc_lo, v89, v54, vcc_lo
	global_load_b64 v[35:36], v[1:2], off
	global_load_b64 v[19:20], v[4:5], off
	s_or_b32 exec_lo, exec_lo, s3
	s_and_saveexec_b32 s3, s2
	s_cbranch_execz .LBB32_35
.LBB32_42:                              ;   in Loop: Header=BB32_5 Depth=1
	v_add_co_u32 v1, vcc_lo, v82, v53
	v_add_co_ci_u32_e32 v2, vcc_lo, v83, v54, vcc_lo
	v_add_co_u32 v4, vcc_lo, v84, v53
	v_add_co_ci_u32_e32 v5, vcc_lo, v85, v54, vcc_lo
	global_load_b64 v[37:38], v[1:2], off
	global_load_b64 v[21:22], v[4:5], off
	s_or_b32 exec_lo, exec_lo, s3
	s_and_saveexec_b32 s3, s2
	s_cbranch_execz .LBB32_36
.LBB32_43:                              ;   in Loop: Header=BB32_5 Depth=1
	v_add_co_u32 v1, vcc_lo, v78, v53
	v_add_co_ci_u32_e32 v2, vcc_lo, v79, v54, vcc_lo
	v_add_co_u32 v4, vcc_lo, v80, v53
	v_add_co_ci_u32_e32 v5, vcc_lo, v81, v54, vcc_lo
	global_load_b64 v[39:40], v[1:2], off
	global_load_b64 v[23:24], v[4:5], off
	s_or_b32 exec_lo, exec_lo, s3
	s_and_saveexec_b32 s3, s2
	s_cbranch_execz .LBB32_37
.LBB32_44:                              ;   in Loop: Header=BB32_5 Depth=1
	v_add_co_u32 v1, vcc_lo, v74, v53
	v_add_co_ci_u32_e32 v2, vcc_lo, v75, v54, vcc_lo
	v_add_co_u32 v4, vcc_lo, v76, v53
	v_add_co_ci_u32_e32 v5, vcc_lo, v77, v54, vcc_lo
	global_load_b64 v[41:42], v[1:2], off
	global_load_b64 v[25:26], v[4:5], off
	s_or_b32 exec_lo, exec_lo, s3
	s_and_saveexec_b32 s3, s2
	s_cbranch_execz .LBB32_38
.LBB32_45:                              ;   in Loop: Header=BB32_5 Depth=1
	v_add_co_u32 v1, vcc_lo, v70, v53
	v_add_co_ci_u32_e32 v2, vcc_lo, v71, v54, vcc_lo
	v_add_co_u32 v4, vcc_lo, v72, v53
	v_add_co_ci_u32_e32 v5, vcc_lo, v73, v54, vcc_lo
	global_load_b64 v[43:44], v[1:2], off
	global_load_b64 v[27:28], v[4:5], off
	s_or_b32 exec_lo, exec_lo, s3
	s_and_saveexec_b32 s3, s2
	s_cbranch_execz .LBB32_39
.LBB32_46:                              ;   in Loop: Header=BB32_5 Depth=1
	v_add_co_u32 v1, vcc_lo, v66, v53
	v_add_co_ci_u32_e32 v2, vcc_lo, v67, v54, vcc_lo
	v_add_co_u32 v4, vcc_lo, v68, v53
	v_add_co_ci_u32_e32 v5, vcc_lo, v69, v54, vcc_lo
	global_load_b64 v[45:46], v[1:2], off
	global_load_b64 v[29:30], v[4:5], off
	s_or_b32 exec_lo, exec_lo, s3
	s_and_saveexec_b32 s3, s2
	s_cbranch_execz .LBB32_3
.LBB32_47:                              ;   in Loop: Header=BB32_5 Depth=1
	v_add_co_u32 v1, vcc_lo, v62, v53
	v_add_co_ci_u32_e32 v2, vcc_lo, v63, v54, vcc_lo
	v_add_co_u32 v4, vcc_lo, v64, v53
	v_add_co_ci_u32_e32 v5, vcc_lo, v65, v54, vcc_lo
	global_load_b64 v[47:48], v[1:2], off
	global_load_b64 v[31:32], v[4:5], off
	s_branch .LBB32_3
.LBB32_48:
                                        ; implicit-def: $vgpr51_vgpr52
                                        ; implicit-def: $vgpr49_vgpr50
	s_branch .LBB32_50
.LBB32_49:
	s_cbranch_execnz .LBB32_81
.LBB32_50:
	v_mov_b32_e32 v51, 0
	v_mov_b32_e32 v52, 0
	s_delay_alu instid0(VALU_DEP_2) | instskip(SKIP_1) | instid1(VALU_DEP_2)
	v_mov_b32_e32 v49, v51
	s_and_not1_b32 vcc_lo, exec_lo, s15
	v_mov_b32_e32 v50, v52
	s_cbranch_vccnz .LBB32_81
; %bb.51:
	s_load_b32 s2, s[0:1], 0x44
	v_bfe_u32 v75, v0, 10, 10
	v_dual_mov_b32 v3, 0 :: v_dual_and_b32 v48, 0x3ff, v0
	s_add_u32 s34, s0, 64
	s_addc_u32 s35, s1, 0
	s_delay_alu instid0(VALU_DEP_2) | instskip(NEXT) | instid1(VALU_DEP_2)
	v_lshlrev_b32_e32 v1, 6, v75
	v_dual_mov_b32 v49, 0 :: v_dual_add_nc_u32 v2, s33, v48
	v_mov_b32_e32 v50, 0
	v_lshlrev_b32_e32 v76, 3, v75
	s_delay_alu instid0(VALU_DEP_3) | instskip(NEXT) | instid1(VALU_DEP_3)
	v_lshlrev_b64 v[36:37], 3, v[2:3]
	v_dual_mov_b32 v52, v50 :: v_dual_mov_b32 v51, v49
	s_waitcnt lgkmcnt(0)
	s_lshl_b32 s15, s2, 6
	s_add_u32 s40, s12, 63
	s_addc_u32 s41, 0, 0
	s_lshl_b64 s[2:3], s[12:13], 3
	s_mul_i32 s16, s7, s15
	v_add_co_u32 v1, s2, v1, s2
	s_delay_alu instid0(VALU_DEP_1) | instskip(SKIP_1) | instid1(VALU_DEP_3)
	v_add_co_ci_u32_e64 v2, null, 0, s3, s2
	v_add_co_u32 v24, s3, v76, s12
	v_add_co_u32 v6, vcc_lo, v1, 8
	s_delay_alu instid0(VALU_DEP_3) | instskip(SKIP_3) | instid1(VALU_DEP_4)
	v_add_co_ci_u32_e32 v4, vcc_lo, 0, v2, vcc_lo
	v_add_co_u32 v7, vcc_lo, v1, 16
	v_add_co_ci_u32_e32 v5, vcc_lo, 0, v2, vcc_lo
	v_add_co_u32 v10, vcc_lo, v1, 24
	v_mul_lo_u32 v8, s6, v4
	v_add_co_ci_u32_e32 v4, vcc_lo, 0, v2, vcc_lo
	v_add_co_u32 v13, vcc_lo, v1, 32
	v_mul_lo_u32 v11, s6, v5
	;; [unrolled: 3-line block ×4, first 2 shown]
	v_add_co_ci_u32_e32 v5, vcc_lo, 0, v2, vcc_lo
	v_add_co_ci_u32_e64 v25, null, 0, 0, s3
	v_add_co_u32 v26, vcc_lo, v1, 56
	v_mul_lo_u32 v20, s6, v4
	s_delay_alu instid0(VALU_DEP_4) | instskip(SKIP_4) | instid1(VALU_DEP_4)
	v_mul_lo_u32 v22, s6, v5
	v_add_co_ci_u32_e32 v4, vcc_lo, 0, v2, vcc_lo
	v_mul_lo_u32 v5, s7, v24
	v_mul_lo_u32 v27, s6, v25
	v_mad_u64_u32 v[1:2], null, s6, v24, 0
	v_mul_lo_u32 v28, s6, v4
	v_mad_u64_u32 v[38:39], null, s6, v6, s[8:9]
	;; [unrolled: 2-line block ×3, first 2 shown]
	v_add3_u32 v2, v2, v27, v5
	v_mad_u64_u32 v[40:41], null, s6, v7, s[8:9]
	v_mul_lo_u32 v12, s7, v7
	v_mad_u64_u32 v[59:60], null, s6, v7, s[10:11]
	s_delay_alu instid0(VALU_DEP_4)
	v_lshlrev_b64 v[4:5], 3, v[1:2]
	v_add3_u32 v39, v9, v39, v8
	v_add3_u32 v58, v9, v58, v8
	v_mad_u64_u32 v[42:43], null, s6, v10, s[8:9]
	v_mul_lo_u32 v15, s7, v10
	v_add_co_u32 v77, vcc_lo, s8, v4
	v_add_co_ci_u32_e32 v78, vcc_lo, s9, v5, vcc_lo
	v_add_co_u32 v8, vcc_lo, v24, 7
	v_add_co_ci_u32_e32 v6, vcc_lo, 0, v25, vcc_lo
	v_mad_u64_u32 v[61:62], null, s6, v10, s[10:11]
	v_add3_u32 v41, v12, v41, v11
	v_add3_u32 v60, v12, v60, v11
	v_add_co_u32 v12, vcc_lo, v24, 6
	v_mul_lo_u32 v10, s7, v8
	v_mul_lo_u32 v11, s6, v6
	v_mad_u64_u32 v[6:7], null, s6, v8, 0
	v_add_co_ci_u32_e32 v9, vcc_lo, 0, v25, vcc_lo
	v_mad_u64_u32 v[44:45], null, s6, v13, s[8:9]
	v_mul_lo_u32 v18, s7, v13
	v_add3_u32 v43, v15, v43, v14
	v_mad_u64_u32 v[63:64], null, s6, v13, s[10:11]
	v_add3_u32 v62, v15, v62, v14
	v_mul_lo_u32 v13, s7, v12
	v_mul_lo_u32 v14, s6, v9
	v_mad_u64_u32 v[8:9], null, s6, v12, 0
	v_add3_u32 v7, v7, v11, v10
	v_add_co_u32 v79, vcc_lo, s10, v4
	v_add_co_ci_u32_e32 v80, vcc_lo, s11, v5, vcc_lo
	s_delay_alu instid0(VALU_DEP_3) | instskip(SKIP_3) | instid1(VALU_DEP_4)
	v_lshlrev_b64 v[4:5], 3, v[6:7]
	v_add3_u32 v9, v9, v14, v13
	v_add_co_u32 v10, vcc_lo, v24, 5
	v_add_co_ci_u32_e32 v11, vcc_lo, 0, v25, vcc_lo
	v_add_co_u32 v81, vcc_lo, s8, v4
	s_delay_alu instid0(VALU_DEP_4)
	v_lshlrev_b64 v[6:7], 3, v[8:9]
	v_add_co_ci_u32_e32 v82, vcc_lo, s9, v5, vcc_lo
	v_mul_lo_u32 v12, s7, v10
	v_mul_lo_u32 v11, s6, v11
	v_mad_u64_u32 v[8:9], null, s6, v10, 0
	v_add_co_u32 v83, vcc_lo, s10, v4
	v_add_co_ci_u32_e32 v84, vcc_lo, s11, v5, vcc_lo
	v_add_co_u32 v85, vcc_lo, s8, v6
	v_add_co_ci_u32_e32 v86, vcc_lo, s9, v7, vcc_lo
	s_mul_hi_u32 s2, s6, s15
	v_add_co_u32 v10, vcc_lo, v24, 4
	v_add3_u32 v9, v9, v11, v12
	s_add_i32 s3, s2, s16
	v_add_co_u32 v87, s2, s10, v6
	v_add_co_ci_u32_e32 v6, vcc_lo, 0, v25, vcc_lo
	v_add_co_u32 v12, vcc_lo, v24, 3
	v_lshlrev_b64 v[4:5], 3, v[8:9]
	v_add_co_ci_u32_e32 v8, vcc_lo, 0, v25, vcc_lo
	v_add_co_ci_u32_e64 v88, s2, s11, v7, s2
	v_mul_lo_u32 v11, s7, v10
	v_mul_lo_u32 v13, s6, v6
	v_mad_u64_u32 v[6:7], null, s6, v10, 0
	v_mul_lo_u32 v10, s7, v12
	v_mul_lo_u32 v14, s6, v8
	v_mad_u64_u32 v[8:9], null, s6, v12, 0
	v_add_co_u32 v89, vcc_lo, s8, v4
	v_add_co_ci_u32_e32 v90, vcc_lo, s9, v5, vcc_lo
	v_add3_u32 v7, v7, v13, v11
	v_add_co_u32 v91, vcc_lo, s10, v4
	v_add_co_ci_u32_e32 v92, vcc_lo, s11, v5, vcc_lo
	v_add3_u32 v9, v9, v14, v10
	v_add_co_u32 v10, vcc_lo, v24, 2
	v_lshlrev_b64 v[4:5], 3, v[6:7]
	v_add_co_ci_u32_e32 v11, vcc_lo, 0, v25, vcc_lo
	s_delay_alu instid0(VALU_DEP_4) | instskip(NEXT) | instid1(VALU_DEP_4)
	v_lshlrev_b64 v[6:7], 3, v[8:9]
	v_mul_lo_u32 v12, s7, v10
	v_mad_u64_u32 v[8:9], null, s6, v10, 0
	v_add_co_u32 v93, vcc_lo, s8, v4
	v_mul_lo_u32 v11, s6, v11
	v_add_co_ci_u32_e32 v94, vcc_lo, s9, v5, vcc_lo
	v_add_co_u32 v95, vcc_lo, s10, v4
	v_add_co_ci_u32_e32 v96, vcc_lo, s11, v5, vcc_lo
	v_add_co_u32 v97, vcc_lo, s8, v6
	v_add_co_ci_u32_e32 v98, vcc_lo, s9, v7, vcc_lo
	v_add3_u32 v9, v9, v11, v12
	v_add_co_u32 v99, vcc_lo, s10, v6
	v_add_co_ci_u32_e32 v100, vcc_lo, s11, v7, vcc_lo
	v_add_co_u32 v1, vcc_lo, v1, s6
	s_delay_alu instid0(VALU_DEP_4) | instskip(SKIP_3) | instid1(VALU_DEP_4)
	v_lshlrev_b64 v[4:5], 3, v[8:9]
	v_add_co_ci_u32_e32 v2, vcc_lo, s7, v2, vcc_lo
	v_mad_u64_u32 v[46:47], null, s6, v17, s[8:9]
	v_mul_lo_u32 v21, s7, v17
	v_add_co_u32 v101, vcc_lo, s8, v4
	s_delay_alu instid0(VALU_DEP_4)
	v_lshlrev_b64 v[1:2], 3, v[1:2]
	v_add_co_ci_u32_e32 v102, vcc_lo, s9, v5, vcc_lo
	v_mad_u64_u32 v[53:54], null, s6, v19, s[8:9]
	v_mul_lo_u32 v23, s7, v19
	v_mad_u64_u32 v[55:56], null, s6, v26, s[8:9]
	v_mul_lo_u32 v29, s7, v26
	v_mad_u64_u32 v[65:66], null, s6, v17, s[10:11]
	v_mad_u64_u32 v[67:68], null, s6, v19, s[10:11]
	;; [unrolled: 1-line block ×3, first 2 shown]
	v_add_co_u32 v103, vcc_lo, s10, v4
	v_add_co_ci_u32_e32 v104, vcc_lo, s11, v5, vcc_lo
	v_add_co_u32 v105, vcc_lo, s8, v1
	v_add_co_ci_u32_e32 v106, vcc_lo, s9, v2, vcc_lo
	v_add_co_u32 v107, vcc_lo, s10, v1
	v_add3_u32 v45, v18, v45, v16
	v_add3_u32 v47, v21, v47, v20
	;; [unrolled: 1-line block ×8, first 2 shown]
	v_add_co_ci_u32_e32 v108, vcc_lo, s11, v2, vcc_lo
	s_mul_i32 s2, s6, s15
	s_mov_b32 s16, 0
	s_lshl_b64 s[2:3], s[2:3], 3
	s_branch .LBB32_55
.LBB32_52:                              ;   in Loop: Header=BB32_55 Depth=1
	s_or_b32 exec_lo, exec_lo, s9
.LBB32_53:                              ;   in Loop: Header=BB32_55 Depth=1
	s_delay_alu instid0(SALU_CYCLE_1)
	s_or_b32 exec_lo, exec_lo, s8
	v_add_co_u32 v6, vcc_lo, v79, v36
	v_add_co_ci_u32_e32 v7, vcc_lo, v80, v37, vcc_lo
	v_add_co_u32 v8, vcc_lo, v57, v36
	v_add_co_ci_u32_e32 v9, vcc_lo, v58, v37, vcc_lo
	global_load_b64 v[6:7], v[6:7], off
	v_add_co_u32 v10, vcc_lo, v77, v36
	v_add_co_ci_u32_e32 v11, vcc_lo, v78, v37, vcc_lo
	global_load_b64 v[8:9], v[8:9], off
	global_load_b64 v[10:11], v[10:11], off
	v_add_co_u32 v12, vcc_lo, v59, v36
	v_add_co_ci_u32_e32 v13, vcc_lo, v60, v37, vcc_lo
	v_add_co_u32 v14, vcc_lo, v38, v36
	v_add_co_ci_u32_e32 v15, vcc_lo, v39, v37, vcc_lo
	global_load_b64 v[12:13], v[12:13], off
	global_load_b64 v[14:15], v[14:15], off
	v_add_co_u32 v16, vcc_lo, v61, v36
	v_add_co_ci_u32_e32 v17, vcc_lo, v62, v37, vcc_lo
	;; [unrolled: 6-line block ×5, first 2 shown]
	v_add_co_u32 v30, vcc_lo, v67, v36
	v_add_co_ci_u32_e32 v31, vcc_lo, v68, v37, vcc_lo
	v_add_co_u32 v32, vcc_lo, v69, v36
	v_add_co_ci_u32_e32 v33, vcc_lo, v70, v37, vcc_lo
	global_load_b64 v[30:31], v[30:31], off
	global_load_b64 v[34:35], v[18:19], off
	;; [unrolled: 1-line block ×3, first 2 shown]
	v_add_co_u32 v18, vcc_lo, v53, v36
	v_add_co_ci_u32_e32 v19, vcc_lo, v54, v37, vcc_lo
	v_add_co_u32 v71, vcc_lo, v55, v36
	v_add_co_ci_u32_e32 v72, vcc_lo, v56, v37, vcc_lo
	global_load_b64 v[73:74], v[18:19], off
	global_load_b64 v[18:19], v[71:72], off
	s_waitcnt vmcnt(17)
	ds_bpermute_b32 v71, v3, v4
	ds_bpermute_b32 v72, v3, v5
	s_waitcnt vmcnt(16)
	ds_bpermute_b32 v109, v3, v1
	ds_bpermute_b32 v110, v3, v2
	s_waitcnt vmcnt(15) lgkmcnt(2)
	v_add_f64 v[6:7], v[6:7], -v[71:72]
	ds_bpermute_b32 v71, v3, v4 offset:4
	ds_bpermute_b32 v72, v3, v5 offset:4
	s_waitcnt vmcnt(14) lgkmcnt(0)
	v_add_f64 v[8:9], v[8:9], -v[71:72]
	ds_bpermute_b32 v71, v3, v4 offset:8
	ds_bpermute_b32 v72, v3, v5 offset:8
	s_waitcnt vmcnt(13)
	v_mul_f64 v[6:7], v[10:11], v[6:7]
	v_add_f64 v[10:11], v[51:52], v[10:11]
	ds_bpermute_b32 v51, v3, v1 offset:4
	ds_bpermute_b32 v52, v3, v2 offset:4
	s_waitcnt vmcnt(12) lgkmcnt(2)
	v_add_f64 v[12:13], v[12:13], -v[71:72]
	s_waitcnt vmcnt(11)
	v_mul_f64 v[8:9], v[14:15], v[8:9]
	v_fma_f64 v[6:7], v[6:7], v[109:110], v[49:50]
	ds_bpermute_b32 v49, v3, v4 offset:12
	ds_bpermute_b32 v50, v3, v5 offset:12
	v_add_f64 v[10:11], v[10:11], v[14:15]
	ds_bpermute_b32 v14, v3, v1 offset:8
	ds_bpermute_b32 v15, v3, v2 offset:8
	s_waitcnt vmcnt(9)
	v_mul_f64 v[12:13], v[20:21], v[12:13]
	s_waitcnt lgkmcnt(2)
	v_add_f64 v[16:17], v[16:17], -v[49:50]
	v_fma_f64 v[6:7], v[8:9], v[51:52], v[6:7]
	ds_bpermute_b32 v8, v3, v4 offset:16
	ds_bpermute_b32 v9, v3, v5 offset:16
	v_add_f64 v[10:11], v[10:11], v[20:21]
	s_waitcnt vmcnt(8) lgkmcnt(0)
	v_add_f64 v[8:9], v[24:25], -v[8:9]
	s_waitcnt vmcnt(7)
	v_mul_f64 v[16:17], v[22:23], v[16:17]
	v_fma_f64 v[6:7], v[12:13], v[14:15], v[6:7]
	ds_bpermute_b32 v12, v3, v4 offset:20
	ds_bpermute_b32 v13, v3, v5 offset:20
	;; [unrolled: 1-line block ×4, first 2 shown]
	v_add_f64 v[10:11], v[10:11], v[22:23]
	s_waitcnt vmcnt(6) lgkmcnt(2)
	v_add_f64 v[12:13], v[28:29], -v[12:13]
	s_waitcnt vmcnt(5)
	v_mul_f64 v[8:9], v[26:27], v[8:9]
	s_waitcnt lgkmcnt(0)
	v_fma_f64 v[6:7], v[16:17], v[14:15], v[6:7]
	ds_bpermute_b32 v14, v3, v4 offset:24
	ds_bpermute_b32 v15, v3, v5 offset:24
	;; [unrolled: 1-line block ×6, first 2 shown]
	v_add_f64 v[10:11], v[10:11], v[26:27]
	s_waitcnt vmcnt(4) lgkmcnt(4)
	v_add_f64 v[14:15], v[30:31], -v[14:15]
	s_waitcnt vmcnt(3)
	v_mul_f64 v[12:13], v[34:35], v[12:13]
	s_waitcnt vmcnt(2) lgkmcnt(0)
	v_add_f64 v[4:5], v[32:33], -v[4:5]
	v_fma_f64 v[6:7], v[8:9], v[16:17], v[6:7]
	ds_bpermute_b32 v8, v3, v1 offset:20
	ds_bpermute_b32 v9, v3, v2 offset:20
	v_add_f64 v[10:11], v[10:11], v[34:35]
	s_waitcnt vmcnt(1)
	v_mul_f64 v[14:15], v[73:74], v[14:15]
	s_waitcnt vmcnt(0)
	v_mul_f64 v[4:5], v[18:19], v[4:5]
	s_waitcnt lgkmcnt(0)
	v_fma_f64 v[6:7], v[12:13], v[8:9], v[6:7]
	ds_bpermute_b32 v8, v3, v1 offset:24
	ds_bpermute_b32 v9, v3, v2 offset:24
	;; [unrolled: 1-line block ×4, first 2 shown]
	v_add_f64 v[1:2], v[10:11], v[73:74]
	s_waitcnt lgkmcnt(0)
	v_mul_f64 v[4:5], v[4:5], v[12:13]
	v_fma_f64 v[6:7], v[14:15], v[8:9], v[6:7]
.LBB32_54:                              ;   in Loop: Header=BB32_55 Depth=1
	v_add_co_u32 v38, vcc_lo, v38, s2
	v_add_co_ci_u32_e32 v39, vcc_lo, s3, v39, vcc_lo
	v_add_co_u32 v40, vcc_lo, v40, s2
	v_add_co_ci_u32_e32 v41, vcc_lo, s3, v41, vcc_lo
	v_add_co_u32 v42, vcc_lo, v42, s2
	v_add_co_ci_u32_e32 v43, vcc_lo, s3, v43, vcc_lo
	v_add_co_u32 v44, vcc_lo, v44, s2
	v_add_co_ci_u32_e32 v45, vcc_lo, s3, v45, vcc_lo
	v_add_co_u32 v46, vcc_lo, v46, s2
	v_add_co_ci_u32_e32 v47, vcc_lo, s3, v47, vcc_lo
	v_add_co_u32 v53, vcc_lo, v53, s2
	v_add_co_ci_u32_e32 v54, vcc_lo, s3, v54, vcc_lo
	v_add_co_u32 v55, vcc_lo, v55, s2
	v_add_co_ci_u32_e32 v56, vcc_lo, s3, v56, vcc_lo
	v_add_co_u32 v77, vcc_lo, v77, s2
	v_add_co_ci_u32_e32 v78, vcc_lo, s3, v78, vcc_lo
	v_add_co_u32 v57, vcc_lo, v57, s2
	v_add_co_ci_u32_e32 v58, vcc_lo, s3, v58, vcc_lo
	v_add_co_u32 v59, vcc_lo, v59, s2
	v_add_co_ci_u32_e32 v60, vcc_lo, s3, v60, vcc_lo
	v_add_co_u32 v61, vcc_lo, v61, s2
	v_add_co_ci_u32_e32 v62, vcc_lo, s3, v62, vcc_lo
	v_add_co_u32 v63, vcc_lo, v63, s2
	v_add_co_ci_u32_e32 v64, vcc_lo, s3, v64, vcc_lo
	v_add_co_u32 v65, vcc_lo, v65, s2
	v_add_co_ci_u32_e32 v66, vcc_lo, s3, v66, vcc_lo
	v_add_co_u32 v67, vcc_lo, v67, s2
	v_add_co_ci_u32_e32 v68, vcc_lo, s3, v68, vcc_lo
	v_add_co_u32 v69, vcc_lo, v69, s2
	v_add_co_ci_u32_e32 v70, vcc_lo, s3, v70, vcc_lo
	v_add_co_u32 v79, vcc_lo, v79, s2
	v_add_co_ci_u32_e32 v80, vcc_lo, s3, v80, vcc_lo
	v_add_co_u32 v81, vcc_lo, v81, s2
	v_add_co_ci_u32_e32 v82, vcc_lo, s3, v82, vcc_lo
	v_add_co_u32 v83, vcc_lo, v83, s2
	v_add_co_ci_u32_e32 v84, vcc_lo, s3, v84, vcc_lo
	v_add_co_u32 v85, vcc_lo, v85, s2
	v_add_f64 v[49:50], v[6:7], v[4:5]
	v_add_f64 v[51:52], v[1:2], v[18:19]
	v_add_co_ci_u32_e32 v86, vcc_lo, s3, v86, vcc_lo
	v_add_co_u32 v87, vcc_lo, v87, s2
	v_add_co_ci_u32_e32 v88, vcc_lo, s3, v88, vcc_lo
	v_add_co_u32 v89, vcc_lo, v89, s2
	;; [unrolled: 2-line block ×9, first 2 shown]
	s_add_u32 s12, s12, s15
	v_add_co_ci_u32_e32 v104, vcc_lo, s3, v104, vcc_lo
	s_addc_u32 s13, s13, 0
	v_add_co_u32 v105, vcc_lo, v105, s2
	v_cmp_ge_i64_e64 s8, s[12:13], s[4:5]
	v_add_co_ci_u32_e32 v106, vcc_lo, s3, v106, vcc_lo
	v_add_co_u32 v107, vcc_lo, v107, s2
	v_add_co_ci_u32_e32 v108, vcc_lo, s3, v108, vcc_lo
	s_add_u32 s40, s40, s15
	s_addc_u32 s41, s41, 0
	s_and_b32 vcc_lo, exec_lo, s8
	s_cbranch_vccnz .LBB32_81
.LBB32_55:                              ; =>This Inner Loop Header: Depth=1
	v_cmp_ge_i64_e64 s8, s[40:41], s[4:5]
	v_add_co_u32 v109, s9, v76, s40
	s_delay_alu instid0(VALU_DEP_1) | instskip(NEXT) | instid1(VALU_DEP_3)
	v_add_co_ci_u32_e64 v110, null, 0, s41, s9
	s_and_b32 vcc_lo, exec_lo, s8
	s_cbranch_vccz .LBB32_77
; %bb.56:                               ;   in Loop: Header=BB32_55 Depth=1
	s_load_b32 s8, s[34:35], 0xc
	v_mov_b32_e32 v71, 0
	s_waitcnt lgkmcnt(0)
	s_and_b32 s8, s8, 0xffff
	s_delay_alu instid0(SALU_CYCLE_1) | instskip(SKIP_2) | instid1(VALU_DEP_1)
	v_mad_u32_u24 v1, v75, s8, v48
	v_mov_b32_e32 v72, 0
	s_mov_b32 s8, exec_lo
	v_dual_mov_b32 v74, v72 :: v_dual_and_b32 v1, 31, v1
	v_mov_b32_e32 v73, v71
	s_delay_alu instid0(VALU_DEP_2)
	v_cmpx_gt_u32_e32 8, v1
	s_cbranch_execz .LBB32_60
; %bb.57:                               ;   in Loop: Header=BB32_55 Depth=1
	v_add_co_u32 v1, vcc_lo, v109, v1
	v_mov_b32_e32 v73, 0
	v_add_co_ci_u32_e32 v2, vcc_lo, 0, v110, vcc_lo
	v_mov_b32_e32 v74, 0
	s_delay_alu instid0(VALU_DEP_4) | instskip(NEXT) | instid1(VALU_DEP_3)
	v_add_co_u32 v1, vcc_lo, 0xffffffc1, v1
	v_add_co_ci_u32_e32 v2, vcc_lo, -1, v2, vcc_lo
	s_delay_alu instid0(VALU_DEP_3) | instskip(SKIP_1) | instid1(VALU_DEP_2)
	v_dual_mov_b32 v71, v73 :: v_dual_mov_b32 v72, v74
	s_mov_b32 s9, exec_lo
	v_cmpx_gt_i64_e64 s[4:5], v[1:2]
	s_cbranch_execz .LBB32_59
; %bb.58:                               ;   in Loop: Header=BB32_55 Depth=1
	v_lshlrev_b64 v[1:2], 3, v[1:2]
	s_delay_alu instid0(VALU_DEP_1) | instskip(NEXT) | instid1(VALU_DEP_2)
	v_add_co_u32 v4, vcc_lo, s36, v1
	v_add_co_ci_u32_e32 v5, vcc_lo, s37, v2, vcc_lo
	v_add_co_u32 v1, vcc_lo, s38, v1
	v_add_co_ci_u32_e32 v2, vcc_lo, s39, v2, vcc_lo
	global_load_b64 v[73:74], v[4:5], off
	global_load_b64 v[71:72], v[1:2], off
.LBB32_59:                              ;   in Loop: Header=BB32_55 Depth=1
	s_or_b32 exec_lo, exec_lo, s9
.LBB32_60:                              ;   in Loop: Header=BB32_55 Depth=1
	s_delay_alu instid0(SALU_CYCLE_1)
	s_or_b32 exec_lo, exec_lo, s8
	s_mov_b32 s31, s16
	s_mov_b32 s17, s16
	;; [unrolled: 1-line block ×15, first 2 shown]
	s_delay_alu instid0(SALU_CYCLE_1)
	v_dual_mov_b32 v35, s31 :: v_dual_mov_b32 v34, s30
	v_dual_mov_b32 v21, s17 :: v_dual_mov_b32 v20, s16
	;; [unrolled: 1-line block ×8, first 2 shown]
	v_add_co_u32 v1, vcc_lo, 0xffffffc1, v109
	v_dual_mov_b32 v4, v20 :: v_dual_mov_b32 v5, v21
	v_add_co_ci_u32_e32 v2, vcc_lo, -1, v110, vcc_lo
	s_delay_alu instid0(VALU_DEP_4)
	v_dual_mov_b32 v6, v22 :: v_dual_mov_b32 v7, v23
	v_dual_mov_b32 v8, v24 :: v_dual_mov_b32 v9, v25
	;; [unrolled: 1-line block ×7, first 2 shown]
	s_mov_b32 s8, exec_lo
	v_cmpx_gt_i64_e64 s[4:5], v[1:2]
	s_cbranch_execz .LBB32_62
; %bb.61:                               ;   in Loop: Header=BB32_55 Depth=1
	v_add_co_u32 v1, vcc_lo, v77, v36
	v_add_co_ci_u32_e32 v2, vcc_lo, v78, v37, vcc_lo
	v_add_co_u32 v4, vcc_lo, v79, v36
	v_add_co_ci_u32_e32 v5, vcc_lo, v80, v37, vcc_lo
	global_load_b64 v[1:2], v[1:2], off
	v_mov_b32_e32 v16, v3
	v_mov_b32_e32 v6, v3
	global_load_b64 v[20:21], v[4:5], off
	v_mov_b32_e32 v4, v3
	v_mov_b32_e32 v5, v3
	;; [unrolled: 1-line block ×11, first 2 shown]
	s_waitcnt vmcnt(1)
	v_dual_mov_b32 v22, v3 :: v_dual_mov_b32 v19, v16
	v_mov_b32_e32 v23, v3
	v_dual_mov_b32 v24, v3 :: v_dual_mov_b32 v17, v14
	v_mov_b32_e32 v31, v3
	v_mov_b32_e32 v33, v3
	;; [unrolled: 1-line block ×4, first 2 shown]
	v_dual_mov_b32 v26, v3 :: v_dual_mov_b32 v15, v12
	v_mov_b32_e32 v14, v11
	v_dual_mov_b32 v28, v3 :: v_dual_mov_b32 v13, v10
	v_dual_mov_b32 v25, v3 :: v_dual_mov_b32 v12, v9
	;; [unrolled: 1-line block ×3, first 2 shown]
	v_mov_b32_e32 v10, v7
	v_dual_mov_b32 v32, v3 :: v_dual_mov_b32 v9, v6
	v_dual_mov_b32 v27, v3 :: v_dual_mov_b32 v8, v5
	v_dual_mov_b32 v34, v3 :: v_dual_mov_b32 v7, v4
	v_mov_b32_e32 v6, v3
	v_mov_b32_e32 v35, v3
	;; [unrolled: 1-line block ×3, first 2 shown]
	v_dual_mov_b32 v29, v3 :: v_dual_mov_b32 v4, v1
.LBB32_62:                              ;   in Loop: Header=BB32_55 Depth=1
	s_or_b32 exec_lo, exec_lo, s8
	v_add_co_u32 v1, vcc_lo, 0xffffffc2, v109
	v_add_co_ci_u32_e32 v2, vcc_lo, -1, v110, vcc_lo
	s_mov_b32 s8, exec_lo
	s_delay_alu instid0(VALU_DEP_1)
	v_cmpx_gt_i64_e64 s[4:5], v[1:2]
	s_cbranch_execz .LBB32_64
; %bb.63:                               ;   in Loop: Header=BB32_55 Depth=1
	v_add_co_u32 v1, vcc_lo, v105, v36
	v_add_co_ci_u32_e32 v2, vcc_lo, v106, v37, vcc_lo
	v_add_co_u32 v22, vcc_lo, v107, v36
	v_add_co_ci_u32_e32 v23, vcc_lo, v108, v37, vcc_lo
	global_load_b64 v[6:7], v[1:2], off
	global_load_b64 v[22:23], v[22:23], off
.LBB32_64:                              ;   in Loop: Header=BB32_55 Depth=1
	s_or_b32 exec_lo, exec_lo, s8
	v_add_co_u32 v1, vcc_lo, 0xffffffc3, v109
	v_add_co_ci_u32_e32 v2, vcc_lo, -1, v110, vcc_lo
	s_mov_b32 s8, exec_lo
	s_delay_alu instid0(VALU_DEP_1)
	v_cmpx_gt_i64_e64 s[4:5], v[1:2]
	s_cbranch_execz .LBB32_66
; %bb.65:                               ;   in Loop: Header=BB32_55 Depth=1
	v_add_co_u32 v1, vcc_lo, v101, v36
	v_add_co_ci_u32_e32 v2, vcc_lo, v102, v37, vcc_lo
	v_add_co_u32 v24, vcc_lo, v103, v36
	v_add_co_ci_u32_e32 v25, vcc_lo, v104, v37, vcc_lo
	global_load_b64 v[8:9], v[1:2], off
	global_load_b64 v[24:25], v[24:25], off
.LBB32_66:                              ;   in Loop: Header=BB32_55 Depth=1
	;; [unrolled: 15-line block ×7, first 2 shown]
	s_or_b32 exec_lo, exec_lo, s8
	s_waitcnt vmcnt(1)
	ds_bpermute_b32 v1, v3, v73
	ds_bpermute_b32 v2, v3, v74
	s_waitcnt vmcnt(0)
	ds_bpermute_b32 v111, v3, v71
	ds_bpermute_b32 v112, v3, v72
	s_waitcnt lgkmcnt(2)
	v_add_f64 v[1:2], v[20:21], -v[1:2]
	ds_bpermute_b32 v20, v3, v73 offset:4
	ds_bpermute_b32 v21, v3, v74 offset:4
	s_waitcnt lgkmcnt(0)
	v_add_f64 v[20:21], v[22:23], -v[20:21]
	ds_bpermute_b32 v22, v3, v73 offset:8
	ds_bpermute_b32 v23, v3, v74 offset:8
	v_mul_f64 v[1:2], v[4:5], v[1:2]
	v_add_f64 v[4:5], v[51:52], v[4:5]
	s_waitcnt lgkmcnt(0)
	v_add_f64 v[22:23], v[24:25], -v[22:23]
	ds_bpermute_b32 v24, v3, v73 offset:12
	ds_bpermute_b32 v25, v3, v74 offset:12
	v_mul_f64 v[20:21], v[6:7], v[20:21]
	s_waitcnt lgkmcnt(0)
	v_add_f64 v[24:25], v[26:27], -v[24:25]
	v_fma_f64 v[1:2], v[1:2], v[111:112], v[49:50]
	ds_bpermute_b32 v111, v3, v71 offset:4
	ds_bpermute_b32 v112, v3, v72 offset:4
	v_add_f64 v[4:5], v[6:7], v[4:5]
	v_mul_f64 v[6:7], v[8:9], v[22:23]
	ds_bpermute_b32 v22, v3, v71 offset:8
	ds_bpermute_b32 v23, v3, v72 offset:8
	v_mul_f64 v[24:25], v[10:11], v[24:25]
	s_waitcnt lgkmcnt(2)
	v_fma_f64 v[1:2], v[20:21], v[111:112], v[1:2]
	ds_bpermute_b32 v20, v3, v73 offset:16
	ds_bpermute_b32 v21, v3, v74 offset:16
	v_add_f64 v[4:5], v[8:9], v[4:5]
	ds_bpermute_b32 v8, v3, v71 offset:12
	ds_bpermute_b32 v9, v3, v72 offset:12
	s_waitcnt lgkmcnt(2)
	v_add_f64 v[20:21], v[28:29], -v[20:21]
	v_fma_f64 v[1:2], v[6:7], v[22:23], v[1:2]
	ds_bpermute_b32 v6, v3, v73 offset:20
	ds_bpermute_b32 v7, v3, v74 offset:20
	v_add_f64 v[4:5], v[10:11], v[4:5]
	ds_bpermute_b32 v10, v3, v71 offset:16
	ds_bpermute_b32 v11, v3, v72 offset:16
	;; [unrolled: 1-line block ×4, first 2 shown]
	s_waitcnt lgkmcnt(4)
	v_add_f64 v[6:7], v[30:31], -v[6:7]
	v_mul_f64 v[20:21], v[12:13], v[20:21]
	v_fma_f64 v[1:2], v[24:25], v[8:9], v[1:2]
	ds_bpermute_b32 v8, v3, v73 offset:24
	ds_bpermute_b32 v9, v3, v74 offset:24
	v_add_f64 v[4:5], v[12:13], v[4:5]
	ds_bpermute_b32 v12, v3, v71 offset:20
	ds_bpermute_b32 v13, v3, v72 offset:20
	s_waitcnt lgkmcnt(2)
	v_add_f64 v[8:9], v[32:33], -v[8:9]
	v_mul_f64 v[6:7], v[14:15], v[6:7]
	v_fma_f64 v[1:2], v[20:21], v[10:11], v[1:2]
	v_add_f64 v[10:11], v[34:35], -v[22:23]
	v_add_f64 v[4:5], v[14:15], v[4:5]
	ds_bpermute_b32 v14, v3, v71 offset:28
	ds_bpermute_b32 v15, v3, v72 offset:28
	v_mul_f64 v[8:9], v[16:17], v[8:9]
	s_waitcnt lgkmcnt(2)
	v_fma_f64 v[6:7], v[6:7], v[12:13], v[1:2]
	v_mul_f64 v[10:11], v[18:19], v[10:11]
	ds_bpermute_b32 v12, v3, v71 offset:24
	ds_bpermute_b32 v13, v3, v72 offset:24
	v_add_f64 v[1:2], v[16:17], v[4:5]
	s_waitcnt lgkmcnt(0)
	v_fma_f64 v[6:7], v[8:9], v[12:13], v[6:7]
	v_mul_f64 v[4:5], v[10:11], v[14:15]
	s_branch .LBB32_54
.LBB32_77:                              ;   in Loop: Header=BB32_55 Depth=1
                                        ; implicit-def: $vgpr18_vgpr19
                                        ; implicit-def: $vgpr4_vgpr5
                                        ; implicit-def: $vgpr1_vgpr2
                                        ; implicit-def: $vgpr6_vgpr7
	s_cbranch_execz .LBB32_54
; %bb.78:                               ;   in Loop: Header=BB32_55 Depth=1
	s_load_b32 s8, s[34:35], 0x0
	s_waitcnt lgkmcnt(0)
	s_cmp_lt_u32 s14, s8
	s_cselect_b32 s8, 12, 18
	s_delay_alu instid0(SALU_CYCLE_1)
	s_add_u32 s8, s34, s8
	s_addc_u32 s9, s35, 0
	global_load_u16 v1, v3, s[8:9]
	s_mov_b32 s8, exec_lo
	s_waitcnt vmcnt(0)
	v_mad_u32_u24 v4, v75, v1, v48
	v_mov_b32_e32 v1, 0
	v_mov_b32_e32 v2, 0
	s_delay_alu instid0(VALU_DEP_1) | instskip(NEXT) | instid1(VALU_DEP_3)
	v_dual_mov_b32 v5, v2 :: v_dual_and_b32 v6, 31, v4
	v_mov_b32_e32 v4, v1
	s_delay_alu instid0(VALU_DEP_2)
	v_cmpx_gt_u32_e32 8, v6
	s_cbranch_execz .LBB32_53
; %bb.79:                               ;   in Loop: Header=BB32_55 Depth=1
	v_add_co_u32 v1, vcc_lo, v109, v6
	v_mov_b32_e32 v4, 0
	v_add_co_ci_u32_e32 v2, vcc_lo, 0, v110, vcc_lo
	v_mov_b32_e32 v5, 0
	s_delay_alu instid0(VALU_DEP_4) | instskip(NEXT) | instid1(VALU_DEP_3)
	v_add_co_u32 v6, vcc_lo, 0xffffffc1, v1
	v_add_co_ci_u32_e32 v7, vcc_lo, -1, v2, vcc_lo
	s_delay_alu instid0(VALU_DEP_3) | instskip(SKIP_1) | instid1(VALU_DEP_2)
	v_dual_mov_b32 v1, v4 :: v_dual_mov_b32 v2, v5
	s_mov_b32 s9, exec_lo
	v_cmpx_gt_i64_e64 s[4:5], v[6:7]
	s_cbranch_execz .LBB32_52
; %bb.80:                               ;   in Loop: Header=BB32_55 Depth=1
	v_lshlrev_b64 v[1:2], 3, v[6:7]
	s_delay_alu instid0(VALU_DEP_1) | instskip(NEXT) | instid1(VALU_DEP_2)
	v_add_co_u32 v4, vcc_lo, s36, v1
	v_add_co_ci_u32_e32 v5, vcc_lo, s37, v2, vcc_lo
	v_add_co_u32 v1, vcc_lo, s38, v1
	v_add_co_ci_u32_e32 v2, vcc_lo, s39, v2, vcc_lo
	global_load_b64 v[4:5], v[4:5], off
	global_load_b64 v[1:2], v[1:2], off
	s_branch .LBB32_52
.LBB32_81:
	v_and_b32_e32 v1, 0x3ff, v0
	v_bfe_u32 v0, v0, 10, 10
	s_mov_b32 s15, 0
	s_mov_b32 s2, exec_lo
	s_delay_alu instid0(VALU_DEP_1) | instskip(NEXT) | instid1(VALU_DEP_1)
	v_mad_u32_u24 v2, 0x41, v0, v1
	v_sub_nc_u32_e32 v0, v2, v0
	v_lshl_add_u32 v2, v2, 3, 0
	ds_store_b64 v2, v[49:50]
	ds_store_b64 v2, v[51:52] offset:4160
	s_waitcnt lgkmcnt(0)
	s_barrier
	buffer_gl0_inv
	v_cmpx_gt_u32_e32 0x800, v0
	s_cbranch_execz .LBB32_91
; %bb.82:
	v_lshrrev_b32_e32 v8, 5, v0
	v_mbcnt_lo_u32_b32 v0, -1, 0
	s_load_b128 s[8:11], s[0:1], 0x30
	v_dual_mov_b32 v9, 0 :: v_dual_and_b32 v2, 31, v1
	v_cmp_eq_u32_e64 s0, 0, v1
	s_delay_alu instid0(VALU_DEP_3)
	v_xor_b32_e32 v1, 4, v0
	v_xor_b32_e32 v3, 2, v0
	;; [unrolled: 1-line block ×3, first 2 shown]
	s_lshl_b64 s[4:5], s[14:15], 6
	v_lshlrev_b32_e32 v5, 3, v8
	v_cmp_gt_i32_e32 vcc_lo, 32, v1
	v_cmp_gt_u32_e64 s1, 8, v2
                                        ; implicit-def: $vgpr6_vgpr7
	v_cndmask_b32_e32 v1, v0, v1, vcc_lo
	v_cmp_gt_i32_e32 vcc_lo, 32, v3
	v_cndmask_b32_e32 v3, v0, v3, vcc_lo
	v_cmp_gt_i32_e32 vcc_lo, 32, v4
	s_waitcnt lgkmcnt(0)
	s_cmp_lg_u64 s[8:9], 0
	s_cselect_b32 s3, -1, 0
	s_cmp_lg_u64 s[10:11], 0
	v_cndmask_b32_e32 v0, v0, v4, vcc_lo
	s_cselect_b32 s12, -1, 0
	s_lshl_b64 s[16:17], s[14:15], 9
	s_delay_alu instid0(VALU_DEP_1) | instskip(SKIP_3) | instid1(VALU_DEP_1)
	v_lshlrev_b32_e32 v12, 2, v0
	v_lshlrev_b32_e32 v10, 2, v1
	;; [unrolled: 1-line block ×3, first 2 shown]
	v_add_co_u32 v3, s2, s16, v5
	v_add_co_ci_u32_e64 v4, null, s17, 0, s2
	v_mad_u32_u24 v5, 0x41, v2, v8
	s_delay_alu instid0(VALU_DEP_3) | instskip(NEXT) | instid1(VALU_DEP_3)
	v_add_co_u32 v0, vcc_lo, s10, v3
	v_add_co_ci_u32_e32 v1, vcc_lo, s11, v4, vcc_lo
	v_add_co_u32 v2, vcc_lo, s8, v3
	v_add_co_ci_u32_e32 v3, vcc_lo, s9, v4, vcc_lo
	v_lshl_add_u32 v13, v5, 3, 0
                                        ; implicit-def: $vgpr4_vgpr5
	s_branch .LBB32_84
.LBB32_83:                              ;   in Loop: Header=BB32_84 Depth=1
	s_or_b32 exec_lo, exec_lo, s2
	v_add_co_u32 v8, vcc_lo, v8, 16
	v_add_co_ci_u32_e32 v9, vcc_lo, 0, v9, vcc_lo
	v_add_co_u32 v0, vcc_lo, 0x80, v0
	s_delay_alu instid0(VALU_DEP_3) | instskip(SKIP_2) | instid1(VALU_DEP_3)
	v_add_nc_u32_e32 v14, -16, v8
	v_add_co_ci_u32_e32 v1, vcc_lo, 0, v1, vcc_lo
	v_add_co_u32 v2, s2, 0x80, v2
	v_cmp_lt_u32_e32 vcc_lo, 47, v14
	v_add_co_ci_u32_e64 v3, s2, 0, v3, s2
	v_add_nc_u32_e32 v13, 0x80, v13
	s_or_b32 s15, vcc_lo, s15
	s_delay_alu instid0(SALU_CYCLE_1)
	s_and_not1_b32 exec_lo, exec_lo, s15
	s_cbranch_execz .LBB32_91
.LBB32_84:                              ; =>This Inner Loop Header: Depth=1
	s_and_saveexec_b32 s2, s1
	s_cbranch_execz .LBB32_86
; %bb.85:                               ;   in Loop: Header=BB32_84 Depth=1
	ds_load_b64 v[4:5], v13
	ds_load_b64 v[6:7], v13 offset:4160
.LBB32_86:                              ;   in Loop: Header=BB32_84 Depth=1
	s_or_b32 exec_lo, exec_lo, s2
	s_waitcnt lgkmcnt(1)
	ds_bpermute_b32 v14, v10, v4
	ds_bpermute_b32 v15, v10, v5
	s_waitcnt lgkmcnt(2)
	ds_bpermute_b32 v16, v10, v6
	ds_bpermute_b32 v17, v10, v7
	s_waitcnt lgkmcnt(2)
	v_add_f64 v[4:5], v[4:5], v[14:15]
	s_waitcnt lgkmcnt(0)
	v_add_f64 v[6:7], v[6:7], v[16:17]
	ds_bpermute_b32 v14, v11, v4
	ds_bpermute_b32 v15, v11, v5
	;; [unrolled: 1-line block ×4, first 2 shown]
	s_waitcnt lgkmcnt(2)
	v_add_f64 v[4:5], v[4:5], v[14:15]
	s_waitcnt lgkmcnt(0)
	v_add_f64 v[6:7], v[6:7], v[16:17]
	ds_bpermute_b32 v14, v12, v4
	ds_bpermute_b32 v15, v12, v5
	ds_bpermute_b32 v16, v12, v6
	ds_bpermute_b32 v17, v12, v7
	s_waitcnt lgkmcnt(2)
	v_add_f64 v[4:5], v[4:5], v[14:15]
	v_add_co_u32 v14, vcc_lo, s4, v8
	s_waitcnt lgkmcnt(0)
	v_add_f64 v[6:7], v[6:7], v[16:17]
	v_add_co_ci_u32_e32 v15, vcc_lo, s5, v9, vcc_lo
	s_delay_alu instid0(VALU_DEP_1) | instskip(SKIP_1) | instid1(SALU_CYCLE_1)
	v_cmp_gt_i64_e32 vcc_lo, s[6:7], v[14:15]
	s_and_b32 s8, s0, vcc_lo
	s_and_saveexec_b32 s2, s8
	s_cbranch_execz .LBB32_83
; %bb.87:                               ;   in Loop: Header=BB32_84 Depth=1
	s_and_not1_b32 vcc_lo, exec_lo, s3
	s_cbranch_vccnz .LBB32_89
; %bb.88:                               ;   in Loop: Header=BB32_84 Depth=1
	global_store_b64 v[2:3], v[4:5], off
.LBB32_89:                              ;   in Loop: Header=BB32_84 Depth=1
	s_and_not1_b32 vcc_lo, exec_lo, s12
	s_cbranch_vccnz .LBB32_83
; %bb.90:                               ;   in Loop: Header=BB32_84 Depth=1
	global_store_b64 v[0:1], v[6:7], off
	s_branch .LBB32_83
.LBB32_91:
	s_nop 0
	s_sendmsg sendmsg(MSG_DEALLOC_VGPRS)
	s_endpgm
	.section	.rodata,"a",@progbits
	.p2align	6, 0x0
	.amdhsa_kernel _ZN2at6native12_GLOBAL__N_135GammaBetaBackwardCUDAKernelTemplateIddLj64ELj8ELj64ELb0ELb0ELb0EEEvllPKT_S5_PKT0_S8_PS3_S9_
		.amdhsa_group_segment_fixed_size 0
		.amdhsa_private_segment_fixed_size 0
		.amdhsa_kernarg_size 320
		.amdhsa_user_sgpr_count 14
		.amdhsa_user_sgpr_dispatch_ptr 0
		.amdhsa_user_sgpr_queue_ptr 0
		.amdhsa_user_sgpr_kernarg_segment_ptr 1
		.amdhsa_user_sgpr_dispatch_id 0
		.amdhsa_user_sgpr_private_segment_size 0
		.amdhsa_wavefront_size32 1
		.amdhsa_uses_dynamic_stack 0
		.amdhsa_enable_private_segment 0
		.amdhsa_system_sgpr_workgroup_id_x 1
		.amdhsa_system_sgpr_workgroup_id_y 1
		.amdhsa_system_sgpr_workgroup_id_z 0
		.amdhsa_system_sgpr_workgroup_info 0
		.amdhsa_system_vgpr_workitem_id 1
		.amdhsa_next_free_vgpr 113
		.amdhsa_next_free_sgpr 47
		.amdhsa_reserve_vcc 1
		.amdhsa_float_round_mode_32 0
		.amdhsa_float_round_mode_16_64 0
		.amdhsa_float_denorm_mode_32 3
		.amdhsa_float_denorm_mode_16_64 3
		.amdhsa_dx10_clamp 1
		.amdhsa_ieee_mode 1
		.amdhsa_fp16_overflow 0
		.amdhsa_workgroup_processor_mode 1
		.amdhsa_memory_ordered 1
		.amdhsa_forward_progress 0
		.amdhsa_shared_vgpr_count 0
		.amdhsa_exception_fp_ieee_invalid_op 0
		.amdhsa_exception_fp_denorm_src 0
		.amdhsa_exception_fp_ieee_div_zero 0
		.amdhsa_exception_fp_ieee_overflow 0
		.amdhsa_exception_fp_ieee_underflow 0
		.amdhsa_exception_fp_ieee_inexact 0
		.amdhsa_exception_int_div_zero 0
	.end_amdhsa_kernel
	.section	.text._ZN2at6native12_GLOBAL__N_135GammaBetaBackwardCUDAKernelTemplateIddLj64ELj8ELj64ELb0ELb0ELb0EEEvllPKT_S5_PKT0_S8_PS3_S9_,"axG",@progbits,_ZN2at6native12_GLOBAL__N_135GammaBetaBackwardCUDAKernelTemplateIddLj64ELj8ELj64ELb0ELb0ELb0EEEvllPKT_S5_PKT0_S8_PS3_S9_,comdat
.Lfunc_end32:
	.size	_ZN2at6native12_GLOBAL__N_135GammaBetaBackwardCUDAKernelTemplateIddLj64ELj8ELj64ELb0ELb0ELb0EEEvllPKT_S5_PKT0_S8_PS3_S9_, .Lfunc_end32-_ZN2at6native12_GLOBAL__N_135GammaBetaBackwardCUDAKernelTemplateIddLj64ELj8ELj64ELb0ELb0ELb0EEEvllPKT_S5_PKT0_S8_PS3_S9_
                                        ; -- End function
	.section	.AMDGPU.csdata,"",@progbits
; Kernel info:
; codeLenInByte = 9844
; NumSgprs: 49
; NumVgprs: 113
; ScratchSize: 0
; MemoryBound: 1
; FloatMode: 240
; IeeeMode: 1
; LDSByteSize: 0 bytes/workgroup (compile time only)
; SGPRBlocks: 6
; VGPRBlocks: 14
; NumSGPRsForWavesPerEU: 49
; NumVGPRsForWavesPerEU: 113
; Occupancy: 12
; WaveLimiterHint : 0
; COMPUTE_PGM_RSRC2:SCRATCH_EN: 0
; COMPUTE_PGM_RSRC2:USER_SGPR: 14
; COMPUTE_PGM_RSRC2:TRAP_HANDLER: 0
; COMPUTE_PGM_RSRC2:TGID_X_EN: 1
; COMPUTE_PGM_RSRC2:TGID_Y_EN: 1
; COMPUTE_PGM_RSRC2:TGID_Z_EN: 0
; COMPUTE_PGM_RSRC2:TIDIG_COMP_CNT: 1
	.section	.text._ZN2at6native12_GLOBAL__N_135GammaBetaBackwardCUDAKernelTemplateIddLj64ELj16ELj128ELb0ELb1ELb0EEEvllPKT_S5_PKT0_S8_PS3_S9_,"axG",@progbits,_ZN2at6native12_GLOBAL__N_135GammaBetaBackwardCUDAKernelTemplateIddLj64ELj16ELj128ELb0ELb1ELb0EEEvllPKT_S5_PKT0_S8_PS3_S9_,comdat
	.globl	_ZN2at6native12_GLOBAL__N_135GammaBetaBackwardCUDAKernelTemplateIddLj64ELj16ELj128ELb0ELb1ELb0EEEvllPKT_S5_PKT0_S8_PS3_S9_ ; -- Begin function _ZN2at6native12_GLOBAL__N_135GammaBetaBackwardCUDAKernelTemplateIddLj64ELj16ELj128ELb0ELb1ELb0EEEvllPKT_S5_PKT0_S8_PS3_S9_
	.p2align	8
	.type	_ZN2at6native12_GLOBAL__N_135GammaBetaBackwardCUDAKernelTemplateIddLj64ELj16ELj128ELb0ELb1ELb0EEEvllPKT_S5_PKT0_S8_PS3_S9_,@function
_ZN2at6native12_GLOBAL__N_135GammaBetaBackwardCUDAKernelTemplateIddLj64ELj16ELj128ELb0ELb1ELb0EEEvllPKT_S5_PKT0_S8_PS3_S9_: ; @_ZN2at6native12_GLOBAL__N_135GammaBetaBackwardCUDAKernelTemplateIddLj64ELj16ELj128ELb0ELb1ELb0EEEvllPKT_S5_PKT0_S8_PS3_S9_
; %bb.0:
	s_load_b128 s[20:23], s[0:1], 0x0
	s_mov_b32 s3, 0
	s_lshl_b32 s2, s15, 7
	v_bfe_u32 v17, v0, 10, 10
	s_waitcnt lgkmcnt(0)
	v_cmp_lt_i64_e64 s4, s[2:3], s[20:21]
	s_delay_alu instid0(VALU_DEP_1)
	s_and_b32 vcc_lo, exec_lo, s4
	s_cbranch_vccnz .LBB33_2
; %bb.1:
	v_bfe_u32 v1, v0, 10, 10
	s_mov_b64 s[4:5], 0
	s_mov_b32 s6, s3
	s_branch .LBB33_3
.LBB33_2:
	s_mov_b32 s6, -1
                                        ; implicit-def: $sgpr4_sgpr5
                                        ; implicit-def: $vgpr1
.LBB33_3:
	s_load_b128 s[16:19], s[0:1], 0x30
	v_dual_mov_b32 v11, s5 :: v_dual_and_b32 v16, 0x3ff, v0
	v_dual_mov_b32 v9, s5 :: v_dual_mov_b32 v8, s4
	v_mov_b32_e32 v10, s4
	s_and_not1_b32 vcc_lo, exec_lo, s6
	s_cbranch_vccnz .LBB33_11
; %bb.4:
	s_clause 0x2
	s_load_b32 s12, s[0:1], 0x4c
	s_load_b32 s15, s[0:1], 0x44
	s_load_b256 s[4:11], s[0:1], 0x10
	v_dual_mov_b32 v19, 4 :: v_dual_lshlrev_b32 v2, 3, v17
	v_dual_mov_b32 v18, 8 :: v_dual_mov_b32 v1, 0
	v_lshl_add_u32 v0, s14, 6, v16
	s_delay_alu instid0(VALU_DEP_3) | instskip(NEXT) | instid1(VALU_DEP_1)
	v_add_co_u32 v4, s0, v2, s2
	v_add_co_ci_u32_e64 v5, null, 0, 0, s0
	v_mov_b32_e32 v2, 0
	s_delay_alu instid0(VALU_DEP_3) | instskip(SKIP_1) | instid1(VALU_DEP_4)
	v_mul_lo_u32 v10, s23, v4
	v_mad_u64_u32 v[6:7], null, s22, v4, 0
	v_mul_lo_u32 v11, s22, v5
	v_dual_mov_b32 v24, 28 :: v_dual_mov_b32 v3, 0
	v_dual_mov_b32 v20, 12 :: v_dual_mov_b32 v21, 16
	s_waitcnt lgkmcnt(0)
	s_and_b32 s0, s12, 0xffff
	s_lshl_b32 s12, s15, 7
	v_mad_u32_u24 v8, v17, s0, v16
	s_delay_alu instid0(VALU_DEP_4)
	v_add3_u32 v7, v7, v11, v10
	s_mul_i32 s1, s23, s12
	s_mul_hi_u32 s15, s22, s12
	v_dual_mov_b32 v22, 20 :: v_dual_mov_b32 v23, 24
	v_and_b32_e32 v12, 31, v8
	v_lshlrev_b64 v[8:9], 3, v[0:1]
	v_lshlrev_b64 v[10:11], 3, v[6:7]
	s_mov_b32 s13, 0
	s_add_i32 s27, s15, s1
	v_add_co_u32 v4, vcc_lo, v4, v12
	v_add_co_ci_u32_e32 v5, vcc_lo, 0, v5, vcc_lo
	s_delay_alu instid0(VALU_DEP_3) | instskip(SKIP_2) | instid1(VALU_DEP_4)
	v_add_co_u32 v0, vcc_lo, v10, v8
	v_add_co_ci_u32_e32 v25, vcc_lo, v11, v9, vcc_lo
	v_mov_b32_e32 v11, v3
	v_lshlrev_b64 v[6:7], 3, v[4:5]
	v_dual_mov_b32 v10, v2 :: v_dual_mov_b32 v9, v3
	v_cmp_gt_u32_e64 s0, 8, v12
	v_mov_b32_e32 v8, v2
	s_mul_i32 s26, s22, s12
	s_lshl_b64 s[24:25], s[12:13], 3
	s_lshl_b64 s[26:27], s[26:27], 3
	;; [unrolled: 1-line block ×3, first 2 shown]
	s_branch .LBB33_7
.LBB33_5:                               ;   in Loop: Header=BB33_7 Depth=1
	s_or_b32 exec_lo, exec_lo, s13
.LBB33_6:                               ;   in Loop: Header=BB33_7 Depth=1
	s_delay_alu instid0(SALU_CYCLE_1)
	s_or_b32 exec_lo, exec_lo, s1
	v_add_co_u32 v26, vcc_lo, s6, v0
	v_add_co_ci_u32_e32 v27, vcc_lo, s7, v25, vcc_lo
	s_waitcnt vmcnt(1)
	ds_bpermute_b32 v58, v1, v14
	ds_bpermute_b32 v59, v1, v15
	s_waitcnt vmcnt(0)
	ds_bpermute_b32 v60, v1, v12
	global_load_b64 v[28:29], v[26:27], off
	v_add_co_u32 v26, vcc_lo, v26, s22
	v_add_co_ci_u32_e32 v27, vcc_lo, s23, v27, vcc_lo
	v_add_co_u32 v30, vcc_lo, s4, v0
	v_add_co_ci_u32_e32 v31, vcc_lo, s5, v25, vcc_lo
	global_load_b64 v[32:33], v[26:27], off
	global_load_b64 v[34:35], v[30:31], off
	v_add_co_u32 v26, vcc_lo, v26, s22
	v_add_co_ci_u32_e32 v27, vcc_lo, s23, v27, vcc_lo
	v_add_co_u32 v30, vcc_lo, v30, s22
	v_add_co_ci_u32_e32 v31, vcc_lo, s23, v31, vcc_lo
	global_load_b64 v[36:37], v[26:27], off
	;; [unrolled: 6-line block ×7, first 2 shown]
	global_load_b64 v[56:57], v[30:31], off
	v_add_co_u32 v30, vcc_lo, v30, s22
	v_add_co_ci_u32_e32 v31, vcc_lo, s23, v31, vcc_lo
	ds_bpermute_b32 v61, v1, v13
	v_add_co_u32 v6, vcc_lo, v6, s24
	global_load_b64 v[30:31], v[30:31], off
	s_add_u32 s2, s2, s12
	v_add_co_ci_u32_e32 v7, vcc_lo, s25, v7, vcc_lo
	s_addc_u32 s3, s3, 0
	v_add_co_u32 v4, vcc_lo, v4, s12
	v_cmp_lt_i64_e64 s1, s[2:3], s[20:21]
	v_add_co_ci_u32_e32 v5, vcc_lo, 0, v5, vcc_lo
	v_add_co_u32 v0, vcc_lo, v0, s26
	v_add_co_ci_u32_e32 v25, vcc_lo, s27, v25, vcc_lo
	s_delay_alu instid0(VALU_DEP_4)
	s_and_b32 vcc_lo, exec_lo, s1
	s_waitcnt vmcnt(15) lgkmcnt(2)
	v_add_f64 v[28:29], v[28:29], -v[58:59]
	ds_bpermute_b32 v58, v19, v14
	ds_bpermute_b32 v59, v19, v15
	s_waitcnt vmcnt(13)
	v_add_f64 v[8:9], v[8:9], v[34:35]
	s_waitcnt lgkmcnt(0)
	v_add_f64 v[32:33], v[32:33], -v[58:59]
	ds_bpermute_b32 v58, v18, v14
	ds_bpermute_b32 v59, v18, v15
	v_mul_f64 v[28:29], v[34:35], v[28:29]
	ds_bpermute_b32 v34, v19, v12
	ds_bpermute_b32 v35, v19, v13
	s_waitcnt vmcnt(12) lgkmcnt(2)
	v_add_f64 v[36:37], v[36:37], -v[58:59]
	s_waitcnt vmcnt(11)
	v_add_f64 v[8:9], v[8:9], v[38:39]
	v_mul_f64 v[32:33], v[38:39], v[32:33]
	v_fma_f64 v[10:11], v[28:29], v[60:61], v[10:11]
	ds_bpermute_b32 v28, v20, v14
	ds_bpermute_b32 v29, v20, v15
	s_waitcnt vmcnt(9)
	v_mul_f64 v[36:37], v[42:43], v[36:37]
	v_add_f64 v[8:9], v[8:9], v[42:43]
	s_waitcnt lgkmcnt(0)
	v_add_f64 v[28:29], v[40:41], -v[28:29]
	v_fma_f64 v[10:11], v[32:33], v[34:35], v[10:11]
	ds_bpermute_b32 v32, v21, v14
	ds_bpermute_b32 v33, v21, v15
	;; [unrolled: 1-line block ×4, first 2 shown]
	s_waitcnt vmcnt(7)
	v_add_f64 v[8:9], v[8:9], v[46:47]
	s_waitcnt lgkmcnt(2)
	v_add_f64 v[32:33], v[44:45], -v[32:33]
	v_mul_f64 v[28:29], v[46:47], v[28:29]
	s_waitcnt lgkmcnt(0)
	v_fma_f64 v[10:11], v[36:37], v[34:35], v[10:11]
	ds_bpermute_b32 v34, v22, v14
	ds_bpermute_b32 v35, v22, v15
	;; [unrolled: 1-line block ×4, first 2 shown]
	s_waitcnt vmcnt(5)
	v_add_f64 v[8:9], v[8:9], v[50:51]
	s_waitcnt lgkmcnt(2)
	v_add_f64 v[34:35], v[48:49], -v[34:35]
	v_mul_f64 v[32:33], v[50:51], v[32:33]
	s_waitcnt lgkmcnt(0)
	v_fma_f64 v[10:11], v[28:29], v[36:37], v[10:11]
	ds_bpermute_b32 v28, v23, v14
	ds_bpermute_b32 v29, v23, v15
	;; [unrolled: 1-line block ×6, first 2 shown]
	s_waitcnt vmcnt(3)
	v_add_f64 v[8:9], v[8:9], v[54:55]
	s_waitcnt lgkmcnt(4)
	v_add_f64 v[28:29], v[52:53], -v[28:29]
	v_mul_f64 v[34:35], v[54:55], v[34:35]
	s_waitcnt vmcnt(2) lgkmcnt(0)
	v_add_f64 v[14:15], v[26:27], -v[14:15]
	v_fma_f64 v[10:11], v[32:33], v[36:37], v[10:11]
	ds_bpermute_b32 v32, v22, v12
	ds_bpermute_b32 v33, v22, v13
	s_waitcnt vmcnt(1)
	v_add_f64 v[8:9], v[8:9], v[56:57]
	v_mul_f64 v[26:27], v[56:57], v[28:29]
	ds_bpermute_b32 v28, v23, v12
	ds_bpermute_b32 v29, v23, v13
	;; [unrolled: 1-line block ×3, first 2 shown]
	s_waitcnt vmcnt(0)
	v_mul_f64 v[14:15], v[30:31], v[14:15]
	ds_bpermute_b32 v13, v24, v13
	s_waitcnt lgkmcnt(4)
	v_fma_f64 v[10:11], v[34:35], v[32:33], v[10:11]
	v_add_f64 v[8:9], v[8:9], v[30:31]
	s_waitcnt lgkmcnt(2)
	s_delay_alu instid0(VALU_DEP_2) | instskip(SKIP_1) | instid1(VALU_DEP_1)
	v_fma_f64 v[10:11], v[26:27], v[28:29], v[10:11]
	s_waitcnt lgkmcnt(0)
	v_fma_f64 v[10:11], v[14:15], v[12:13], v[10:11]
	s_cbranch_vccz .LBB33_10
.LBB33_7:                               ; =>This Inner Loop Header: Depth=1
	v_dual_mov_b32 v13, v3 :: v_dual_mov_b32 v12, v2
	v_dual_mov_b32 v15, v3 :: v_dual_mov_b32 v14, v2
	s_and_saveexec_b32 s1, s0
	s_cbranch_execz .LBB33_6
; %bb.8:                                ;   in Loop: Header=BB33_7 Depth=1
	v_mov_b32_e32 v14, 0
	v_mov_b32_e32 v15, 0
	s_delay_alu instid0(VALU_DEP_2) | instskip(SKIP_1) | instid1(VALU_DEP_2)
	v_mov_b32_e32 v12, v14
	s_mov_b32 s13, exec_lo
	v_mov_b32_e32 v13, v15
	v_cmpx_gt_i64_e64 s[20:21], v[4:5]
	s_cbranch_execz .LBB33_5
; %bb.9:                                ;   in Loop: Header=BB33_7 Depth=1
	v_add_co_u32 v12, vcc_lo, s8, v6
	v_add_co_ci_u32_e32 v13, vcc_lo, s9, v7, vcc_lo
	v_add_co_u32 v26, vcc_lo, s10, v6
	v_add_co_ci_u32_e32 v27, vcc_lo, s11, v7, vcc_lo
	global_load_b64 v[14:15], v[12:13], off
	global_load_b64 v[12:13], v[26:27], off
	s_branch .LBB33_5
.LBB33_10:
	v_mov_b32_e32 v1, v17
.LBB33_11:
	s_delay_alu instid0(VALU_DEP_1) | instskip(SKIP_2) | instid1(VALU_DEP_1)
	v_mad_u32_u24 v2, 0x41, v1, v16
	s_mov_b32 s15, 0
	s_mov_b32 s0, exec_lo
	v_sub_nc_u32_e32 v0, v2, v1
	v_lshl_add_u32 v1, v2, 3, 0
	ds_store_b64 v1, v[10:11]
	ds_store_b64 v1, v[8:9] offset:8320
	s_waitcnt lgkmcnt(0)
	s_barrier
	buffer_gl0_inv
	v_cmpx_gt_u32_e32 0x800, v0
	s_cbranch_execz .LBB33_21
; %bb.12:
	v_mbcnt_lo_u32_b32 v1, -1, 0
	v_lshrrev_b32_e32 v3, 5, v0
	s_cmp_lg_u64 s[16:17], 0
	v_cmp_eq_u32_e64 s1, 0, v16
	s_cselect_b32 s2, -1, 0
	v_xor_b32_e32 v0, 8, v1
	v_xor_b32_e32 v4, 4, v1
	;; [unrolled: 1-line block ×4, first 2 shown]
	s_cmp_lg_u64 s[18:19], 0
	v_cmp_gt_i32_e32 vcc_lo, 32, v0
	s_cselect_b32 s3, -1, 0
	s_lshl_b64 s[4:5], s[14:15], 9
	v_subrev_nc_u32_e32 v12, 32, v3
	v_cndmask_b32_e32 v0, v1, v0, vcc_lo
	v_cmp_gt_i32_e32 vcc_lo, 32, v4
	v_cndmask_b32_e32 v4, v1, v4, vcc_lo
	v_cmp_gt_i32_e32 vcc_lo, 32, v5
	v_and_b32_e32 v2, 31, v16
	s_delay_alu instid0(VALU_DEP_3) | instskip(SKIP_2) | instid1(VALU_DEP_4)
	v_lshlrev_b32_e32 v9, 2, v4
	v_cndmask_b32_e32 v5, v1, v5, vcc_lo
	v_cmp_gt_i32_e32 vcc_lo, 32, v6
	v_cmp_gt_u32_e64 s0, 16, v2
	s_delay_alu instid0(VALU_DEP_3) | instskip(SKIP_1) | instid1(VALU_DEP_2)
	v_dual_cndmask_b32 v1, v1, v6 :: v_dual_lshlrev_b32 v10, 2, v5
	v_mad_u32_u24 v6, 0x41, v2, v3
	v_lshlrev_b32_e32 v11, 2, v1
	v_lshlrev_b32_e32 v8, 2, v0
	;; [unrolled: 1-line block ×3, first 2 shown]
	s_delay_alu instid0(VALU_DEP_4) | instskip(NEXT) | instid1(VALU_DEP_2)
	v_lshl_add_u32 v13, v6, 3, 0
                                        ; implicit-def: $vgpr6_vgpr7
	v_add_co_u32 v4, s4, s4, v0
	s_delay_alu instid0(VALU_DEP_1) | instskip(NEXT) | instid1(VALU_DEP_2)
	v_add_co_ci_u32_e64 v5, null, s5, 0, s4
	v_add_co_u32 v0, vcc_lo, s18, v4
	s_delay_alu instid0(VALU_DEP_2)
	v_add_co_ci_u32_e32 v1, vcc_lo, s19, v5, vcc_lo
	v_add_co_u32 v2, vcc_lo, s16, v4
	v_add_co_ci_u32_e32 v3, vcc_lo, s17, v5, vcc_lo
                                        ; implicit-def: $vgpr4_vgpr5
	s_branch .LBB33_14
.LBB33_13:                              ;   in Loop: Header=BB33_14 Depth=1
	s_or_b32 exec_lo, exec_lo, s4
	v_add_co_u32 v0, vcc_lo, 0x100, v0
	v_add_co_u32 v12, s4, v12, 32
	v_add_co_ci_u32_e32 v1, vcc_lo, 0, v1, vcc_lo
	v_add_co_u32 v2, vcc_lo, 0x100, v2
	s_xor_b32 s4, s4, -1
	v_add_co_ci_u32_e32 v3, vcc_lo, 0, v3, vcc_lo
	v_add_nc_u32_e32 v13, 0x100, v13
	s_and_b32 s4, exec_lo, s4
	s_delay_alu instid0(SALU_CYCLE_1) | instskip(NEXT) | instid1(SALU_CYCLE_1)
	s_or_b32 s15, s4, s15
	s_and_not1_b32 exec_lo, exec_lo, s15
	s_cbranch_execz .LBB33_21
.LBB33_14:                              ; =>This Inner Loop Header: Depth=1
	s_and_saveexec_b32 s4, s0
	s_cbranch_execz .LBB33_16
; %bb.15:                               ;   in Loop: Header=BB33_14 Depth=1
	ds_load_b64 v[4:5], v13
	ds_load_b64 v[6:7], v13 offset:8320
.LBB33_16:                              ;   in Loop: Header=BB33_14 Depth=1
	s_or_b32 exec_lo, exec_lo, s4
	s_waitcnt lgkmcnt(1)
	ds_bpermute_b32 v14, v8, v4
	ds_bpermute_b32 v15, v8, v5
	s_waitcnt lgkmcnt(2)
	ds_bpermute_b32 v16, v8, v6
	ds_bpermute_b32 v17, v8, v7
	s_waitcnt lgkmcnt(2)
	v_add_f64 v[4:5], v[4:5], v[14:15]
	s_waitcnt lgkmcnt(0)
	v_add_f64 v[6:7], v[6:7], v[16:17]
	ds_bpermute_b32 v14, v9, v4
	ds_bpermute_b32 v15, v9, v5
	ds_bpermute_b32 v16, v9, v6
	ds_bpermute_b32 v17, v9, v7
	s_waitcnt lgkmcnt(2)
	v_add_f64 v[4:5], v[4:5], v[14:15]
	s_waitcnt lgkmcnt(0)
	v_add_f64 v[6:7], v[6:7], v[16:17]
	ds_bpermute_b32 v14, v10, v4
	ds_bpermute_b32 v15, v10, v5
	;; [unrolled: 8-line block ×3, first 2 shown]
	ds_bpermute_b32 v16, v11, v6
	ds_bpermute_b32 v17, v11, v7
	s_waitcnt lgkmcnt(2)
	v_add_f64 v[4:5], v[4:5], v[14:15]
	s_waitcnt lgkmcnt(0)
	v_add_f64 v[6:7], v[6:7], v[16:17]
	s_and_saveexec_b32 s4, s1
	s_cbranch_execz .LBB33_13
; %bb.17:                               ;   in Loop: Header=BB33_14 Depth=1
	s_and_not1_b32 vcc_lo, exec_lo, s2
	s_cbranch_vccnz .LBB33_19
; %bb.18:                               ;   in Loop: Header=BB33_14 Depth=1
	global_store_b64 v[2:3], v[4:5], off
.LBB33_19:                              ;   in Loop: Header=BB33_14 Depth=1
	s_and_not1_b32 vcc_lo, exec_lo, s3
	s_cbranch_vccnz .LBB33_13
; %bb.20:                               ;   in Loop: Header=BB33_14 Depth=1
	global_store_b64 v[0:1], v[6:7], off
	s_branch .LBB33_13
.LBB33_21:
	s_nop 0
	s_sendmsg sendmsg(MSG_DEALLOC_VGPRS)
	s_endpgm
	.section	.rodata,"a",@progbits
	.p2align	6, 0x0
	.amdhsa_kernel _ZN2at6native12_GLOBAL__N_135GammaBetaBackwardCUDAKernelTemplateIddLj64ELj16ELj128ELb0ELb1ELb0EEEvllPKT_S5_PKT0_S8_PS3_S9_
		.amdhsa_group_segment_fixed_size 0
		.amdhsa_private_segment_fixed_size 0
		.amdhsa_kernarg_size 320
		.amdhsa_user_sgpr_count 14
		.amdhsa_user_sgpr_dispatch_ptr 0
		.amdhsa_user_sgpr_queue_ptr 0
		.amdhsa_user_sgpr_kernarg_segment_ptr 1
		.amdhsa_user_sgpr_dispatch_id 0
		.amdhsa_user_sgpr_private_segment_size 0
		.amdhsa_wavefront_size32 1
		.amdhsa_uses_dynamic_stack 0
		.amdhsa_enable_private_segment 0
		.amdhsa_system_sgpr_workgroup_id_x 1
		.amdhsa_system_sgpr_workgroup_id_y 1
		.amdhsa_system_sgpr_workgroup_id_z 0
		.amdhsa_system_sgpr_workgroup_info 0
		.amdhsa_system_vgpr_workitem_id 1
		.amdhsa_next_free_vgpr 62
		.amdhsa_next_free_sgpr 28
		.amdhsa_reserve_vcc 1
		.amdhsa_float_round_mode_32 0
		.amdhsa_float_round_mode_16_64 0
		.amdhsa_float_denorm_mode_32 3
		.amdhsa_float_denorm_mode_16_64 3
		.amdhsa_dx10_clamp 1
		.amdhsa_ieee_mode 1
		.amdhsa_fp16_overflow 0
		.amdhsa_workgroup_processor_mode 1
		.amdhsa_memory_ordered 1
		.amdhsa_forward_progress 0
		.amdhsa_shared_vgpr_count 0
		.amdhsa_exception_fp_ieee_invalid_op 0
		.amdhsa_exception_fp_denorm_src 0
		.amdhsa_exception_fp_ieee_div_zero 0
		.amdhsa_exception_fp_ieee_overflow 0
		.amdhsa_exception_fp_ieee_underflow 0
		.amdhsa_exception_fp_ieee_inexact 0
		.amdhsa_exception_int_div_zero 0
	.end_amdhsa_kernel
	.section	.text._ZN2at6native12_GLOBAL__N_135GammaBetaBackwardCUDAKernelTemplateIddLj64ELj16ELj128ELb0ELb1ELb0EEEvllPKT_S5_PKT0_S8_PS3_S9_,"axG",@progbits,_ZN2at6native12_GLOBAL__N_135GammaBetaBackwardCUDAKernelTemplateIddLj64ELj16ELj128ELb0ELb1ELb0EEEvllPKT_S5_PKT0_S8_PS3_S9_,comdat
.Lfunc_end33:
	.size	_ZN2at6native12_GLOBAL__N_135GammaBetaBackwardCUDAKernelTemplateIddLj64ELj16ELj128ELb0ELb1ELb0EEEvllPKT_S5_PKT0_S8_PS3_S9_, .Lfunc_end33-_ZN2at6native12_GLOBAL__N_135GammaBetaBackwardCUDAKernelTemplateIddLj64ELj16ELj128ELb0ELb1ELb0EEEvllPKT_S5_PKT0_S8_PS3_S9_
                                        ; -- End function
	.section	.AMDGPU.csdata,"",@progbits
; Kernel info:
; codeLenInByte = 2184
; NumSgprs: 30
; NumVgprs: 62
; ScratchSize: 0
; MemoryBound: 0
; FloatMode: 240
; IeeeMode: 1
; LDSByteSize: 0 bytes/workgroup (compile time only)
; SGPRBlocks: 3
; VGPRBlocks: 7
; NumSGPRsForWavesPerEU: 30
; NumVGPRsForWavesPerEU: 62
; Occupancy: 16
; WaveLimiterHint : 0
; COMPUTE_PGM_RSRC2:SCRATCH_EN: 0
; COMPUTE_PGM_RSRC2:USER_SGPR: 14
; COMPUTE_PGM_RSRC2:TRAP_HANDLER: 0
; COMPUTE_PGM_RSRC2:TGID_X_EN: 1
; COMPUTE_PGM_RSRC2:TGID_Y_EN: 1
; COMPUTE_PGM_RSRC2:TGID_Z_EN: 0
; COMPUTE_PGM_RSRC2:TIDIG_COMP_CNT: 1
	.section	.text._ZN2at6native12_GLOBAL__N_135GammaBetaBackwardCUDAKernelTemplateIddLj64ELj16ELj128ELb0ELb0ELb0EEEvllPKT_S5_PKT0_S8_PS3_S9_,"axG",@progbits,_ZN2at6native12_GLOBAL__N_135GammaBetaBackwardCUDAKernelTemplateIddLj64ELj16ELj128ELb0ELb0ELb0EEEvllPKT_S5_PKT0_S8_PS3_S9_,comdat
	.globl	_ZN2at6native12_GLOBAL__N_135GammaBetaBackwardCUDAKernelTemplateIddLj64ELj16ELj128ELb0ELb0ELb0EEEvllPKT_S5_PKT0_S8_PS3_S9_ ; -- Begin function _ZN2at6native12_GLOBAL__N_135GammaBetaBackwardCUDAKernelTemplateIddLj64ELj16ELj128ELb0ELb0ELb0EEEvllPKT_S5_PKT0_S8_PS3_S9_
	.p2align	8
	.type	_ZN2at6native12_GLOBAL__N_135GammaBetaBackwardCUDAKernelTemplateIddLj64ELj16ELj128ELb0ELb0ELb0EEEvllPKT_S5_PKT0_S8_PS3_S9_,@function
_ZN2at6native12_GLOBAL__N_135GammaBetaBackwardCUDAKernelTemplateIddLj64ELj16ELj128ELb0ELb0ELb0EEEvllPKT_S5_PKT0_S8_PS3_S9_: ; @_ZN2at6native12_GLOBAL__N_135GammaBetaBackwardCUDAKernelTemplateIddLj64ELj16ELj128ELb0ELb0ELb0EEEvllPKT_S5_PKT0_S8_PS3_S9_
; %bb.0:
	s_clause 0x1
	s_load_b256 s[4:11], s[0:1], 0x0
	s_load_b128 s[36:39], s[0:1], 0x20
	s_lshl_b32 s33, s14, 6
	s_mov_b32 s13, 0
	s_or_b32 s12, s33, 63
	s_waitcnt lgkmcnt(0)
	v_cmp_ge_i64_e64 s2, s[12:13], s[6:7]
	s_lshl_b32 s12, s15, 7
	s_delay_alu instid0(SALU_CYCLE_1) | instskip(NEXT) | instid1(VALU_DEP_2)
	v_cmp_lt_i64_e64 s15, s[12:13], s[4:5]
	s_and_b32 vcc_lo, exec_lo, s2
	s_delay_alu instid0(VALU_DEP_1) | instskip(NEXT) | instid1(VALU_DEP_1)
	v_cndmask_b32_e64 v1, 0, 1, s15
	v_cmp_ne_u32_e64 s2, 1, v1
	s_cbranch_vccz .LBB34_48
; %bb.1:
	v_mov_b32_e32 v51, 0
	v_mov_b32_e32 v52, 0
	s_delay_alu instid0(VALU_DEP_2) | instskip(SKIP_1) | instid1(VALU_DEP_2)
	v_mov_b32_e32 v49, v51
	s_and_b32 vcc_lo, exec_lo, s2
	v_mov_b32_e32 v50, v52
	s_cbranch_vccnz .LBB34_49
; %bb.2:
	v_bfe_u32 v59, v0, 10, 10
	s_load_b32 s3, s[0:1], 0x44
	v_and_b32_e32 v61, 0x3ff, v0
	v_mov_b32_e32 v49, 0
	v_mov_b32_e32 v50, 0
	v_dual_mov_b32 v3, 0 :: v_dual_lshlrev_b32 v60, 3, v59
	s_delay_alu instid0(VALU_DEP_4) | instskip(SKIP_1) | instid1(VALU_DEP_3)
	v_add_nc_u32_e32 v2, s33, v61
	s_add_u32 s34, s0, 64
	v_dual_mov_b32 v52, v50 :: v_dual_mov_b32 v51, v49
	s_delay_alu instid0(VALU_DEP_3) | instskip(NEXT) | instid1(VALU_DEP_1)
	v_add_co_u32 v8, s2, v60, s12
	v_add_co_ci_u32_e64 v9, null, 0, 0, s2
	v_cmp_gt_i64_e64 s2, s[6:7], v[2:3]
	s_delay_alu instid0(VALU_DEP_3) | instskip(NEXT) | instid1(VALU_DEP_3)
	v_add_co_u32 v1, vcc_lo, v8, 7
	v_add_co_ci_u32_e32 v4, vcc_lo, 0, v9, vcc_lo
	v_add_co_u32 v10, vcc_lo, v8, 6
	s_delay_alu instid0(VALU_DEP_3) | instskip(NEXT) | instid1(VALU_DEP_3)
	v_mul_lo_u32 v6, s7, v1
	v_mul_lo_u32 v7, s6, v4
	v_mad_u64_u32 v[4:5], null, s6, v1, 0
	v_add_co_ci_u32_e32 v1, vcc_lo, 0, v9, vcc_lo
	v_lshlrev_b64 v[53:54], 3, v[2:3]
	s_addc_u32 s35, s1, 0
	s_waitcnt lgkmcnt(0)
	s_lshl_b32 s46, s3, 7
	s_mov_b32 s16, 0
	s_delay_alu instid0(VALU_DEP_3) | instskip(SKIP_3) | instid1(VALU_DEP_4)
	v_add3_u32 v5, v5, v7, v6
	v_mul_lo_u32 v6, s7, v10
	v_mul_lo_u32 v7, s6, v1
	v_mad_u64_u32 v[1:2], null, s6, v10, 0
	v_lshlrev_b64 v[4:5], 3, v[4:5]
	s_mul_i32 s3, s7, s46
	s_mul_hi_u32 s17, s6, s46
	s_mul_i32 s18, s6, s46
	s_add_i32 s19, s17, s3
	s_mov_b64 s[44:45], s[12:13]
	v_add_co_u32 v62, vcc_lo, s8, v4
	v_add_co_ci_u32_e32 v63, vcc_lo, s9, v5, vcc_lo
	v_add3_u32 v2, v2, v7, v6
	v_add_co_u32 v6, vcc_lo, v8, 5
	v_add_co_u32 v64, s3, s10, v4
	v_add_co_ci_u32_e32 v4, vcc_lo, 0, v9, vcc_lo
	v_add_co_u32 v11, vcc_lo, v8, 4
	v_add_co_ci_u32_e64 v65, s3, s11, v5, s3
	v_mul_lo_u32 v10, s7, v6
	s_delay_alu instid0(VALU_DEP_4)
	v_mul_lo_u32 v12, s6, v4
	v_mad_u64_u32 v[4:5], null, s6, v6, 0
	v_add_co_ci_u32_e32 v7, vcc_lo, 0, v9, vcc_lo
	v_lshlrev_b64 v[1:2], 3, v[1:2]
	v_mul_lo_u32 v13, s7, v11
	s_lshl_b64 s[40:41], s[18:19], 3
	s_delay_alu instid0(VALU_DEP_3) | instskip(SKIP_1) | instid1(VALU_DEP_4)
	v_mul_lo_u32 v14, s6, v7
	v_mad_u64_u32 v[6:7], null, s6, v11, 0
	v_add_co_u32 v66, vcc_lo, s8, v1
	v_add3_u32 v5, v5, v12, v10
	v_add_co_ci_u32_e32 v67, vcc_lo, s9, v2, vcc_lo
	v_add_co_u32 v68, vcc_lo, s10, v1
	v_add_co_ci_u32_e32 v69, vcc_lo, s11, v2, vcc_lo
	s_delay_alu instid0(VALU_DEP_4) | instskip(SKIP_3) | instid1(VALU_DEP_4)
	v_lshlrev_b64 v[1:2], 3, v[4:5]
	v_add3_u32 v7, v7, v14, v13
	v_add_co_u32 v10, vcc_lo, v8, 3
	v_add_co_ci_u32_e32 v11, vcc_lo, 0, v9, vcc_lo
	v_add_co_u32 v70, vcc_lo, s8, v1
	s_delay_alu instid0(VALU_DEP_4)
	v_lshlrev_b64 v[4:5], 3, v[6:7]
	v_add_co_ci_u32_e32 v71, vcc_lo, s9, v2, vcc_lo
	v_mul_lo_u32 v12, s7, v10
	v_mul_lo_u32 v11, s6, v11
	v_mad_u64_u32 v[6:7], null, s6, v10, 0
	v_add_co_u32 v72, vcc_lo, s10, v1
	v_add_co_ci_u32_e32 v73, vcc_lo, s11, v2, vcc_lo
	v_add_co_u32 v74, vcc_lo, s8, v4
	v_add_co_ci_u32_e32 v75, vcc_lo, s9, v5, vcc_lo
	v_add_co_u32 v10, vcc_lo, v8, 2
	v_add3_u32 v7, v7, v11, v12
	v_add_co_ci_u32_e32 v11, vcc_lo, 0, v9, vcc_lo
	v_add_co_u32 v76, vcc_lo, s10, v4
	v_add_co_ci_u32_e32 v77, vcc_lo, s11, v5, vcc_lo
	v_mul_lo_u32 v12, s7, v10
	s_delay_alu instid0(VALU_DEP_4)
	v_mul_lo_u32 v11, s6, v11
	v_mad_u64_u32 v[4:5], null, s6, v10, 0
	v_lshlrev_b64 v[1:2], 3, v[6:7]
	v_mul_lo_u32 v10, s7, v8
	v_mul_lo_u32 v9, s6, v9
	v_mad_u64_u32 v[6:7], null, s6, v8, 0
	s_add_u32 s42, s12, 0x7f
	s_delay_alu instid0(VALU_DEP_4)
	v_add_co_u32 v78, vcc_lo, s8, v1
	v_add3_u32 v5, v5, v11, v12
	v_add_co_ci_u32_e32 v79, vcc_lo, s9, v2, vcc_lo
	v_add_co_u32 v80, vcc_lo, s10, v1
	v_add3_u32 v7, v7, v9, v10
	v_add_co_ci_u32_e32 v81, vcc_lo, s11, v2, vcc_lo
	v_lshlrev_b64 v[1:2], 3, v[4:5]
	v_add_co_u32 v4, vcc_lo, v6, s6
	s_delay_alu instid0(VALU_DEP_4) | instskip(SKIP_1) | instid1(VALU_DEP_3)
	v_add_co_ci_u32_e32 v5, vcc_lo, s7, v7, vcc_lo
	s_addc_u32 s43, 0, 0
	v_add_co_u32 v82, vcc_lo, s8, v1
	s_delay_alu instid0(VALU_DEP_2) | instskip(SKIP_3) | instid1(VALU_DEP_4)
	v_lshlrev_b64 v[4:5], 3, v[4:5]
	v_add_co_ci_u32_e32 v83, vcc_lo, s9, v2, vcc_lo
	v_add_co_u32 v84, vcc_lo, s10, v1
	v_add_co_ci_u32_e32 v85, vcc_lo, s11, v2, vcc_lo
	v_add_co_u32 v86, vcc_lo, s8, v4
	v_lshlrev_b64 v[1:2], 3, v[6:7]
	v_add_co_ci_u32_e32 v87, vcc_lo, s9, v5, vcc_lo
	v_add_co_u32 v88, vcc_lo, s10, v4
	v_add_co_ci_u32_e32 v89, vcc_lo, s11, v5, vcc_lo
	s_delay_alu instid0(VALU_DEP_4)
	v_add_co_u32 v90, vcc_lo, s8, v1
	v_add_co_ci_u32_e32 v91, vcc_lo, s9, v2, vcc_lo
	v_add_co_u32 v92, vcc_lo, s10, v1
	v_add_co_ci_u32_e32 v93, vcc_lo, s11, v2, vcc_lo
	s_branch .LBB34_5
.LBB34_3:                               ;   in Loop: Header=BB34_5 Depth=1
	s_or_b32 exec_lo, exec_lo, s3
	s_waitcnt vmcnt(1)
	ds_bpermute_b32 v1, v3, v55
	ds_bpermute_b32 v2, v3, v56
	ds_bpermute_b32 v4, v3, v55 offset:4
	ds_bpermute_b32 v5, v3, v56 offset:4
	;; [unrolled: 1-line block ×4, first 2 shown]
	s_waitcnt vmcnt(0)
	ds_bpermute_b32 v8, v3, v57
	ds_bpermute_b32 v9, v3, v58
	ds_bpermute_b32 v10, v3, v55 offset:12
	ds_bpermute_b32 v11, v3, v56 offset:12
	;; [unrolled: 1-line block ×4, first 2 shown]
	s_waitcnt lgkmcnt(10)
	v_add_f64 v[1:2], v[17:18], -v[1:2]
	s_waitcnt lgkmcnt(8)
	v_add_f64 v[4:5], v[19:20], -v[4:5]
	;; [unrolled: 2-line block ×4, first 2 shown]
	s_delay_alu instid0(VALU_DEP_4) | instskip(NEXT) | instid1(VALU_DEP_4)
	v_mul_f64 v[1:2], v[33:34], v[1:2]
	v_mul_f64 v[4:5], v[35:36], v[4:5]
	s_delay_alu instid0(VALU_DEP_4) | instskip(NEXT) | instid1(VALU_DEP_4)
	v_mul_f64 v[6:7], v[37:38], v[6:7]
	v_mul_f64 v[10:11], v[39:40], v[10:11]
	s_delay_alu instid0(VALU_DEP_4) | instskip(SKIP_2) | instid1(VALU_DEP_2)
	v_fma_f64 v[1:2], v[1:2], v[8:9], v[49:50]
	v_add_f64 v[8:9], v[51:52], v[33:34]
	s_waitcnt lgkmcnt(0)
	v_fma_f64 v[1:2], v[4:5], v[12:13], v[1:2]
	s_delay_alu instid0(VALU_DEP_2)
	v_add_f64 v[4:5], v[35:36], v[8:9]
	ds_bpermute_b32 v8, v3, v55 offset:16
	ds_bpermute_b32 v9, v3, v56 offset:16
	;; [unrolled: 1-line block ×4, first 2 shown]
	s_waitcnt lgkmcnt(2)
	v_add_f64 v[8:9], v[25:26], -v[8:9]
	s_waitcnt lgkmcnt(0)
	v_fma_f64 v[1:2], v[6:7], v[12:13], v[1:2]
	v_add_f64 v[4:5], v[37:38], v[4:5]
	ds_bpermute_b32 v6, v3, v55 offset:20
	ds_bpermute_b32 v7, v3, v56 offset:20
	;; [unrolled: 1-line block ×4, first 2 shown]
	s_waitcnt lgkmcnt(2)
	v_add_f64 v[6:7], v[27:28], -v[6:7]
	v_mul_f64 v[8:9], v[41:42], v[8:9]
	s_waitcnt lgkmcnt(0)
	v_fma_f64 v[1:2], v[10:11], v[12:13], v[1:2]
	v_add_f64 v[4:5], v[39:40], v[4:5]
	ds_bpermute_b32 v10, v3, v55 offset:24
	ds_bpermute_b32 v11, v3, v56 offset:24
	;; [unrolled: 1-line block ×4, first 2 shown]
	s_waitcnt lgkmcnt(2)
	v_add_f64 v[10:11], v[29:30], -v[10:11]
	v_mul_f64 v[6:7], v[43:44], v[6:7]
	s_waitcnt lgkmcnt(0)
	v_fma_f64 v[1:2], v[8:9], v[12:13], v[1:2]
	v_add_f64 v[4:5], v[41:42], v[4:5]
	ds_bpermute_b32 v8, v3, v57 offset:20
	ds_bpermute_b32 v9, v3, v58 offset:20
	v_mul_f64 v[10:11], v[45:46], v[10:11]
	s_waitcnt lgkmcnt(0)
	v_fma_f64 v[1:2], v[6:7], v[8:9], v[1:2]
	v_add_f64 v[6:7], v[43:44], v[4:5]
	ds_bpermute_b32 v4, v3, v57 offset:24
	ds_bpermute_b32 v5, v3, v58 offset:24
	;; [unrolled: 1-line block ×4, first 2 shown]
	s_waitcnt lgkmcnt(2)
	v_fma_f64 v[4:5], v[10:11], v[4:5], v[1:2]
	v_add_f64 v[6:7], v[45:46], v[6:7]
	ds_bpermute_b32 v1, v3, v57 offset:28
	ds_bpermute_b32 v2, v3, v58 offset:28
.LBB34_4:                               ;   in Loop: Header=BB34_5 Depth=1
	s_waitcnt lgkmcnt(2)
	v_add_f64 v[8:9], v[31:32], -v[8:9]
	v_add_co_u32 v62, vcc_lo, v62, s40
	v_add_co_ci_u32_e32 v63, vcc_lo, s41, v63, vcc_lo
	v_add_co_u32 v64, vcc_lo, v64, s40
	v_add_co_ci_u32_e32 v65, vcc_lo, s41, v65, vcc_lo
	;; [unrolled: 2-line block ×4, first 2 shown]
	v_add_co_u32 v70, vcc_lo, v70, s40
	v_add_f64 v[51:52], v[6:7], v[47:48]
	v_add_co_ci_u32_e32 v71, vcc_lo, s41, v71, vcc_lo
	v_add_co_u32 v72, vcc_lo, v72, s40
	v_add_co_ci_u32_e32 v73, vcc_lo, s41, v73, vcc_lo
	v_add_co_u32 v74, vcc_lo, v74, s40
	;; [unrolled: 2-line block ×4, first 2 shown]
	v_add_co_ci_u32_e32 v79, vcc_lo, s41, v79, vcc_lo
	v_mul_f64 v[8:9], v[47:48], v[8:9]
	v_add_co_u32 v80, vcc_lo, v80, s40
	v_add_co_ci_u32_e32 v81, vcc_lo, s41, v81, vcc_lo
	v_add_co_u32 v82, vcc_lo, v82, s40
	v_add_co_ci_u32_e32 v83, vcc_lo, s41, v83, vcc_lo
	;; [unrolled: 2-line block ×4, first 2 shown]
	v_add_co_u32 v88, vcc_lo, v88, s40
	s_add_u32 s44, s44, s46
	v_add_co_ci_u32_e32 v89, vcc_lo, s41, v89, vcc_lo
	s_addc_u32 s45, s45, 0
	v_add_co_u32 v90, vcc_lo, v90, s40
	v_cmp_lt_i64_e64 s3, s[44:45], s[4:5]
	v_add_co_ci_u32_e32 v91, vcc_lo, s41, v91, vcc_lo
	v_add_co_u32 v92, vcc_lo, v92, s40
	v_add_co_ci_u32_e32 v93, vcc_lo, s41, v93, vcc_lo
	s_add_u32 s42, s42, s46
	s_addc_u32 s43, s43, 0
	s_and_b32 vcc_lo, exec_lo, s3
	s_waitcnt lgkmcnt(0)
	v_fma_f64 v[49:50], v[8:9], v[1:2], v[4:5]
	s_cbranch_vccz .LBB34_49
.LBB34_5:                               ; =>This Inner Loop Header: Depth=1
	v_cmp_ge_i64_e64 s3, s[42:43], s[4:5]
	v_add_co_u32 v94, s17, v60, s42
	s_delay_alu instid0(VALU_DEP_1) | instskip(NEXT) | instid1(VALU_DEP_3)
	v_add_co_ci_u32_e64 v95, null, 0, s43, s17
	s_and_b32 vcc_lo, exec_lo, s3
	s_cbranch_vccz .LBB34_27
; %bb.6:                                ;   in Loop: Header=BB34_5 Depth=1
	s_load_b32 s3, s[34:35], 0xc
	v_mov_b32_e32 v57, 0
	s_waitcnt lgkmcnt(0)
	s_and_b32 s3, s3, 0xffff
	s_delay_alu instid0(SALU_CYCLE_1) | instskip(SKIP_2) | instid1(VALU_DEP_2)
	v_mad_u32_u24 v1, v59, s3, v61
	v_mov_b32_e32 v58, 0
	s_mov_b32 s3, exec_lo
	v_and_b32_e32 v1, 31, v1
	s_delay_alu instid0(VALU_DEP_2) | instskip(NEXT) | instid1(VALU_DEP_2)
	v_dual_mov_b32 v55, v57 :: v_dual_mov_b32 v56, v58
	v_cmpx_gt_u32_e32 8, v1
	s_cbranch_execz .LBB34_10
; %bb.7:                                ;   in Loop: Header=BB34_5 Depth=1
	v_add_co_u32 v1, vcc_lo, v94, v1
	v_mov_b32_e32 v55, 0
	v_add_co_ci_u32_e32 v2, vcc_lo, 0, v95, vcc_lo
	v_mov_b32_e32 v56, 0
	s_delay_alu instid0(VALU_DEP_4) | instskip(NEXT) | instid1(VALU_DEP_3)
	v_add_co_u32 v1, vcc_lo, 0xffffff81, v1
	v_add_co_ci_u32_e32 v2, vcc_lo, -1, v2, vcc_lo
	s_delay_alu instid0(VALU_DEP_3) | instskip(SKIP_1) | instid1(VALU_DEP_2)
	v_dual_mov_b32 v58, v56 :: v_dual_mov_b32 v57, v55
	s_mov_b32 s17, exec_lo
	v_cmpx_gt_i64_e64 s[4:5], v[1:2]
	s_cbranch_execz .LBB34_9
; %bb.8:                                ;   in Loop: Header=BB34_5 Depth=1
	v_lshlrev_b64 v[1:2], 3, v[1:2]
	s_delay_alu instid0(VALU_DEP_1) | instskip(NEXT) | instid1(VALU_DEP_2)
	v_add_co_u32 v4, vcc_lo, s36, v1
	v_add_co_ci_u32_e32 v5, vcc_lo, s37, v2, vcc_lo
	v_add_co_u32 v1, vcc_lo, s38, v1
	v_add_co_ci_u32_e32 v2, vcc_lo, s39, v2, vcc_lo
	global_load_b64 v[55:56], v[4:5], off
	global_load_b64 v[57:58], v[1:2], off
.LBB34_9:                               ;   in Loop: Header=BB34_5 Depth=1
	s_or_b32 exec_lo, exec_lo, s17
.LBB34_10:                              ;   in Loop: Header=BB34_5 Depth=1
	s_delay_alu instid0(SALU_CYCLE_1)
	s_or_b32 exec_lo, exec_lo, s3
	v_add_co_u32 v1, vcc_lo, 0xffffff81, v94
	s_mov_b32 s31, s16
	v_add_co_ci_u32_e32 v2, vcc_lo, -1, v95, vcc_lo
	s_mov_b32 s17, s16
	s_mov_b32 s18, s16
	;; [unrolled: 1-line block ×14, first 2 shown]
	s_delay_alu instid0(SALU_CYCLE_1)
	v_dual_mov_b32 v32, s31 :: v_dual_mov_b32 v31, s30
	v_dual_mov_b32 v30, s29 :: v_dual_mov_b32 v29, s28
	;; [unrolled: 1-line block ×8, first 2 shown]
	v_cmp_gt_i64_e32 vcc_lo, s[4:5], v[1:2]
	v_dual_mov_b32 v48, v32 :: v_dual_mov_b32 v47, v31
	v_dual_mov_b32 v46, v30 :: v_dual_mov_b32 v45, v29
	;; [unrolled: 1-line block ×8, first 2 shown]
	s_and_b32 s17, s2, vcc_lo
	s_delay_alu instid0(SALU_CYCLE_1)
	s_and_saveexec_b32 s3, s17
	s_cbranch_execz .LBB34_12
; %bb.11:                               ;   in Loop: Header=BB34_5 Depth=1
	v_add_co_u32 v1, vcc_lo, v90, v53
	v_add_co_ci_u32_e32 v2, vcc_lo, v91, v54, vcc_lo
	v_add_co_u32 v4, vcc_lo, v92, v53
	v_add_co_ci_u32_e32 v5, vcc_lo, v93, v54, vcc_lo
	global_load_b64 v[1:2], v[1:2], off
	v_mov_b32_e32 v16, v3
	v_mov_b32_e32 v6, v3
	global_load_b64 v[17:18], v[4:5], off
	v_mov_b32_e32 v4, v3
	v_mov_b32_e32 v5, v3
	;; [unrolled: 1-line block ×11, first 2 shown]
	s_waitcnt vmcnt(1)
	v_dual_mov_b32 v19, v3 :: v_dual_mov_b32 v48, v16
	v_dual_mov_b32 v20, v3 :: v_dual_mov_b32 v45, v13
	;; [unrolled: 1-line block ×7, first 2 shown]
	v_mov_b32_e32 v26, v3
	v_dual_mov_b32 v27, v3 :: v_dual_mov_b32 v40, v8
	v_mov_b32_e32 v28, v3
	v_dual_mov_b32 v29, v3 :: v_dual_mov_b32 v38, v6
	;; [unrolled: 2-line block ×3, first 2 shown]
	v_mov_b32_e32 v47, v15
	v_mov_b32_e32 v43, v11
	;; [unrolled: 1-line block ×5, first 2 shown]
	v_dual_mov_b32 v34, v2 :: v_dual_mov_b32 v33, v1
.LBB34_12:                              ;   in Loop: Header=BB34_5 Depth=1
	s_or_b32 exec_lo, exec_lo, s3
	v_add_co_u32 v1, vcc_lo, 0xffffff82, v94
	v_add_co_ci_u32_e32 v2, vcc_lo, -1, v95, vcc_lo
	s_delay_alu instid0(VALU_DEP_1) | instskip(SKIP_1) | instid1(SALU_CYCLE_1)
	v_cmp_gt_i64_e32 vcc_lo, s[4:5], v[1:2]
	s_and_b32 s17, s2, vcc_lo
	s_and_saveexec_b32 s3, s17
	s_cbranch_execz .LBB34_14
; %bb.13:                               ;   in Loop: Header=BB34_5 Depth=1
	v_add_co_u32 v1, vcc_lo, v86, v53
	v_add_co_ci_u32_e32 v2, vcc_lo, v87, v54, vcc_lo
	v_add_co_u32 v4, vcc_lo, v88, v53
	v_add_co_ci_u32_e32 v5, vcc_lo, v89, v54, vcc_lo
	global_load_b64 v[35:36], v[1:2], off
	global_load_b64 v[19:20], v[4:5], off
.LBB34_14:                              ;   in Loop: Header=BB34_5 Depth=1
	s_or_b32 exec_lo, exec_lo, s3
	v_add_co_u32 v1, vcc_lo, 0xffffff83, v94
	v_add_co_ci_u32_e32 v2, vcc_lo, -1, v95, vcc_lo
	s_delay_alu instid0(VALU_DEP_1) | instskip(SKIP_1) | instid1(SALU_CYCLE_1)
	v_cmp_gt_i64_e32 vcc_lo, s[4:5], v[1:2]
	s_and_b32 s17, s2, vcc_lo
	s_and_saveexec_b32 s3, s17
	s_cbranch_execz .LBB34_16
; %bb.15:                               ;   in Loop: Header=BB34_5 Depth=1
	v_add_co_u32 v1, vcc_lo, v82, v53
	v_add_co_ci_u32_e32 v2, vcc_lo, v83, v54, vcc_lo
	v_add_co_u32 v4, vcc_lo, v84, v53
	v_add_co_ci_u32_e32 v5, vcc_lo, v85, v54, vcc_lo
	global_load_b64 v[37:38], v[1:2], off
	global_load_b64 v[21:22], v[4:5], off
.LBB34_16:                              ;   in Loop: Header=BB34_5 Depth=1
	s_or_b32 exec_lo, exec_lo, s3
	v_add_co_u32 v1, vcc_lo, 0xffffff84, v94
	v_add_co_ci_u32_e32 v2, vcc_lo, -1, v95, vcc_lo
	s_delay_alu instid0(VALU_DEP_1) | instskip(SKIP_1) | instid1(SALU_CYCLE_1)
	v_cmp_gt_i64_e32 vcc_lo, s[4:5], v[1:2]
	s_and_b32 s17, s2, vcc_lo
	s_and_saveexec_b32 s3, s17
	s_cbranch_execz .LBB34_18
; %bb.17:                               ;   in Loop: Header=BB34_5 Depth=1
	v_add_co_u32 v1, vcc_lo, v78, v53
	v_add_co_ci_u32_e32 v2, vcc_lo, v79, v54, vcc_lo
	v_add_co_u32 v4, vcc_lo, v80, v53
	v_add_co_ci_u32_e32 v5, vcc_lo, v81, v54, vcc_lo
	global_load_b64 v[39:40], v[1:2], off
	global_load_b64 v[23:24], v[4:5], off
.LBB34_18:                              ;   in Loop: Header=BB34_5 Depth=1
	s_or_b32 exec_lo, exec_lo, s3
	v_add_co_u32 v1, vcc_lo, 0xffffff85, v94
	v_add_co_ci_u32_e32 v2, vcc_lo, -1, v95, vcc_lo
	s_delay_alu instid0(VALU_DEP_1) | instskip(SKIP_1) | instid1(SALU_CYCLE_1)
	v_cmp_gt_i64_e32 vcc_lo, s[4:5], v[1:2]
	s_and_b32 s17, s2, vcc_lo
	s_and_saveexec_b32 s3, s17
	s_cbranch_execz .LBB34_20
; %bb.19:                               ;   in Loop: Header=BB34_5 Depth=1
	v_add_co_u32 v1, vcc_lo, v74, v53
	v_add_co_ci_u32_e32 v2, vcc_lo, v75, v54, vcc_lo
	v_add_co_u32 v4, vcc_lo, v76, v53
	v_add_co_ci_u32_e32 v5, vcc_lo, v77, v54, vcc_lo
	global_load_b64 v[41:42], v[1:2], off
	global_load_b64 v[25:26], v[4:5], off
.LBB34_20:                              ;   in Loop: Header=BB34_5 Depth=1
	s_or_b32 exec_lo, exec_lo, s3
	v_add_co_u32 v1, vcc_lo, 0xffffff86, v94
	v_add_co_ci_u32_e32 v2, vcc_lo, -1, v95, vcc_lo
	s_delay_alu instid0(VALU_DEP_1) | instskip(SKIP_1) | instid1(SALU_CYCLE_1)
	v_cmp_gt_i64_e32 vcc_lo, s[4:5], v[1:2]
	s_and_b32 s17, s2, vcc_lo
	s_and_saveexec_b32 s3, s17
	s_cbranch_execz .LBB34_22
; %bb.21:                               ;   in Loop: Header=BB34_5 Depth=1
	v_add_co_u32 v1, vcc_lo, v70, v53
	v_add_co_ci_u32_e32 v2, vcc_lo, v71, v54, vcc_lo
	v_add_co_u32 v4, vcc_lo, v72, v53
	v_add_co_ci_u32_e32 v5, vcc_lo, v73, v54, vcc_lo
	global_load_b64 v[43:44], v[1:2], off
	global_load_b64 v[27:28], v[4:5], off
.LBB34_22:                              ;   in Loop: Header=BB34_5 Depth=1
	s_or_b32 exec_lo, exec_lo, s3
	v_add_co_u32 v1, vcc_lo, 0xffffff87, v94
	v_add_co_ci_u32_e32 v2, vcc_lo, -1, v95, vcc_lo
	s_delay_alu instid0(VALU_DEP_1) | instskip(SKIP_1) | instid1(SALU_CYCLE_1)
	v_cmp_gt_i64_e32 vcc_lo, s[4:5], v[1:2]
	s_and_b32 s17, s2, vcc_lo
	s_and_saveexec_b32 s3, s17
	s_cbranch_execz .LBB34_24
; %bb.23:                               ;   in Loop: Header=BB34_5 Depth=1
	v_add_co_u32 v1, vcc_lo, v66, v53
	v_add_co_ci_u32_e32 v2, vcc_lo, v67, v54, vcc_lo
	v_add_co_u32 v4, vcc_lo, v68, v53
	v_add_co_ci_u32_e32 v5, vcc_lo, v69, v54, vcc_lo
	global_load_b64 v[45:46], v[1:2], off
	global_load_b64 v[29:30], v[4:5], off
.LBB34_24:                              ;   in Loop: Header=BB34_5 Depth=1
	s_or_b32 exec_lo, exec_lo, s3
	v_add_co_u32 v1, vcc_lo, 0xffffff88, v94
	v_add_co_ci_u32_e32 v2, vcc_lo, -1, v95, vcc_lo
	s_delay_alu instid0(VALU_DEP_1) | instskip(SKIP_1) | instid1(SALU_CYCLE_1)
	v_cmp_gt_i64_e32 vcc_lo, s[4:5], v[1:2]
	s_and_b32 s17, s2, vcc_lo
	s_and_saveexec_b32 s3, s17
	s_cbranch_execz .LBB34_26
; %bb.25:                               ;   in Loop: Header=BB34_5 Depth=1
	v_add_co_u32 v1, vcc_lo, v62, v53
	v_add_co_ci_u32_e32 v2, vcc_lo, v63, v54, vcc_lo
	v_add_co_u32 v4, vcc_lo, v64, v53
	v_add_co_ci_u32_e32 v5, vcc_lo, v65, v54, vcc_lo
	global_load_b64 v[47:48], v[1:2], off
	global_load_b64 v[31:32], v[4:5], off
.LBB34_26:                              ;   in Loop: Header=BB34_5 Depth=1
	s_or_b32 exec_lo, exec_lo, s3
	s_waitcnt vmcnt(1)
	ds_bpermute_b32 v1, v3, v55
	ds_bpermute_b32 v2, v3, v56
	ds_bpermute_b32 v4, v3, v55 offset:4
	ds_bpermute_b32 v5, v3, v56 offset:4
	;; [unrolled: 1-line block ×4, first 2 shown]
	s_waitcnt vmcnt(0)
	ds_bpermute_b32 v8, v3, v57
	ds_bpermute_b32 v9, v3, v58
	ds_bpermute_b32 v10, v3, v55 offset:12
	ds_bpermute_b32 v11, v3, v56 offset:12
	;; [unrolled: 1-line block ×4, first 2 shown]
	s_waitcnt lgkmcnt(10)
	v_add_f64 v[1:2], v[17:18], -v[1:2]
	s_waitcnt lgkmcnt(8)
	v_add_f64 v[4:5], v[19:20], -v[4:5]
	;; [unrolled: 2-line block ×4, first 2 shown]
	s_delay_alu instid0(VALU_DEP_4) | instskip(NEXT) | instid1(VALU_DEP_4)
	v_mul_f64 v[1:2], v[33:34], v[1:2]
	v_mul_f64 v[4:5], v[35:36], v[4:5]
	s_delay_alu instid0(VALU_DEP_4) | instskip(NEXT) | instid1(VALU_DEP_4)
	v_mul_f64 v[6:7], v[37:38], v[6:7]
	v_mul_f64 v[10:11], v[39:40], v[10:11]
	s_delay_alu instid0(VALU_DEP_4) | instskip(SKIP_2) | instid1(VALU_DEP_2)
	v_fma_f64 v[1:2], v[1:2], v[8:9], v[49:50]
	v_add_f64 v[8:9], v[51:52], v[33:34]
	s_waitcnt lgkmcnt(0)
	v_fma_f64 v[1:2], v[4:5], v[12:13], v[1:2]
	s_delay_alu instid0(VALU_DEP_2)
	v_add_f64 v[4:5], v[35:36], v[8:9]
	ds_bpermute_b32 v8, v3, v55 offset:16
	ds_bpermute_b32 v9, v3, v56 offset:16
	;; [unrolled: 1-line block ×4, first 2 shown]
	s_waitcnt lgkmcnt(2)
	v_add_f64 v[8:9], v[25:26], -v[8:9]
	s_waitcnt lgkmcnt(0)
	v_fma_f64 v[1:2], v[6:7], v[12:13], v[1:2]
	v_add_f64 v[4:5], v[37:38], v[4:5]
	ds_bpermute_b32 v6, v3, v55 offset:20
	ds_bpermute_b32 v7, v3, v56 offset:20
	ds_bpermute_b32 v12, v3, v57 offset:12
	ds_bpermute_b32 v13, v3, v58 offset:12
	s_waitcnt lgkmcnt(2)
	v_add_f64 v[6:7], v[27:28], -v[6:7]
	v_mul_f64 v[8:9], v[41:42], v[8:9]
	s_waitcnt lgkmcnt(0)
	v_fma_f64 v[1:2], v[10:11], v[12:13], v[1:2]
	v_add_f64 v[4:5], v[39:40], v[4:5]
	ds_bpermute_b32 v10, v3, v55 offset:24
	ds_bpermute_b32 v11, v3, v56 offset:24
	;; [unrolled: 1-line block ×4, first 2 shown]
	s_waitcnt lgkmcnt(2)
	v_add_f64 v[10:11], v[29:30], -v[10:11]
	v_mul_f64 v[6:7], v[43:44], v[6:7]
	s_waitcnt lgkmcnt(0)
	v_fma_f64 v[1:2], v[8:9], v[12:13], v[1:2]
	v_add_f64 v[4:5], v[41:42], v[4:5]
	ds_bpermute_b32 v8, v3, v57 offset:20
	ds_bpermute_b32 v9, v3, v58 offset:20
	v_mul_f64 v[10:11], v[45:46], v[10:11]
	s_waitcnt lgkmcnt(0)
	v_fma_f64 v[1:2], v[6:7], v[8:9], v[1:2]
	v_add_f64 v[6:7], v[43:44], v[4:5]
	ds_bpermute_b32 v4, v3, v57 offset:24
	ds_bpermute_b32 v5, v3, v58 offset:24
	ds_bpermute_b32 v8, v3, v55 offset:28
	ds_bpermute_b32 v9, v3, v56 offset:28
	s_waitcnt lgkmcnt(2)
	v_fma_f64 v[4:5], v[10:11], v[4:5], v[1:2]
	v_add_f64 v[6:7], v[45:46], v[6:7]
	ds_bpermute_b32 v1, v3, v57 offset:28
	ds_bpermute_b32 v2, v3, v58 offset:28
	s_branch .LBB34_4
.LBB34_27:                              ;   in Loop: Header=BB34_5 Depth=1
                                        ; implicit-def: $vgpr1_vgpr2
                                        ; implicit-def: $vgpr17_vgpr18_vgpr19_vgpr20_vgpr21_vgpr22_vgpr23_vgpr24_vgpr25_vgpr26_vgpr27_vgpr28_vgpr29_vgpr30_vgpr31_vgpr32
                                        ; implicit-def: $vgpr33_vgpr34_vgpr35_vgpr36_vgpr37_vgpr38_vgpr39_vgpr40_vgpr41_vgpr42_vgpr43_vgpr44_vgpr45_vgpr46_vgpr47_vgpr48
                                        ; implicit-def: $vgpr8
                                        ; implicit-def: $vgpr6_vgpr7
                                        ; implicit-def: $vgpr4_vgpr5
	s_cbranch_execz .LBB34_4
; %bb.28:                               ;   in Loop: Header=BB34_5 Depth=1
	s_load_b32 s3, s[34:35], 0x0
	v_mov_b32_e32 v57, 0
	s_waitcnt lgkmcnt(0)
	s_cmp_lt_u32 s14, s3
	s_cselect_b32 s3, 12, 18
	s_delay_alu instid0(SALU_CYCLE_1)
	s_add_u32 s18, s34, s3
	s_addc_u32 s19, s35, 0
	s_mov_b32 s3, exec_lo
	global_load_u16 v1, v3, s[18:19]
	s_waitcnt vmcnt(0)
	v_mad_u32_u24 v1, v59, v1, v61
	s_delay_alu instid0(VALU_DEP_1) | instskip(NEXT) | instid1(VALU_DEP_1)
	v_dual_mov_b32 v58, 0 :: v_dual_and_b32 v1, 31, v1
	v_dual_mov_b32 v55, v57 :: v_dual_mov_b32 v56, v58
	s_delay_alu instid0(VALU_DEP_2)
	v_cmpx_gt_u32_e32 8, v1
	s_cbranch_execz .LBB34_32
; %bb.29:                               ;   in Loop: Header=BB34_5 Depth=1
	v_add_co_u32 v1, vcc_lo, v94, v1
	v_mov_b32_e32 v55, 0
	v_add_co_ci_u32_e32 v2, vcc_lo, 0, v95, vcc_lo
	v_mov_b32_e32 v56, 0
	s_delay_alu instid0(VALU_DEP_4) | instskip(NEXT) | instid1(VALU_DEP_3)
	v_add_co_u32 v1, vcc_lo, 0xffffff81, v1
	v_add_co_ci_u32_e32 v2, vcc_lo, -1, v2, vcc_lo
	s_delay_alu instid0(VALU_DEP_3) | instskip(SKIP_1) | instid1(VALU_DEP_2)
	v_dual_mov_b32 v58, v56 :: v_dual_mov_b32 v57, v55
	s_mov_b32 s17, exec_lo
	v_cmpx_gt_i64_e64 s[4:5], v[1:2]
	s_cbranch_execz .LBB34_31
; %bb.30:                               ;   in Loop: Header=BB34_5 Depth=1
	v_lshlrev_b64 v[1:2], 3, v[1:2]
	s_delay_alu instid0(VALU_DEP_1) | instskip(NEXT) | instid1(VALU_DEP_2)
	v_add_co_u32 v4, vcc_lo, s36, v1
	v_add_co_ci_u32_e32 v5, vcc_lo, s37, v2, vcc_lo
	v_add_co_u32 v1, vcc_lo, s38, v1
	v_add_co_ci_u32_e32 v2, vcc_lo, s39, v2, vcc_lo
	global_load_b64 v[55:56], v[4:5], off
	global_load_b64 v[57:58], v[1:2], off
.LBB34_31:                              ;   in Loop: Header=BB34_5 Depth=1
	s_or_b32 exec_lo, exec_lo, s17
.LBB34_32:                              ;   in Loop: Header=BB34_5 Depth=1
	s_delay_alu instid0(SALU_CYCLE_1)
	s_or_b32 exec_lo, exec_lo, s3
	s_mov_b32 s31, s16
	s_mov_b32 s17, s16
	;; [unrolled: 1-line block ×15, first 2 shown]
	s_delay_alu instid0(SALU_CYCLE_1)
	v_dual_mov_b32 v32, s31 :: v_dual_mov_b32 v31, s30
	v_dual_mov_b32 v30, s29 :: v_dual_mov_b32 v29, s28
	;; [unrolled: 1-line block ×16, first 2 shown]
	s_and_saveexec_b32 s3, s2
	s_cbranch_execnz .LBB34_40
; %bb.33:                               ;   in Loop: Header=BB34_5 Depth=1
	s_or_b32 exec_lo, exec_lo, s3
	s_and_saveexec_b32 s3, s2
	s_cbranch_execnz .LBB34_41
.LBB34_34:                              ;   in Loop: Header=BB34_5 Depth=1
	s_or_b32 exec_lo, exec_lo, s3
	s_and_saveexec_b32 s3, s2
	s_cbranch_execnz .LBB34_42
.LBB34_35:                              ;   in Loop: Header=BB34_5 Depth=1
	s_or_b32 exec_lo, exec_lo, s3
	s_and_saveexec_b32 s3, s2
	s_cbranch_execnz .LBB34_43
.LBB34_36:                              ;   in Loop: Header=BB34_5 Depth=1
	s_or_b32 exec_lo, exec_lo, s3
	s_and_saveexec_b32 s3, s2
	s_cbranch_execnz .LBB34_44
.LBB34_37:                              ;   in Loop: Header=BB34_5 Depth=1
	s_or_b32 exec_lo, exec_lo, s3
	s_and_saveexec_b32 s3, s2
	s_cbranch_execnz .LBB34_45
.LBB34_38:                              ;   in Loop: Header=BB34_5 Depth=1
	s_or_b32 exec_lo, exec_lo, s3
	s_and_saveexec_b32 s3, s2
	s_cbranch_execnz .LBB34_46
.LBB34_39:                              ;   in Loop: Header=BB34_5 Depth=1
	s_or_b32 exec_lo, exec_lo, s3
	s_and_saveexec_b32 s3, s2
	s_cbranch_execz .LBB34_3
	s_branch .LBB34_47
.LBB34_40:                              ;   in Loop: Header=BB34_5 Depth=1
	v_add_co_u32 v1, vcc_lo, v90, v53
	v_add_co_ci_u32_e32 v2, vcc_lo, v91, v54, vcc_lo
	v_add_co_u32 v4, vcc_lo, v92, v53
	v_add_co_ci_u32_e32 v5, vcc_lo, v93, v54, vcc_lo
	global_load_b64 v[1:2], v[1:2], off
	v_mov_b32_e32 v16, v3
	v_mov_b32_e32 v6, v3
	global_load_b64 v[17:18], v[4:5], off
	v_mov_b32_e32 v4, v3
	v_mov_b32_e32 v5, v3
	;; [unrolled: 1-line block ×11, first 2 shown]
	s_waitcnt vmcnt(1)
	v_dual_mov_b32 v19, v3 :: v_dual_mov_b32 v48, v16
	v_dual_mov_b32 v20, v3 :: v_dual_mov_b32 v45, v13
	;; [unrolled: 1-line block ×7, first 2 shown]
	v_mov_b32_e32 v26, v3
	v_dual_mov_b32 v27, v3 :: v_dual_mov_b32 v40, v8
	v_mov_b32_e32 v28, v3
	v_dual_mov_b32 v29, v3 :: v_dual_mov_b32 v38, v6
	;; [unrolled: 2-line block ×3, first 2 shown]
	v_mov_b32_e32 v47, v15
	v_mov_b32_e32 v43, v11
	v_mov_b32_e32 v39, v7
	v_mov_b32_e32 v35, v3
	v_mov_b32_e32 v32, v3
	v_dual_mov_b32 v34, v2 :: v_dual_mov_b32 v33, v1
	s_or_b32 exec_lo, exec_lo, s3
	s_and_saveexec_b32 s3, s2
	s_cbranch_execz .LBB34_34
.LBB34_41:                              ;   in Loop: Header=BB34_5 Depth=1
	v_add_co_u32 v1, vcc_lo, v86, v53
	v_add_co_ci_u32_e32 v2, vcc_lo, v87, v54, vcc_lo
	v_add_co_u32 v4, vcc_lo, v88, v53
	v_add_co_ci_u32_e32 v5, vcc_lo, v89, v54, vcc_lo
	global_load_b64 v[35:36], v[1:2], off
	global_load_b64 v[19:20], v[4:5], off
	s_or_b32 exec_lo, exec_lo, s3
	s_and_saveexec_b32 s3, s2
	s_cbranch_execz .LBB34_35
.LBB34_42:                              ;   in Loop: Header=BB34_5 Depth=1
	v_add_co_u32 v1, vcc_lo, v82, v53
	v_add_co_ci_u32_e32 v2, vcc_lo, v83, v54, vcc_lo
	v_add_co_u32 v4, vcc_lo, v84, v53
	v_add_co_ci_u32_e32 v5, vcc_lo, v85, v54, vcc_lo
	global_load_b64 v[37:38], v[1:2], off
	global_load_b64 v[21:22], v[4:5], off
	s_or_b32 exec_lo, exec_lo, s3
	s_and_saveexec_b32 s3, s2
	s_cbranch_execz .LBB34_36
.LBB34_43:                              ;   in Loop: Header=BB34_5 Depth=1
	v_add_co_u32 v1, vcc_lo, v78, v53
	v_add_co_ci_u32_e32 v2, vcc_lo, v79, v54, vcc_lo
	v_add_co_u32 v4, vcc_lo, v80, v53
	v_add_co_ci_u32_e32 v5, vcc_lo, v81, v54, vcc_lo
	global_load_b64 v[39:40], v[1:2], off
	global_load_b64 v[23:24], v[4:5], off
	s_or_b32 exec_lo, exec_lo, s3
	s_and_saveexec_b32 s3, s2
	s_cbranch_execz .LBB34_37
.LBB34_44:                              ;   in Loop: Header=BB34_5 Depth=1
	v_add_co_u32 v1, vcc_lo, v74, v53
	v_add_co_ci_u32_e32 v2, vcc_lo, v75, v54, vcc_lo
	v_add_co_u32 v4, vcc_lo, v76, v53
	v_add_co_ci_u32_e32 v5, vcc_lo, v77, v54, vcc_lo
	global_load_b64 v[41:42], v[1:2], off
	global_load_b64 v[25:26], v[4:5], off
	s_or_b32 exec_lo, exec_lo, s3
	s_and_saveexec_b32 s3, s2
	s_cbranch_execz .LBB34_38
.LBB34_45:                              ;   in Loop: Header=BB34_5 Depth=1
	v_add_co_u32 v1, vcc_lo, v70, v53
	v_add_co_ci_u32_e32 v2, vcc_lo, v71, v54, vcc_lo
	v_add_co_u32 v4, vcc_lo, v72, v53
	v_add_co_ci_u32_e32 v5, vcc_lo, v73, v54, vcc_lo
	global_load_b64 v[43:44], v[1:2], off
	global_load_b64 v[27:28], v[4:5], off
	s_or_b32 exec_lo, exec_lo, s3
	s_and_saveexec_b32 s3, s2
	s_cbranch_execz .LBB34_39
.LBB34_46:                              ;   in Loop: Header=BB34_5 Depth=1
	v_add_co_u32 v1, vcc_lo, v66, v53
	v_add_co_ci_u32_e32 v2, vcc_lo, v67, v54, vcc_lo
	v_add_co_u32 v4, vcc_lo, v68, v53
	v_add_co_ci_u32_e32 v5, vcc_lo, v69, v54, vcc_lo
	global_load_b64 v[45:46], v[1:2], off
	global_load_b64 v[29:30], v[4:5], off
	s_or_b32 exec_lo, exec_lo, s3
	s_and_saveexec_b32 s3, s2
	s_cbranch_execz .LBB34_3
.LBB34_47:                              ;   in Loop: Header=BB34_5 Depth=1
	v_add_co_u32 v1, vcc_lo, v62, v53
	v_add_co_ci_u32_e32 v2, vcc_lo, v63, v54, vcc_lo
	v_add_co_u32 v4, vcc_lo, v64, v53
	v_add_co_ci_u32_e32 v5, vcc_lo, v65, v54, vcc_lo
	global_load_b64 v[47:48], v[1:2], off
	global_load_b64 v[31:32], v[4:5], off
	s_branch .LBB34_3
.LBB34_48:
                                        ; implicit-def: $vgpr51_vgpr52
                                        ; implicit-def: $vgpr49_vgpr50
	s_branch .LBB34_50
.LBB34_49:
	s_cbranch_execnz .LBB34_81
.LBB34_50:
	v_mov_b32_e32 v51, 0
	v_mov_b32_e32 v52, 0
	s_delay_alu instid0(VALU_DEP_2) | instskip(SKIP_1) | instid1(VALU_DEP_2)
	v_mov_b32_e32 v49, v51
	s_and_not1_b32 vcc_lo, exec_lo, s15
	v_mov_b32_e32 v50, v52
	s_cbranch_vccnz .LBB34_81
; %bb.51:
	s_load_b32 s2, s[0:1], 0x44
	v_bfe_u32 v75, v0, 10, 10
	v_dual_mov_b32 v3, 0 :: v_dual_and_b32 v48, 0x3ff, v0
	s_add_u32 s34, s0, 64
	s_addc_u32 s35, s1, 0
	s_delay_alu instid0(VALU_DEP_2) | instskip(NEXT) | instid1(VALU_DEP_2)
	v_lshlrev_b32_e32 v1, 6, v75
	v_dual_mov_b32 v49, 0 :: v_dual_add_nc_u32 v2, s33, v48
	v_mov_b32_e32 v50, 0
	v_lshlrev_b32_e32 v76, 3, v75
	s_delay_alu instid0(VALU_DEP_3) | instskip(NEXT) | instid1(VALU_DEP_3)
	v_lshlrev_b64 v[36:37], 3, v[2:3]
	v_dual_mov_b32 v52, v50 :: v_dual_mov_b32 v51, v49
	s_waitcnt lgkmcnt(0)
	s_lshl_b32 s15, s2, 7
	s_add_u32 s40, s12, 0x7f
	s_addc_u32 s41, 0, 0
	s_lshl_b64 s[2:3], s[12:13], 3
	s_mul_i32 s16, s7, s15
	v_add_co_u32 v1, s2, v1, s2
	s_delay_alu instid0(VALU_DEP_1) | instskip(SKIP_1) | instid1(VALU_DEP_3)
	v_add_co_ci_u32_e64 v2, null, 0, s3, s2
	v_add_co_u32 v24, s3, v76, s12
	v_add_co_u32 v6, vcc_lo, v1, 8
	s_delay_alu instid0(VALU_DEP_3) | instskip(SKIP_3) | instid1(VALU_DEP_4)
	v_add_co_ci_u32_e32 v4, vcc_lo, 0, v2, vcc_lo
	v_add_co_u32 v7, vcc_lo, v1, 16
	v_add_co_ci_u32_e32 v5, vcc_lo, 0, v2, vcc_lo
	v_add_co_u32 v10, vcc_lo, v1, 24
	v_mul_lo_u32 v8, s6, v4
	v_add_co_ci_u32_e32 v4, vcc_lo, 0, v2, vcc_lo
	v_add_co_u32 v13, vcc_lo, v1, 32
	v_mul_lo_u32 v11, s6, v5
	;; [unrolled: 3-line block ×4, first 2 shown]
	v_add_co_ci_u32_e32 v5, vcc_lo, 0, v2, vcc_lo
	v_add_co_ci_u32_e64 v25, null, 0, 0, s3
	v_add_co_u32 v26, vcc_lo, v1, 56
	v_mul_lo_u32 v20, s6, v4
	s_delay_alu instid0(VALU_DEP_4) | instskip(SKIP_4) | instid1(VALU_DEP_4)
	v_mul_lo_u32 v22, s6, v5
	v_add_co_ci_u32_e32 v4, vcc_lo, 0, v2, vcc_lo
	v_mul_lo_u32 v5, s7, v24
	v_mul_lo_u32 v27, s6, v25
	v_mad_u64_u32 v[1:2], null, s6, v24, 0
	v_mul_lo_u32 v28, s6, v4
	v_mad_u64_u32 v[38:39], null, s6, v6, s[8:9]
	;; [unrolled: 2-line block ×3, first 2 shown]
	v_add3_u32 v2, v2, v27, v5
	v_mad_u64_u32 v[40:41], null, s6, v7, s[8:9]
	v_mul_lo_u32 v12, s7, v7
	v_mad_u64_u32 v[59:60], null, s6, v7, s[10:11]
	s_delay_alu instid0(VALU_DEP_4)
	v_lshlrev_b64 v[4:5], 3, v[1:2]
	v_add3_u32 v39, v9, v39, v8
	v_add3_u32 v58, v9, v58, v8
	v_mad_u64_u32 v[42:43], null, s6, v10, s[8:9]
	v_mul_lo_u32 v15, s7, v10
	v_add_co_u32 v77, vcc_lo, s8, v4
	v_add_co_ci_u32_e32 v78, vcc_lo, s9, v5, vcc_lo
	v_add_co_u32 v8, vcc_lo, v24, 7
	v_add_co_ci_u32_e32 v6, vcc_lo, 0, v25, vcc_lo
	v_mad_u64_u32 v[61:62], null, s6, v10, s[10:11]
	v_add3_u32 v41, v12, v41, v11
	v_add3_u32 v60, v12, v60, v11
	v_add_co_u32 v12, vcc_lo, v24, 6
	v_mul_lo_u32 v10, s7, v8
	v_mul_lo_u32 v11, s6, v6
	v_mad_u64_u32 v[6:7], null, s6, v8, 0
	v_add_co_ci_u32_e32 v9, vcc_lo, 0, v25, vcc_lo
	v_mad_u64_u32 v[44:45], null, s6, v13, s[8:9]
	v_mul_lo_u32 v18, s7, v13
	v_add3_u32 v43, v15, v43, v14
	v_mad_u64_u32 v[63:64], null, s6, v13, s[10:11]
	v_add3_u32 v62, v15, v62, v14
	v_mul_lo_u32 v13, s7, v12
	v_mul_lo_u32 v14, s6, v9
	v_mad_u64_u32 v[8:9], null, s6, v12, 0
	v_add3_u32 v7, v7, v11, v10
	v_add_co_u32 v79, vcc_lo, s10, v4
	v_add_co_ci_u32_e32 v80, vcc_lo, s11, v5, vcc_lo
	s_delay_alu instid0(VALU_DEP_3) | instskip(SKIP_3) | instid1(VALU_DEP_4)
	v_lshlrev_b64 v[4:5], 3, v[6:7]
	v_add3_u32 v9, v9, v14, v13
	v_add_co_u32 v10, vcc_lo, v24, 5
	v_add_co_ci_u32_e32 v11, vcc_lo, 0, v25, vcc_lo
	v_add_co_u32 v81, vcc_lo, s8, v4
	s_delay_alu instid0(VALU_DEP_4)
	v_lshlrev_b64 v[6:7], 3, v[8:9]
	v_add_co_ci_u32_e32 v82, vcc_lo, s9, v5, vcc_lo
	v_mul_lo_u32 v12, s7, v10
	v_mul_lo_u32 v11, s6, v11
	v_mad_u64_u32 v[8:9], null, s6, v10, 0
	v_add_co_u32 v83, vcc_lo, s10, v4
	v_add_co_ci_u32_e32 v84, vcc_lo, s11, v5, vcc_lo
	v_add_co_u32 v85, vcc_lo, s8, v6
	v_add_co_ci_u32_e32 v86, vcc_lo, s9, v7, vcc_lo
	s_mul_hi_u32 s2, s6, s15
	v_add_co_u32 v10, vcc_lo, v24, 4
	v_add3_u32 v9, v9, v11, v12
	s_add_i32 s3, s2, s16
	v_add_co_u32 v87, s2, s10, v6
	v_add_co_ci_u32_e32 v6, vcc_lo, 0, v25, vcc_lo
	v_add_co_u32 v12, vcc_lo, v24, 3
	v_lshlrev_b64 v[4:5], 3, v[8:9]
	v_add_co_ci_u32_e32 v8, vcc_lo, 0, v25, vcc_lo
	v_add_co_ci_u32_e64 v88, s2, s11, v7, s2
	v_mul_lo_u32 v11, s7, v10
	v_mul_lo_u32 v13, s6, v6
	v_mad_u64_u32 v[6:7], null, s6, v10, 0
	v_mul_lo_u32 v10, s7, v12
	v_mul_lo_u32 v14, s6, v8
	v_mad_u64_u32 v[8:9], null, s6, v12, 0
	v_add_co_u32 v89, vcc_lo, s8, v4
	v_add_co_ci_u32_e32 v90, vcc_lo, s9, v5, vcc_lo
	v_add3_u32 v7, v7, v13, v11
	v_add_co_u32 v91, vcc_lo, s10, v4
	v_add_co_ci_u32_e32 v92, vcc_lo, s11, v5, vcc_lo
	v_add3_u32 v9, v9, v14, v10
	v_add_co_u32 v10, vcc_lo, v24, 2
	v_lshlrev_b64 v[4:5], 3, v[6:7]
	v_add_co_ci_u32_e32 v11, vcc_lo, 0, v25, vcc_lo
	s_delay_alu instid0(VALU_DEP_4) | instskip(NEXT) | instid1(VALU_DEP_4)
	v_lshlrev_b64 v[6:7], 3, v[8:9]
	v_mul_lo_u32 v12, s7, v10
	v_mad_u64_u32 v[8:9], null, s6, v10, 0
	v_add_co_u32 v93, vcc_lo, s8, v4
	v_mul_lo_u32 v11, s6, v11
	v_add_co_ci_u32_e32 v94, vcc_lo, s9, v5, vcc_lo
	v_add_co_u32 v95, vcc_lo, s10, v4
	v_add_co_ci_u32_e32 v96, vcc_lo, s11, v5, vcc_lo
	v_add_co_u32 v97, vcc_lo, s8, v6
	v_add_co_ci_u32_e32 v98, vcc_lo, s9, v7, vcc_lo
	v_add3_u32 v9, v9, v11, v12
	v_add_co_u32 v99, vcc_lo, s10, v6
	v_add_co_ci_u32_e32 v100, vcc_lo, s11, v7, vcc_lo
	v_add_co_u32 v1, vcc_lo, v1, s6
	s_delay_alu instid0(VALU_DEP_4) | instskip(SKIP_3) | instid1(VALU_DEP_4)
	v_lshlrev_b64 v[4:5], 3, v[8:9]
	v_add_co_ci_u32_e32 v2, vcc_lo, s7, v2, vcc_lo
	v_mad_u64_u32 v[46:47], null, s6, v17, s[8:9]
	v_mul_lo_u32 v21, s7, v17
	v_add_co_u32 v101, vcc_lo, s8, v4
	s_delay_alu instid0(VALU_DEP_4)
	v_lshlrev_b64 v[1:2], 3, v[1:2]
	v_add_co_ci_u32_e32 v102, vcc_lo, s9, v5, vcc_lo
	v_mad_u64_u32 v[53:54], null, s6, v19, s[8:9]
	v_mul_lo_u32 v23, s7, v19
	v_mad_u64_u32 v[55:56], null, s6, v26, s[8:9]
	v_mul_lo_u32 v29, s7, v26
	v_mad_u64_u32 v[65:66], null, s6, v17, s[10:11]
	v_mad_u64_u32 v[67:68], null, s6, v19, s[10:11]
	;; [unrolled: 1-line block ×3, first 2 shown]
	v_add_co_u32 v103, vcc_lo, s10, v4
	v_add_co_ci_u32_e32 v104, vcc_lo, s11, v5, vcc_lo
	v_add_co_u32 v105, vcc_lo, s8, v1
	v_add_co_ci_u32_e32 v106, vcc_lo, s9, v2, vcc_lo
	v_add_co_u32 v107, vcc_lo, s10, v1
	v_add3_u32 v45, v18, v45, v16
	v_add3_u32 v47, v21, v47, v20
	;; [unrolled: 1-line block ×8, first 2 shown]
	v_add_co_ci_u32_e32 v108, vcc_lo, s11, v2, vcc_lo
	s_mul_i32 s2, s6, s15
	s_mov_b32 s16, 0
	s_lshl_b64 s[2:3], s[2:3], 3
	s_branch .LBB34_55
.LBB34_52:                              ;   in Loop: Header=BB34_55 Depth=1
	s_or_b32 exec_lo, exec_lo, s9
.LBB34_53:                              ;   in Loop: Header=BB34_55 Depth=1
	s_delay_alu instid0(SALU_CYCLE_1)
	s_or_b32 exec_lo, exec_lo, s8
	v_add_co_u32 v6, vcc_lo, v79, v36
	v_add_co_ci_u32_e32 v7, vcc_lo, v80, v37, vcc_lo
	v_add_co_u32 v8, vcc_lo, v57, v36
	v_add_co_ci_u32_e32 v9, vcc_lo, v58, v37, vcc_lo
	global_load_b64 v[6:7], v[6:7], off
	v_add_co_u32 v10, vcc_lo, v77, v36
	v_add_co_ci_u32_e32 v11, vcc_lo, v78, v37, vcc_lo
	global_load_b64 v[8:9], v[8:9], off
	global_load_b64 v[10:11], v[10:11], off
	v_add_co_u32 v12, vcc_lo, v59, v36
	v_add_co_ci_u32_e32 v13, vcc_lo, v60, v37, vcc_lo
	v_add_co_u32 v14, vcc_lo, v38, v36
	v_add_co_ci_u32_e32 v15, vcc_lo, v39, v37, vcc_lo
	global_load_b64 v[12:13], v[12:13], off
	global_load_b64 v[14:15], v[14:15], off
	v_add_co_u32 v16, vcc_lo, v61, v36
	v_add_co_ci_u32_e32 v17, vcc_lo, v62, v37, vcc_lo
	;; [unrolled: 6-line block ×5, first 2 shown]
	v_add_co_u32 v30, vcc_lo, v67, v36
	v_add_co_ci_u32_e32 v31, vcc_lo, v68, v37, vcc_lo
	v_add_co_u32 v32, vcc_lo, v69, v36
	v_add_co_ci_u32_e32 v33, vcc_lo, v70, v37, vcc_lo
	global_load_b64 v[30:31], v[30:31], off
	global_load_b64 v[34:35], v[18:19], off
	;; [unrolled: 1-line block ×3, first 2 shown]
	v_add_co_u32 v18, vcc_lo, v53, v36
	v_add_co_ci_u32_e32 v19, vcc_lo, v54, v37, vcc_lo
	v_add_co_u32 v71, vcc_lo, v55, v36
	v_add_co_ci_u32_e32 v72, vcc_lo, v56, v37, vcc_lo
	global_load_b64 v[73:74], v[18:19], off
	global_load_b64 v[18:19], v[71:72], off
	s_waitcnt vmcnt(17)
	ds_bpermute_b32 v71, v3, v4
	ds_bpermute_b32 v72, v3, v5
	s_waitcnt vmcnt(16)
	ds_bpermute_b32 v109, v3, v1
	ds_bpermute_b32 v110, v3, v2
	s_waitcnt vmcnt(15) lgkmcnt(2)
	v_add_f64 v[6:7], v[6:7], -v[71:72]
	ds_bpermute_b32 v71, v3, v4 offset:4
	ds_bpermute_b32 v72, v3, v5 offset:4
	s_waitcnt vmcnt(14) lgkmcnt(0)
	v_add_f64 v[8:9], v[8:9], -v[71:72]
	ds_bpermute_b32 v71, v3, v4 offset:8
	ds_bpermute_b32 v72, v3, v5 offset:8
	s_waitcnt vmcnt(13)
	v_mul_f64 v[6:7], v[10:11], v[6:7]
	v_add_f64 v[10:11], v[51:52], v[10:11]
	ds_bpermute_b32 v51, v3, v1 offset:4
	ds_bpermute_b32 v52, v3, v2 offset:4
	s_waitcnt vmcnt(12) lgkmcnt(2)
	v_add_f64 v[12:13], v[12:13], -v[71:72]
	s_waitcnt vmcnt(11)
	v_mul_f64 v[8:9], v[14:15], v[8:9]
	v_fma_f64 v[6:7], v[6:7], v[109:110], v[49:50]
	ds_bpermute_b32 v49, v3, v4 offset:12
	ds_bpermute_b32 v50, v3, v5 offset:12
	v_add_f64 v[10:11], v[10:11], v[14:15]
	ds_bpermute_b32 v14, v3, v1 offset:8
	ds_bpermute_b32 v15, v3, v2 offset:8
	s_waitcnt vmcnt(9)
	v_mul_f64 v[12:13], v[20:21], v[12:13]
	s_waitcnt lgkmcnt(2)
	v_add_f64 v[16:17], v[16:17], -v[49:50]
	v_fma_f64 v[6:7], v[8:9], v[51:52], v[6:7]
	ds_bpermute_b32 v8, v3, v4 offset:16
	ds_bpermute_b32 v9, v3, v5 offset:16
	v_add_f64 v[10:11], v[10:11], v[20:21]
	s_waitcnt vmcnt(8) lgkmcnt(0)
	v_add_f64 v[8:9], v[24:25], -v[8:9]
	s_waitcnt vmcnt(7)
	v_mul_f64 v[16:17], v[22:23], v[16:17]
	v_fma_f64 v[6:7], v[12:13], v[14:15], v[6:7]
	ds_bpermute_b32 v12, v3, v4 offset:20
	ds_bpermute_b32 v13, v3, v5 offset:20
	;; [unrolled: 1-line block ×4, first 2 shown]
	v_add_f64 v[10:11], v[10:11], v[22:23]
	s_waitcnt vmcnt(6) lgkmcnt(2)
	v_add_f64 v[12:13], v[28:29], -v[12:13]
	s_waitcnt vmcnt(5)
	v_mul_f64 v[8:9], v[26:27], v[8:9]
	s_waitcnt lgkmcnt(0)
	v_fma_f64 v[6:7], v[16:17], v[14:15], v[6:7]
	ds_bpermute_b32 v14, v3, v4 offset:24
	ds_bpermute_b32 v15, v3, v5 offset:24
	;; [unrolled: 1-line block ×6, first 2 shown]
	v_add_f64 v[10:11], v[10:11], v[26:27]
	s_waitcnt vmcnt(4) lgkmcnt(4)
	v_add_f64 v[14:15], v[30:31], -v[14:15]
	s_waitcnt vmcnt(3)
	v_mul_f64 v[12:13], v[34:35], v[12:13]
	s_waitcnt vmcnt(2) lgkmcnt(0)
	v_add_f64 v[4:5], v[32:33], -v[4:5]
	v_fma_f64 v[6:7], v[8:9], v[16:17], v[6:7]
	ds_bpermute_b32 v8, v3, v1 offset:20
	ds_bpermute_b32 v9, v3, v2 offset:20
	v_add_f64 v[10:11], v[10:11], v[34:35]
	s_waitcnt vmcnt(1)
	v_mul_f64 v[14:15], v[73:74], v[14:15]
	s_waitcnt vmcnt(0)
	v_mul_f64 v[4:5], v[18:19], v[4:5]
	s_waitcnt lgkmcnt(0)
	v_fma_f64 v[6:7], v[12:13], v[8:9], v[6:7]
	ds_bpermute_b32 v8, v3, v1 offset:24
	ds_bpermute_b32 v9, v3, v2 offset:24
	;; [unrolled: 1-line block ×4, first 2 shown]
	v_add_f64 v[1:2], v[10:11], v[73:74]
	s_waitcnt lgkmcnt(0)
	v_mul_f64 v[4:5], v[4:5], v[12:13]
	v_fma_f64 v[6:7], v[14:15], v[8:9], v[6:7]
.LBB34_54:                              ;   in Loop: Header=BB34_55 Depth=1
	v_add_co_u32 v38, vcc_lo, v38, s2
	v_add_co_ci_u32_e32 v39, vcc_lo, s3, v39, vcc_lo
	v_add_co_u32 v40, vcc_lo, v40, s2
	v_add_co_ci_u32_e32 v41, vcc_lo, s3, v41, vcc_lo
	;; [unrolled: 2-line block ×18, first 2 shown]
	v_add_co_u32 v85, vcc_lo, v85, s2
	v_add_f64 v[49:50], v[6:7], v[4:5]
	v_add_f64 v[51:52], v[1:2], v[18:19]
	v_add_co_ci_u32_e32 v86, vcc_lo, s3, v86, vcc_lo
	v_add_co_u32 v87, vcc_lo, v87, s2
	v_add_co_ci_u32_e32 v88, vcc_lo, s3, v88, vcc_lo
	v_add_co_u32 v89, vcc_lo, v89, s2
	;; [unrolled: 2-line block ×9, first 2 shown]
	s_add_u32 s12, s12, s15
	v_add_co_ci_u32_e32 v104, vcc_lo, s3, v104, vcc_lo
	s_addc_u32 s13, s13, 0
	v_add_co_u32 v105, vcc_lo, v105, s2
	v_cmp_ge_i64_e64 s8, s[12:13], s[4:5]
	v_add_co_ci_u32_e32 v106, vcc_lo, s3, v106, vcc_lo
	v_add_co_u32 v107, vcc_lo, v107, s2
	v_add_co_ci_u32_e32 v108, vcc_lo, s3, v108, vcc_lo
	s_add_u32 s40, s40, s15
	s_addc_u32 s41, s41, 0
	s_and_b32 vcc_lo, exec_lo, s8
	s_cbranch_vccnz .LBB34_81
.LBB34_55:                              ; =>This Inner Loop Header: Depth=1
	v_cmp_ge_i64_e64 s8, s[40:41], s[4:5]
	v_add_co_u32 v109, s9, v76, s40
	s_delay_alu instid0(VALU_DEP_1) | instskip(NEXT) | instid1(VALU_DEP_3)
	v_add_co_ci_u32_e64 v110, null, 0, s41, s9
	s_and_b32 vcc_lo, exec_lo, s8
	s_cbranch_vccz .LBB34_77
; %bb.56:                               ;   in Loop: Header=BB34_55 Depth=1
	s_load_b32 s8, s[34:35], 0xc
	v_mov_b32_e32 v71, 0
	s_waitcnt lgkmcnt(0)
	s_and_b32 s8, s8, 0xffff
	s_delay_alu instid0(SALU_CYCLE_1) | instskip(SKIP_2) | instid1(VALU_DEP_1)
	v_mad_u32_u24 v1, v75, s8, v48
	v_mov_b32_e32 v72, 0
	s_mov_b32 s8, exec_lo
	v_dual_mov_b32 v74, v72 :: v_dual_and_b32 v1, 31, v1
	v_mov_b32_e32 v73, v71
	s_delay_alu instid0(VALU_DEP_2)
	v_cmpx_gt_u32_e32 8, v1
	s_cbranch_execz .LBB34_60
; %bb.57:                               ;   in Loop: Header=BB34_55 Depth=1
	v_add_co_u32 v1, vcc_lo, v109, v1
	v_mov_b32_e32 v73, 0
	v_add_co_ci_u32_e32 v2, vcc_lo, 0, v110, vcc_lo
	v_mov_b32_e32 v74, 0
	s_delay_alu instid0(VALU_DEP_4) | instskip(NEXT) | instid1(VALU_DEP_3)
	v_add_co_u32 v1, vcc_lo, 0xffffff81, v1
	v_add_co_ci_u32_e32 v2, vcc_lo, -1, v2, vcc_lo
	s_delay_alu instid0(VALU_DEP_3) | instskip(SKIP_1) | instid1(VALU_DEP_2)
	v_dual_mov_b32 v71, v73 :: v_dual_mov_b32 v72, v74
	s_mov_b32 s9, exec_lo
	v_cmpx_gt_i64_e64 s[4:5], v[1:2]
	s_cbranch_execz .LBB34_59
; %bb.58:                               ;   in Loop: Header=BB34_55 Depth=1
	v_lshlrev_b64 v[1:2], 3, v[1:2]
	s_delay_alu instid0(VALU_DEP_1) | instskip(NEXT) | instid1(VALU_DEP_2)
	v_add_co_u32 v4, vcc_lo, s36, v1
	v_add_co_ci_u32_e32 v5, vcc_lo, s37, v2, vcc_lo
	v_add_co_u32 v1, vcc_lo, s38, v1
	v_add_co_ci_u32_e32 v2, vcc_lo, s39, v2, vcc_lo
	global_load_b64 v[73:74], v[4:5], off
	global_load_b64 v[71:72], v[1:2], off
.LBB34_59:                              ;   in Loop: Header=BB34_55 Depth=1
	s_or_b32 exec_lo, exec_lo, s9
.LBB34_60:                              ;   in Loop: Header=BB34_55 Depth=1
	s_delay_alu instid0(SALU_CYCLE_1)
	s_or_b32 exec_lo, exec_lo, s8
	s_mov_b32 s31, s16
	s_mov_b32 s17, s16
	;; [unrolled: 1-line block ×15, first 2 shown]
	s_delay_alu instid0(SALU_CYCLE_1)
	v_dual_mov_b32 v35, s31 :: v_dual_mov_b32 v34, s30
	v_dual_mov_b32 v21, s17 :: v_dual_mov_b32 v20, s16
	;; [unrolled: 1-line block ×8, first 2 shown]
	v_add_co_u32 v1, vcc_lo, 0xffffff81, v109
	v_dual_mov_b32 v4, v20 :: v_dual_mov_b32 v5, v21
	v_add_co_ci_u32_e32 v2, vcc_lo, -1, v110, vcc_lo
	s_delay_alu instid0(VALU_DEP_4)
	v_dual_mov_b32 v6, v22 :: v_dual_mov_b32 v7, v23
	v_dual_mov_b32 v8, v24 :: v_dual_mov_b32 v9, v25
	;; [unrolled: 1-line block ×7, first 2 shown]
	s_mov_b32 s8, exec_lo
	v_cmpx_gt_i64_e64 s[4:5], v[1:2]
	s_cbranch_execz .LBB34_62
; %bb.61:                               ;   in Loop: Header=BB34_55 Depth=1
	v_add_co_u32 v1, vcc_lo, v77, v36
	v_add_co_ci_u32_e32 v2, vcc_lo, v78, v37, vcc_lo
	v_add_co_u32 v4, vcc_lo, v79, v36
	v_add_co_ci_u32_e32 v5, vcc_lo, v80, v37, vcc_lo
	global_load_b64 v[1:2], v[1:2], off
	v_mov_b32_e32 v16, v3
	v_mov_b32_e32 v6, v3
	global_load_b64 v[20:21], v[4:5], off
	v_mov_b32_e32 v4, v3
	v_mov_b32_e32 v5, v3
	;; [unrolled: 1-line block ×11, first 2 shown]
	s_waitcnt vmcnt(1)
	v_dual_mov_b32 v22, v3 :: v_dual_mov_b32 v19, v16
	v_mov_b32_e32 v23, v3
	v_dual_mov_b32 v24, v3 :: v_dual_mov_b32 v17, v14
	v_mov_b32_e32 v31, v3
	v_mov_b32_e32 v33, v3
	;; [unrolled: 1-line block ×4, first 2 shown]
	v_dual_mov_b32 v26, v3 :: v_dual_mov_b32 v15, v12
	v_mov_b32_e32 v14, v11
	v_dual_mov_b32 v28, v3 :: v_dual_mov_b32 v13, v10
	v_dual_mov_b32 v25, v3 :: v_dual_mov_b32 v12, v9
	;; [unrolled: 1-line block ×3, first 2 shown]
	v_mov_b32_e32 v10, v7
	v_dual_mov_b32 v32, v3 :: v_dual_mov_b32 v9, v6
	v_dual_mov_b32 v27, v3 :: v_dual_mov_b32 v8, v5
	;; [unrolled: 1-line block ×3, first 2 shown]
	v_mov_b32_e32 v6, v3
	v_mov_b32_e32 v35, v3
	;; [unrolled: 1-line block ×3, first 2 shown]
	v_dual_mov_b32 v29, v3 :: v_dual_mov_b32 v4, v1
.LBB34_62:                              ;   in Loop: Header=BB34_55 Depth=1
	s_or_b32 exec_lo, exec_lo, s8
	v_add_co_u32 v1, vcc_lo, 0xffffff82, v109
	v_add_co_ci_u32_e32 v2, vcc_lo, -1, v110, vcc_lo
	s_mov_b32 s8, exec_lo
	s_delay_alu instid0(VALU_DEP_1)
	v_cmpx_gt_i64_e64 s[4:5], v[1:2]
	s_cbranch_execz .LBB34_64
; %bb.63:                               ;   in Loop: Header=BB34_55 Depth=1
	v_add_co_u32 v1, vcc_lo, v105, v36
	v_add_co_ci_u32_e32 v2, vcc_lo, v106, v37, vcc_lo
	v_add_co_u32 v22, vcc_lo, v107, v36
	v_add_co_ci_u32_e32 v23, vcc_lo, v108, v37, vcc_lo
	global_load_b64 v[6:7], v[1:2], off
	global_load_b64 v[22:23], v[22:23], off
.LBB34_64:                              ;   in Loop: Header=BB34_55 Depth=1
	s_or_b32 exec_lo, exec_lo, s8
	v_add_co_u32 v1, vcc_lo, 0xffffff83, v109
	v_add_co_ci_u32_e32 v2, vcc_lo, -1, v110, vcc_lo
	s_mov_b32 s8, exec_lo
	s_delay_alu instid0(VALU_DEP_1)
	v_cmpx_gt_i64_e64 s[4:5], v[1:2]
	s_cbranch_execz .LBB34_66
; %bb.65:                               ;   in Loop: Header=BB34_55 Depth=1
	v_add_co_u32 v1, vcc_lo, v101, v36
	v_add_co_ci_u32_e32 v2, vcc_lo, v102, v37, vcc_lo
	v_add_co_u32 v24, vcc_lo, v103, v36
	v_add_co_ci_u32_e32 v25, vcc_lo, v104, v37, vcc_lo
	global_load_b64 v[8:9], v[1:2], off
	global_load_b64 v[24:25], v[24:25], off
.LBB34_66:                              ;   in Loop: Header=BB34_55 Depth=1
	;; [unrolled: 15-line block ×7, first 2 shown]
	s_or_b32 exec_lo, exec_lo, s8
	s_waitcnt vmcnt(1)
	ds_bpermute_b32 v1, v3, v73
	ds_bpermute_b32 v2, v3, v74
	s_waitcnt vmcnt(0)
	ds_bpermute_b32 v111, v3, v71
	ds_bpermute_b32 v112, v3, v72
	s_waitcnt lgkmcnt(2)
	v_add_f64 v[1:2], v[20:21], -v[1:2]
	ds_bpermute_b32 v20, v3, v73 offset:4
	ds_bpermute_b32 v21, v3, v74 offset:4
	s_waitcnt lgkmcnt(0)
	v_add_f64 v[20:21], v[22:23], -v[20:21]
	ds_bpermute_b32 v22, v3, v73 offset:8
	ds_bpermute_b32 v23, v3, v74 offset:8
	v_mul_f64 v[1:2], v[4:5], v[1:2]
	v_add_f64 v[4:5], v[51:52], v[4:5]
	s_waitcnt lgkmcnt(0)
	v_add_f64 v[22:23], v[24:25], -v[22:23]
	ds_bpermute_b32 v24, v3, v73 offset:12
	ds_bpermute_b32 v25, v3, v74 offset:12
	v_mul_f64 v[20:21], v[6:7], v[20:21]
	s_waitcnt lgkmcnt(0)
	v_add_f64 v[24:25], v[26:27], -v[24:25]
	v_fma_f64 v[1:2], v[1:2], v[111:112], v[49:50]
	ds_bpermute_b32 v111, v3, v71 offset:4
	ds_bpermute_b32 v112, v3, v72 offset:4
	v_add_f64 v[4:5], v[6:7], v[4:5]
	v_mul_f64 v[6:7], v[8:9], v[22:23]
	ds_bpermute_b32 v22, v3, v71 offset:8
	ds_bpermute_b32 v23, v3, v72 offset:8
	v_mul_f64 v[24:25], v[10:11], v[24:25]
	s_waitcnt lgkmcnt(2)
	v_fma_f64 v[1:2], v[20:21], v[111:112], v[1:2]
	ds_bpermute_b32 v20, v3, v73 offset:16
	ds_bpermute_b32 v21, v3, v74 offset:16
	v_add_f64 v[4:5], v[8:9], v[4:5]
	ds_bpermute_b32 v8, v3, v71 offset:12
	ds_bpermute_b32 v9, v3, v72 offset:12
	s_waitcnt lgkmcnt(2)
	v_add_f64 v[20:21], v[28:29], -v[20:21]
	v_fma_f64 v[1:2], v[6:7], v[22:23], v[1:2]
	ds_bpermute_b32 v6, v3, v73 offset:20
	ds_bpermute_b32 v7, v3, v74 offset:20
	v_add_f64 v[4:5], v[10:11], v[4:5]
	ds_bpermute_b32 v10, v3, v71 offset:16
	ds_bpermute_b32 v11, v3, v72 offset:16
	ds_bpermute_b32 v22, v3, v73 offset:28
	ds_bpermute_b32 v23, v3, v74 offset:28
	s_waitcnt lgkmcnt(4)
	v_add_f64 v[6:7], v[30:31], -v[6:7]
	v_mul_f64 v[20:21], v[12:13], v[20:21]
	v_fma_f64 v[1:2], v[24:25], v[8:9], v[1:2]
	ds_bpermute_b32 v8, v3, v73 offset:24
	ds_bpermute_b32 v9, v3, v74 offset:24
	v_add_f64 v[4:5], v[12:13], v[4:5]
	ds_bpermute_b32 v12, v3, v71 offset:20
	ds_bpermute_b32 v13, v3, v72 offset:20
	s_waitcnt lgkmcnt(2)
	v_add_f64 v[8:9], v[32:33], -v[8:9]
	v_mul_f64 v[6:7], v[14:15], v[6:7]
	v_fma_f64 v[1:2], v[20:21], v[10:11], v[1:2]
	v_add_f64 v[10:11], v[34:35], -v[22:23]
	v_add_f64 v[4:5], v[14:15], v[4:5]
	ds_bpermute_b32 v14, v3, v71 offset:28
	ds_bpermute_b32 v15, v3, v72 offset:28
	v_mul_f64 v[8:9], v[16:17], v[8:9]
	s_waitcnt lgkmcnt(2)
	v_fma_f64 v[6:7], v[6:7], v[12:13], v[1:2]
	v_mul_f64 v[10:11], v[18:19], v[10:11]
	ds_bpermute_b32 v12, v3, v71 offset:24
	ds_bpermute_b32 v13, v3, v72 offset:24
	v_add_f64 v[1:2], v[16:17], v[4:5]
	s_waitcnt lgkmcnt(0)
	v_fma_f64 v[6:7], v[8:9], v[12:13], v[6:7]
	v_mul_f64 v[4:5], v[10:11], v[14:15]
	s_branch .LBB34_54
.LBB34_77:                              ;   in Loop: Header=BB34_55 Depth=1
                                        ; implicit-def: $vgpr18_vgpr19
                                        ; implicit-def: $vgpr4_vgpr5
                                        ; implicit-def: $vgpr1_vgpr2
                                        ; implicit-def: $vgpr6_vgpr7
	s_cbranch_execz .LBB34_54
; %bb.78:                               ;   in Loop: Header=BB34_55 Depth=1
	s_load_b32 s8, s[34:35], 0x0
	s_waitcnt lgkmcnt(0)
	s_cmp_lt_u32 s14, s8
	s_cselect_b32 s8, 12, 18
	s_delay_alu instid0(SALU_CYCLE_1)
	s_add_u32 s8, s34, s8
	s_addc_u32 s9, s35, 0
	global_load_u16 v1, v3, s[8:9]
	s_mov_b32 s8, exec_lo
	s_waitcnt vmcnt(0)
	v_mad_u32_u24 v4, v75, v1, v48
	v_mov_b32_e32 v1, 0
	v_mov_b32_e32 v2, 0
	s_delay_alu instid0(VALU_DEP_1) | instskip(NEXT) | instid1(VALU_DEP_3)
	v_dual_mov_b32 v5, v2 :: v_dual_and_b32 v6, 31, v4
	v_mov_b32_e32 v4, v1
	s_delay_alu instid0(VALU_DEP_2)
	v_cmpx_gt_u32_e32 8, v6
	s_cbranch_execz .LBB34_53
; %bb.79:                               ;   in Loop: Header=BB34_55 Depth=1
	v_add_co_u32 v1, vcc_lo, v109, v6
	v_mov_b32_e32 v4, 0
	v_add_co_ci_u32_e32 v2, vcc_lo, 0, v110, vcc_lo
	v_mov_b32_e32 v5, 0
	s_delay_alu instid0(VALU_DEP_4) | instskip(NEXT) | instid1(VALU_DEP_3)
	v_add_co_u32 v6, vcc_lo, 0xffffff81, v1
	v_add_co_ci_u32_e32 v7, vcc_lo, -1, v2, vcc_lo
	s_delay_alu instid0(VALU_DEP_3) | instskip(SKIP_1) | instid1(VALU_DEP_2)
	v_dual_mov_b32 v1, v4 :: v_dual_mov_b32 v2, v5
	s_mov_b32 s9, exec_lo
	v_cmpx_gt_i64_e64 s[4:5], v[6:7]
	s_cbranch_execz .LBB34_52
; %bb.80:                               ;   in Loop: Header=BB34_55 Depth=1
	v_lshlrev_b64 v[1:2], 3, v[6:7]
	s_delay_alu instid0(VALU_DEP_1) | instskip(NEXT) | instid1(VALU_DEP_2)
	v_add_co_u32 v4, vcc_lo, s36, v1
	v_add_co_ci_u32_e32 v5, vcc_lo, s37, v2, vcc_lo
	v_add_co_u32 v1, vcc_lo, s38, v1
	v_add_co_ci_u32_e32 v2, vcc_lo, s39, v2, vcc_lo
	global_load_b64 v[4:5], v[4:5], off
	global_load_b64 v[1:2], v[1:2], off
	s_branch .LBB34_52
.LBB34_81:
	v_and_b32_e32 v1, 0x3ff, v0
	v_bfe_u32 v0, v0, 10, 10
	s_mov_b32 s15, 0
	s_mov_b32 s2, exec_lo
	s_delay_alu instid0(VALU_DEP_1) | instskip(NEXT) | instid1(VALU_DEP_1)
	v_mad_u32_u24 v2, 0x41, v0, v1
	v_sub_nc_u32_e32 v0, v2, v0
	v_lshl_add_u32 v2, v2, 3, 0
	ds_store_b64 v2, v[49:50]
	ds_store_b64 v2, v[51:52] offset:8320
	s_waitcnt lgkmcnt(0)
	s_barrier
	buffer_gl0_inv
	v_cmpx_gt_u32_e32 0x800, v0
	s_cbranch_execz .LBB34_91
; %bb.82:
	v_mbcnt_lo_u32_b32 v2, -1, 0
	v_lshrrev_b32_e32 v8, 5, v0
	s_load_b128 s[8:11], s[0:1], 0x30
	v_cmp_eq_u32_e64 s0, 0, v1
	s_lshl_b64 s[4:5], s[14:15], 6
	v_xor_b32_e32 v0, 8, v2
	v_xor_b32_e32 v4, 2, v2
	;; [unrolled: 1-line block ×3, first 2 shown]
                                        ; implicit-def: $vgpr6_vgpr7
	v_mov_b32_e32 v13, 0
	s_delay_alu instid0(VALU_DEP_4) | instskip(SKIP_3) | instid1(VALU_DEP_3)
	v_cmp_gt_i32_e32 vcc_lo, 32, v0
	v_and_b32_e32 v3, 31, v1
	v_xor_b32_e32 v1, 4, v2
	v_cndmask_b32_e32 v0, v2, v0, vcc_lo
	v_cmp_gt_u32_e64 s1, 16, v3
	s_delay_alu instid0(VALU_DEP_3) | instskip(NEXT) | instid1(VALU_DEP_3)
	v_cmp_gt_i32_e32 vcc_lo, 32, v1
	v_lshlrev_b32_e32 v9, 2, v0
	v_dual_cndmask_b32 v1, v2, v1 :: v_dual_lshlrev_b32 v0, 3, v8
	v_cmp_gt_i32_e32 vcc_lo, 32, v4
	s_waitcnt lgkmcnt(0)
	s_cmp_lg_u64 s[8:9], 0
	s_cselect_b32 s3, -1, 0
	s_cmp_lg_u64 s[10:11], 0
	v_cndmask_b32_e32 v4, v2, v4, vcc_lo
	v_cmp_gt_i32_e32 vcc_lo, 32, v5
	s_cselect_b32 s12, -1, 0
	s_lshl_b64 s[16:17], s[14:15], 9
	v_lshlrev_b32_e32 v10, 2, v1
	v_dual_cndmask_b32 v2, v2, v5 :: v_dual_lshlrev_b32 v11, 2, v4
	v_mad_u32_u24 v5, 0x41, v3, v8
	s_delay_alu instid0(VALU_DEP_2) | instskip(SKIP_1) | instid1(VALU_DEP_1)
	v_lshlrev_b32_e32 v12, 2, v2
	v_add_co_u32 v2, s2, s16, v0
	v_add_co_ci_u32_e64 v4, null, s17, 0, s2
	s_delay_alu instid0(VALU_DEP_4) | instskip(NEXT) | instid1(VALU_DEP_3)
	v_lshl_add_u32 v14, v5, 3, 0
	v_add_co_u32 v0, vcc_lo, s10, v2
	s_delay_alu instid0(VALU_DEP_3)
	v_add_co_ci_u32_e32 v1, vcc_lo, s11, v4, vcc_lo
	v_add_co_u32 v2, vcc_lo, s8, v2
	v_add_co_ci_u32_e32 v3, vcc_lo, s9, v4, vcc_lo
                                        ; implicit-def: $vgpr4_vgpr5
	s_branch .LBB34_84
.LBB34_83:                              ;   in Loop: Header=BB34_84 Depth=1
	s_or_b32 exec_lo, exec_lo, s2
	v_add_co_u32 v8, vcc_lo, v8, 32
	v_add_co_ci_u32_e32 v13, vcc_lo, 0, v13, vcc_lo
	v_add_co_u32 v0, vcc_lo, 0x100, v0
	s_delay_alu instid0(VALU_DEP_3) | instskip(SKIP_2) | instid1(VALU_DEP_3)
	v_subrev_nc_u32_e32 v15, 32, v8
	v_add_co_ci_u32_e32 v1, vcc_lo, 0, v1, vcc_lo
	v_add_co_u32 v2, s2, 0x100, v2
	v_cmp_lt_u32_e32 vcc_lo, 31, v15
	v_add_co_ci_u32_e64 v3, s2, 0, v3, s2
	v_add_nc_u32_e32 v14, 0x100, v14
	s_or_b32 s15, vcc_lo, s15
	s_delay_alu instid0(SALU_CYCLE_1)
	s_and_not1_b32 exec_lo, exec_lo, s15
	s_cbranch_execz .LBB34_91
.LBB34_84:                              ; =>This Inner Loop Header: Depth=1
	s_and_saveexec_b32 s2, s1
	s_cbranch_execz .LBB34_86
; %bb.85:                               ;   in Loop: Header=BB34_84 Depth=1
	ds_load_b64 v[4:5], v14
	ds_load_b64 v[6:7], v14 offset:8320
.LBB34_86:                              ;   in Loop: Header=BB34_84 Depth=1
	s_or_b32 exec_lo, exec_lo, s2
	s_waitcnt lgkmcnt(1)
	ds_bpermute_b32 v15, v9, v4
	ds_bpermute_b32 v16, v9, v5
	s_waitcnt lgkmcnt(2)
	ds_bpermute_b32 v17, v9, v6
	ds_bpermute_b32 v18, v9, v7
	s_waitcnt lgkmcnt(2)
	v_add_f64 v[4:5], v[4:5], v[15:16]
	s_waitcnt lgkmcnt(0)
	v_add_f64 v[6:7], v[6:7], v[17:18]
	ds_bpermute_b32 v15, v10, v4
	ds_bpermute_b32 v16, v10, v5
	ds_bpermute_b32 v17, v10, v6
	ds_bpermute_b32 v18, v10, v7
	s_waitcnt lgkmcnt(2)
	v_add_f64 v[4:5], v[4:5], v[15:16]
	s_waitcnt lgkmcnt(0)
	v_add_f64 v[6:7], v[6:7], v[17:18]
	ds_bpermute_b32 v15, v11, v4
	ds_bpermute_b32 v16, v11, v5
	ds_bpermute_b32 v17, v11, v6
	ds_bpermute_b32 v18, v11, v7
	s_waitcnt lgkmcnt(2)
	v_add_f64 v[4:5], v[4:5], v[15:16]
	s_waitcnt lgkmcnt(0)
	v_add_f64 v[6:7], v[6:7], v[17:18]
	ds_bpermute_b32 v15, v12, v4
	ds_bpermute_b32 v16, v12, v5
	ds_bpermute_b32 v17, v12, v6
	ds_bpermute_b32 v18, v12, v7
	s_waitcnt lgkmcnt(2)
	v_add_f64 v[4:5], v[4:5], v[15:16]
	v_add_co_u32 v15, vcc_lo, s4, v8
	s_waitcnt lgkmcnt(0)
	v_add_f64 v[6:7], v[6:7], v[17:18]
	v_add_co_ci_u32_e32 v16, vcc_lo, s5, v13, vcc_lo
	s_delay_alu instid0(VALU_DEP_1) | instskip(SKIP_1) | instid1(SALU_CYCLE_1)
	v_cmp_gt_i64_e32 vcc_lo, s[6:7], v[15:16]
	s_and_b32 s8, s0, vcc_lo
	s_and_saveexec_b32 s2, s8
	s_cbranch_execz .LBB34_83
; %bb.87:                               ;   in Loop: Header=BB34_84 Depth=1
	s_and_not1_b32 vcc_lo, exec_lo, s3
	s_cbranch_vccnz .LBB34_89
; %bb.88:                               ;   in Loop: Header=BB34_84 Depth=1
	global_store_b64 v[2:3], v[4:5], off
.LBB34_89:                              ;   in Loop: Header=BB34_84 Depth=1
	s_and_not1_b32 vcc_lo, exec_lo, s12
	s_cbranch_vccnz .LBB34_83
; %bb.90:                               ;   in Loop: Header=BB34_84 Depth=1
	global_store_b64 v[0:1], v[6:7], off
	s_branch .LBB34_83
.LBB34_91:
	s_nop 0
	s_sendmsg sendmsg(MSG_DEALLOC_VGPRS)
	s_endpgm
	.section	.rodata,"a",@progbits
	.p2align	6, 0x0
	.amdhsa_kernel _ZN2at6native12_GLOBAL__N_135GammaBetaBackwardCUDAKernelTemplateIddLj64ELj16ELj128ELb0ELb0ELb0EEEvllPKT_S5_PKT0_S8_PS3_S9_
		.amdhsa_group_segment_fixed_size 0
		.amdhsa_private_segment_fixed_size 0
		.amdhsa_kernarg_size 320
		.amdhsa_user_sgpr_count 14
		.amdhsa_user_sgpr_dispatch_ptr 0
		.amdhsa_user_sgpr_queue_ptr 0
		.amdhsa_user_sgpr_kernarg_segment_ptr 1
		.amdhsa_user_sgpr_dispatch_id 0
		.amdhsa_user_sgpr_private_segment_size 0
		.amdhsa_wavefront_size32 1
		.amdhsa_uses_dynamic_stack 0
		.amdhsa_enable_private_segment 0
		.amdhsa_system_sgpr_workgroup_id_x 1
		.amdhsa_system_sgpr_workgroup_id_y 1
		.amdhsa_system_sgpr_workgroup_id_z 0
		.amdhsa_system_sgpr_workgroup_info 0
		.amdhsa_system_vgpr_workitem_id 1
		.amdhsa_next_free_vgpr 113
		.amdhsa_next_free_sgpr 47
		.amdhsa_reserve_vcc 1
		.amdhsa_float_round_mode_32 0
		.amdhsa_float_round_mode_16_64 0
		.amdhsa_float_denorm_mode_32 3
		.amdhsa_float_denorm_mode_16_64 3
		.amdhsa_dx10_clamp 1
		.amdhsa_ieee_mode 1
		.amdhsa_fp16_overflow 0
		.amdhsa_workgroup_processor_mode 1
		.amdhsa_memory_ordered 1
		.amdhsa_forward_progress 0
		.amdhsa_shared_vgpr_count 0
		.amdhsa_exception_fp_ieee_invalid_op 0
		.amdhsa_exception_fp_denorm_src 0
		.amdhsa_exception_fp_ieee_div_zero 0
		.amdhsa_exception_fp_ieee_overflow 0
		.amdhsa_exception_fp_ieee_underflow 0
		.amdhsa_exception_fp_ieee_inexact 0
		.amdhsa_exception_int_div_zero 0
	.end_amdhsa_kernel
	.section	.text._ZN2at6native12_GLOBAL__N_135GammaBetaBackwardCUDAKernelTemplateIddLj64ELj16ELj128ELb0ELb0ELb0EEEvllPKT_S5_PKT0_S8_PS3_S9_,"axG",@progbits,_ZN2at6native12_GLOBAL__N_135GammaBetaBackwardCUDAKernelTemplateIddLj64ELj16ELj128ELb0ELb0ELb0EEEvllPKT_S5_PKT0_S8_PS3_S9_,comdat
.Lfunc_end34:
	.size	_ZN2at6native12_GLOBAL__N_135GammaBetaBackwardCUDAKernelTemplateIddLj64ELj16ELj128ELb0ELb0ELb0EEEvllPKT_S5_PKT0_S8_PS3_S9_, .Lfunc_end34-_ZN2at6native12_GLOBAL__N_135GammaBetaBackwardCUDAKernelTemplateIddLj64ELj16ELj128ELb0ELb0ELb0EEEvllPKT_S5_PKT0_S8_PS3_S9_
                                        ; -- End function
	.section	.AMDGPU.csdata,"",@progbits
; Kernel info:
; codeLenInByte = 9932
; NumSgprs: 49
; NumVgprs: 113
; ScratchSize: 0
; MemoryBound: 1
; FloatMode: 240
; IeeeMode: 1
; LDSByteSize: 0 bytes/workgroup (compile time only)
; SGPRBlocks: 6
; VGPRBlocks: 14
; NumSGPRsForWavesPerEU: 49
; NumVGPRsForWavesPerEU: 113
; Occupancy: 12
; WaveLimiterHint : 0
; COMPUTE_PGM_RSRC2:SCRATCH_EN: 0
; COMPUTE_PGM_RSRC2:USER_SGPR: 14
; COMPUTE_PGM_RSRC2:TRAP_HANDLER: 0
; COMPUTE_PGM_RSRC2:TGID_X_EN: 1
; COMPUTE_PGM_RSRC2:TGID_Y_EN: 1
; COMPUTE_PGM_RSRC2:TGID_Z_EN: 0
; COMPUTE_PGM_RSRC2:TIDIG_COMP_CNT: 1
	.section	.text._ZN2at6native12_GLOBAL__N_135GammaBetaBackwardCUDAKernelTemplateIddLj64ELj16ELj256ELb0ELb1ELb0EEEvllPKT_S5_PKT0_S8_PS3_S9_,"axG",@progbits,_ZN2at6native12_GLOBAL__N_135GammaBetaBackwardCUDAKernelTemplateIddLj64ELj16ELj256ELb0ELb1ELb0EEEvllPKT_S5_PKT0_S8_PS3_S9_,comdat
	.globl	_ZN2at6native12_GLOBAL__N_135GammaBetaBackwardCUDAKernelTemplateIddLj64ELj16ELj256ELb0ELb1ELb0EEEvllPKT_S5_PKT0_S8_PS3_S9_ ; -- Begin function _ZN2at6native12_GLOBAL__N_135GammaBetaBackwardCUDAKernelTemplateIddLj64ELj16ELj256ELb0ELb1ELb0EEEvllPKT_S5_PKT0_S8_PS3_S9_
	.p2align	8
	.type	_ZN2at6native12_GLOBAL__N_135GammaBetaBackwardCUDAKernelTemplateIddLj64ELj16ELj256ELb0ELb1ELb0EEEvllPKT_S5_PKT0_S8_PS3_S9_,@function
_ZN2at6native12_GLOBAL__N_135GammaBetaBackwardCUDAKernelTemplateIddLj64ELj16ELj256ELb0ELb1ELb0EEEvllPKT_S5_PKT0_S8_PS3_S9_: ; @_ZN2at6native12_GLOBAL__N_135GammaBetaBackwardCUDAKernelTemplateIddLj64ELj16ELj256ELb0ELb1ELb0EEEvllPKT_S5_PKT0_S8_PS3_S9_
; %bb.0:
	s_load_b128 s[20:23], s[0:1], 0x0
	s_mov_b32 s3, 0
	s_lshl_b32 s2, s15, 8
	v_bfe_u32 v17, v0, 10, 10
	s_waitcnt lgkmcnt(0)
	v_cmp_lt_i64_e64 s4, s[2:3], s[20:21]
	s_delay_alu instid0(VALU_DEP_1)
	s_and_b32 vcc_lo, exec_lo, s4
	s_cbranch_vccnz .LBB35_2
; %bb.1:
	v_bfe_u32 v1, v0, 10, 10
	s_mov_b64 s[4:5], 0
	s_mov_b32 s6, s3
	s_branch .LBB35_3
.LBB35_2:
	s_mov_b32 s6, -1
                                        ; implicit-def: $sgpr4_sgpr5
                                        ; implicit-def: $vgpr1
.LBB35_3:
	s_load_b128 s[16:19], s[0:1], 0x30
	v_dual_mov_b32 v15, s5 :: v_dual_and_b32 v16, 0x3ff, v0
	v_dual_mov_b32 v13, s5 :: v_dual_mov_b32 v12, s4
	v_mov_b32_e32 v14, s4
	s_and_not1_b32 vcc_lo, exec_lo, s6
	s_cbranch_vccnz .LBB35_11
; %bb.4:
	s_clause 0x2
	s_load_b32 s12, s[0:1], 0x4c
	s_load_b32 s15, s[0:1], 0x44
	s_load_b256 s[4:11], s[0:1], 0x10
	v_dual_mov_b32 v1, 0 :: v_dual_lshlrev_b32 v2, 4, v17
	v_lshl_add_u32 v0, s14, 6, v16
	v_dual_mov_b32 v18, 16 :: v_dual_mov_b32 v19, 4
	s_delay_alu instid0(VALU_DEP_3) | instskip(NEXT) | instid1(VALU_DEP_1)
	v_add_co_u32 v2, s0, v2, s2
	v_add_co_ci_u32_e64 v3, null, 0, 0, s0
	s_delay_alu instid0(VALU_DEP_4) | instskip(NEXT) | instid1(VALU_DEP_3)
	v_lshlrev_b64 v[10:11], 3, v[0:1]
	v_mul_lo_u32 v6, s23, v2
	v_mad_u64_u32 v[4:5], null, s22, v2, 0
	s_delay_alu instid0(VALU_DEP_4)
	v_mul_lo_u32 v8, s22, v3
	v_dual_mov_b32 v20, 8 :: v_dual_mov_b32 v21, 12
	v_dual_mov_b32 v22, 20 :: v_dual_mov_b32 v23, 24
	s_waitcnt lgkmcnt(0)
	s_and_b32 s0, s12, 0xffff
	s_lshl_b32 s12, s15, 8
	v_mad_u32_u24 v7, v17, s0, v16
	s_delay_alu instid0(VALU_DEP_4) | instskip(SKIP_2) | instid1(VALU_DEP_2)
	v_add3_u32 v5, v5, v8, v6
	s_mul_i32 s1, s23, s12
	s_mul_hi_u32 s15, s22, s12
	v_dual_mov_b32 v28, 44 :: v_dual_and_b32 v7, 31, v7
	s_delay_alu instid0(VALU_DEP_2) | instskip(SKIP_2) | instid1(VALU_DEP_4)
	v_lshlrev_b64 v[8:9], 3, v[4:5]
	v_dual_mov_b32 v24, 28 :: v_dual_mov_b32 v25, 32
	v_dual_mov_b32 v26, 36 :: v_dual_mov_b32 v27, 40
	v_add_co_u32 v2, vcc_lo, v2, v7
	v_cmp_gt_u32_e64 s0, 16, v7
	v_add_co_ci_u32_e32 v3, vcc_lo, 0, v3, vcc_lo
	v_mov_b32_e32 v6, 0
	v_mov_b32_e32 v7, 0
	v_add_co_u32 v0, vcc_lo, v8, v10
	s_delay_alu instid0(VALU_DEP_4)
	v_lshlrev_b64 v[4:5], 3, v[2:3]
	v_dual_mov_b32 v29, 48 :: v_dual_mov_b32 v30, 52
	v_dual_mov_b32 v31, 56 :: v_dual_mov_b32 v32, 60
	v_add_co_ci_u32_e32 v33, vcc_lo, v9, v11, vcc_lo
	v_dual_mov_b32 v15, v7 :: v_dual_mov_b32 v14, v6
	v_dual_mov_b32 v13, v7 :: v_dual_mov_b32 v12, v6
	s_mov_b32 s13, 0
	s_add_i32 s27, s15, s1
	s_mul_i32 s26, s22, s12
	s_lshl_b64 s[24:25], s[12:13], 3
	s_lshl_b64 s[26:27], s[26:27], 3
	;; [unrolled: 1-line block ×3, first 2 shown]
	s_branch .LBB35_7
.LBB35_5:                               ;   in Loop: Header=BB35_7 Depth=1
	s_or_b32 exec_lo, exec_lo, s13
.LBB35_6:                               ;   in Loop: Header=BB35_7 Depth=1
	s_delay_alu instid0(SALU_CYCLE_1)
	s_or_b32 exec_lo, exec_lo, s1
	v_add_co_u32 v34, vcc_lo, s6, v0
	v_add_co_ci_u32_e32 v35, vcc_lo, s7, v33, vcc_lo
	s_waitcnt vmcnt(1)
	ds_bpermute_b32 v68, v1, v10
	ds_bpermute_b32 v69, v1, v11
	s_waitcnt vmcnt(0)
	ds_bpermute_b32 v78, v1, v8
	global_load_b64 v[36:37], v[34:35], off
	v_add_co_u32 v34, vcc_lo, v34, s22
	v_add_co_ci_u32_e32 v35, vcc_lo, s23, v35, vcc_lo
	v_add_co_u32 v38, vcc_lo, s4, v0
	v_add_co_ci_u32_e32 v39, vcc_lo, s5, v33, vcc_lo
	global_load_b64 v[40:41], v[34:35], off
	global_load_b64 v[42:43], v[38:39], off
	v_add_co_u32 v34, vcc_lo, v34, s22
	v_add_co_ci_u32_e32 v35, vcc_lo, s23, v35, vcc_lo
	v_add_co_u32 v38, vcc_lo, v38, s22
	v_add_co_ci_u32_e32 v39, vcc_lo, s23, v39, vcc_lo
	global_load_b64 v[44:45], v[34:35], off
	;; [unrolled: 6-line block ×9, first 2 shown]
	global_load_b64 v[76:77], v[38:39], off
	v_add_co_u32 v34, vcc_lo, v34, s22
	v_add_co_ci_u32_e32 v35, vcc_lo, s23, v35, vcc_lo
	v_add_co_u32 v38, vcc_lo, v38, s22
	v_add_co_ci_u32_e32 v39, vcc_lo, s23, v39, vcc_lo
	ds_bpermute_b32 v79, v1, v9
	global_load_b64 v[80:81], v[34:35], off
	global_load_b64 v[82:83], v[38:39], off
	v_add_co_u32 v34, vcc_lo, v34, s22
	v_add_co_ci_u32_e32 v35, vcc_lo, s23, v35, vcc_lo
	v_add_co_u32 v38, vcc_lo, v38, s22
	v_add_co_ci_u32_e32 v39, vcc_lo, s23, v39, vcc_lo
	s_add_u32 s2, s2, s12
	s_addc_u32 s3, s3, 0
	s_delay_alu instid0(SALU_CYCLE_1)
	v_cmp_lt_i64_e64 s1, s[2:3], s[20:21]
	s_waitcnt vmcnt(20) lgkmcnt(2)
	v_add_f64 v[36:37], v[36:37], -v[68:69]
	ds_bpermute_b32 v68, v19, v10
	ds_bpermute_b32 v69, v19, v11
	s_waitcnt vmcnt(18)
	v_add_f64 v[12:13], v[12:13], v[42:43]
	s_waitcnt lgkmcnt(0)
	v_add_f64 v[40:41], v[40:41], -v[68:69]
	ds_bpermute_b32 v68, v20, v10
	ds_bpermute_b32 v69, v20, v11
	v_mul_f64 v[36:37], v[42:43], v[36:37]
	ds_bpermute_b32 v42, v19, v8
	ds_bpermute_b32 v43, v19, v9
	s_waitcnt vmcnt(17) lgkmcnt(2)
	v_add_f64 v[44:45], v[44:45], -v[68:69]
	s_waitcnt vmcnt(16)
	v_add_f64 v[12:13], v[12:13], v[46:47]
	v_mul_f64 v[40:41], v[46:47], v[40:41]
	v_fma_f64 v[14:15], v[36:37], v[78:79], v[14:15]
	ds_bpermute_b32 v36, v21, v10
	ds_bpermute_b32 v37, v21, v11
	global_load_b64 v[68:69], v[34:35], off
	global_load_b64 v[78:79], v[38:39], off
	v_add_co_u32 v34, vcc_lo, v34, s22
	s_waitcnt vmcnt(16)
	v_mul_f64 v[44:45], v[50:51], v[44:45]
	v_add_co_ci_u32_e32 v35, vcc_lo, s23, v35, vcc_lo
	v_add_co_u32 v38, vcc_lo, v38, s22
	v_add_co_ci_u32_e32 v39, vcc_lo, s23, v39, vcc_lo
	v_add_f64 v[12:13], v[12:13], v[50:51]
	s_waitcnt lgkmcnt(0)
	v_add_f64 v[36:37], v[48:49], -v[36:37]
	global_load_b64 v[46:47], v[34:35], off
	global_load_b64 v[48:49], v[38:39], off
	v_add_co_u32 v34, vcc_lo, v34, s22
	v_add_co_ci_u32_e32 v35, vcc_lo, s23, v35, vcc_lo
	v_add_co_u32 v38, vcc_lo, v38, s22
	v_add_co_ci_u32_e32 v39, vcc_lo, s23, v39, vcc_lo
	v_fma_f64 v[14:15], v[40:41], v[42:43], v[14:15]
	ds_bpermute_b32 v40, v18, v10
	ds_bpermute_b32 v41, v18, v11
	;; [unrolled: 1-line block ×4, first 2 shown]
	s_waitcnt vmcnt(16)
	v_add_f64 v[12:13], v[12:13], v[54:55]
	s_waitcnt lgkmcnt(2)
	v_add_f64 v[40:41], v[52:53], -v[40:41]
	v_mul_f64 v[36:37], v[54:55], v[36:37]
	global_load_b64 v[50:51], v[34:35], off
	global_load_b64 v[52:53], v[38:39], off
	v_add_co_u32 v34, vcc_lo, v34, s22
	v_add_co_ci_u32_e32 v35, vcc_lo, s23, v35, vcc_lo
	v_add_co_u32 v38, vcc_lo, v38, s22
	v_add_co_ci_u32_e32 v39, vcc_lo, s23, v39, vcc_lo
	s_waitcnt lgkmcnt(0)
	v_fma_f64 v[14:15], v[44:45], v[42:43], v[14:15]
	ds_bpermute_b32 v42, v22, v10
	ds_bpermute_b32 v43, v22, v11
	;; [unrolled: 1-line block ×4, first 2 shown]
	s_waitcnt vmcnt(16)
	v_add_f64 v[12:13], v[12:13], v[58:59]
	s_waitcnt lgkmcnt(2)
	v_add_f64 v[42:43], v[56:57], -v[42:43]
	v_mul_f64 v[40:41], v[58:59], v[40:41]
	global_load_b64 v[54:55], v[34:35], off
	global_load_b64 v[56:57], v[38:39], off
	v_add_co_u32 v34, vcc_lo, v34, s22
	v_add_co_ci_u32_e32 v35, vcc_lo, s23, v35, vcc_lo
	v_add_co_u32 v38, vcc_lo, v38, s22
	v_add_co_ci_u32_e32 v39, vcc_lo, s23, v39, vcc_lo
	global_load_b64 v[34:35], v[34:35], off
	global_load_b64 v[58:59], v[38:39], off
	v_add_co_u32 v38, vcc_lo, v38, s22
	s_waitcnt lgkmcnt(0)
	v_fma_f64 v[14:15], v[36:37], v[44:45], v[14:15]
	ds_bpermute_b32 v36, v23, v10
	ds_bpermute_b32 v37, v23, v11
	;; [unrolled: 1-line block ×4, first 2 shown]
	v_add_co_ci_u32_e32 v39, vcc_lo, s23, v39, vcc_lo
	v_add_co_u32 v4, vcc_lo, v4, s24
	v_add_co_ci_u32_e32 v5, vcc_lo, s25, v5, vcc_lo
	global_load_b64 v[38:39], v[38:39], off
	v_add_co_u32 v2, vcc_lo, v2, s12
	s_waitcnt vmcnt(19)
	v_add_f64 v[12:13], v[12:13], v[62:63]
	v_add_co_ci_u32_e32 v3, vcc_lo, 0, v3, vcc_lo
	v_add_co_u32 v0, vcc_lo, v0, s26
	v_add_co_ci_u32_e32 v33, vcc_lo, s27, v33, vcc_lo
	s_and_b32 vcc_lo, exec_lo, s1
	s_waitcnt lgkmcnt(2)
	v_add_f64 v[36:37], v[60:61], -v[36:37]
	v_mul_f64 v[42:43], v[62:63], v[42:43]
	s_waitcnt lgkmcnt(0)
	v_fma_f64 v[14:15], v[40:41], v[44:45], v[14:15]
	ds_bpermute_b32 v40, v24, v10
	ds_bpermute_b32 v41, v24, v11
	ds_bpermute_b32 v44, v22, v8
	ds_bpermute_b32 v45, v22, v9
	s_waitcnt vmcnt(17)
	v_add_f64 v[12:13], v[12:13], v[66:67]
	s_waitcnt lgkmcnt(2)
	v_add_f64 v[40:41], v[64:65], -v[40:41]
	v_mul_f64 v[36:37], v[66:67], v[36:37]
	s_waitcnt lgkmcnt(0)
	v_fma_f64 v[14:15], v[42:43], v[44:45], v[14:15]
	ds_bpermute_b32 v42, v25, v10
	ds_bpermute_b32 v43, v25, v11
	ds_bpermute_b32 v44, v23, v8
	ds_bpermute_b32 v45, v23, v9
	s_waitcnt vmcnt(15)
	v_add_f64 v[12:13], v[12:13], v[72:73]
	;; [unrolled: 11-line block ×7, first 2 shown]
	s_waitcnt lgkmcnt(2)
	v_add_f64 v[40:41], v[50:51], -v[40:41]
	v_mul_f64 v[36:37], v[52:53], v[36:37]
	s_waitcnt lgkmcnt(0)
	v_fma_f64 v[14:15], v[42:43], v[44:45], v[14:15]
	ds_bpermute_b32 v42, v31, v10
	ds_bpermute_b32 v43, v31, v11
	;; [unrolled: 1-line block ×6, first 2 shown]
	s_waitcnt vmcnt(3)
	v_add_f64 v[12:13], v[12:13], v[56:57]
	s_waitcnt lgkmcnt(4)
	v_add_f64 v[42:43], v[54:55], -v[42:43]
	v_mul_f64 v[40:41], v[56:57], v[40:41]
	s_waitcnt vmcnt(2) lgkmcnt(0)
	v_add_f64 v[10:11], v[34:35], -v[10:11]
	v_fma_f64 v[14:15], v[36:37], v[44:45], v[14:15]
	ds_bpermute_b32 v36, v30, v8
	ds_bpermute_b32 v37, v30, v9
	s_waitcnt vmcnt(1)
	v_add_f64 v[12:13], v[12:13], v[58:59]
	v_mul_f64 v[34:35], v[58:59], v[42:43]
	s_waitcnt vmcnt(0)
	v_mul_f64 v[10:11], v[38:39], v[10:11]
	s_waitcnt lgkmcnt(0)
	v_fma_f64 v[14:15], v[40:41], v[36:37], v[14:15]
	ds_bpermute_b32 v36, v31, v8
	ds_bpermute_b32 v37, v31, v9
	;; [unrolled: 1-line block ×4, first 2 shown]
	v_add_f64 v[12:13], v[12:13], v[38:39]
	s_waitcnt lgkmcnt(2)
	v_fma_f64 v[14:15], v[34:35], v[36:37], v[14:15]
	s_waitcnt lgkmcnt(0)
	s_delay_alu instid0(VALU_DEP_1)
	v_fma_f64 v[14:15], v[10:11], v[8:9], v[14:15]
	s_cbranch_vccz .LBB35_10
.LBB35_7:                               ; =>This Inner Loop Header: Depth=1
	v_dual_mov_b32 v9, v7 :: v_dual_mov_b32 v8, v6
	v_dual_mov_b32 v11, v7 :: v_dual_mov_b32 v10, v6
	s_and_saveexec_b32 s1, s0
	s_cbranch_execz .LBB35_6
; %bb.8:                                ;   in Loop: Header=BB35_7 Depth=1
	v_mov_b32_e32 v10, 0
	v_mov_b32_e32 v11, 0
	s_delay_alu instid0(VALU_DEP_2) | instskip(SKIP_1) | instid1(VALU_DEP_2)
	v_mov_b32_e32 v8, v10
	s_mov_b32 s13, exec_lo
	v_mov_b32_e32 v9, v11
	v_cmpx_gt_i64_e64 s[20:21], v[2:3]
	s_cbranch_execz .LBB35_5
; %bb.9:                                ;   in Loop: Header=BB35_7 Depth=1
	v_add_co_u32 v8, vcc_lo, s8, v4
	v_add_co_ci_u32_e32 v9, vcc_lo, s9, v5, vcc_lo
	v_add_co_u32 v34, vcc_lo, s10, v4
	v_add_co_ci_u32_e32 v35, vcc_lo, s11, v5, vcc_lo
	global_load_b64 v[10:11], v[8:9], off
	global_load_b64 v[8:9], v[34:35], off
	s_branch .LBB35_5
.LBB35_10:
	v_mov_b32_e32 v1, v17
.LBB35_11:
	s_delay_alu instid0(VALU_DEP_1) | instskip(SKIP_2) | instid1(VALU_DEP_1)
	v_mad_u32_u24 v2, 0x41, v1, v16
	s_mov_b32 s15, 0
	s_mov_b32 s0, exec_lo
	v_sub_nc_u32_e32 v0, v2, v1
	v_lshl_add_u32 v1, v2, 3, 0
	ds_store_b64 v1, v[14:15]
	ds_store_b64 v1, v[12:13] offset:8320
	s_waitcnt lgkmcnt(0)
	s_barrier
	buffer_gl0_inv
	v_cmpx_gt_u32_e32 0x800, v0
	s_cbranch_execz .LBB35_21
; %bb.12:
	v_mbcnt_lo_u32_b32 v1, -1, 0
	v_lshrrev_b32_e32 v3, 5, v0
	s_cmp_lg_u64 s[16:17], 0
	v_cmp_eq_u32_e64 s1, 0, v16
	s_cselect_b32 s2, -1, 0
	v_xor_b32_e32 v0, 8, v1
	v_xor_b32_e32 v4, 4, v1
	;; [unrolled: 1-line block ×4, first 2 shown]
	s_cmp_lg_u64 s[18:19], 0
	v_cmp_gt_i32_e32 vcc_lo, 32, v0
	s_cselect_b32 s3, -1, 0
	s_lshl_b64 s[4:5], s[14:15], 9
	v_subrev_nc_u32_e32 v12, 32, v3
	v_cndmask_b32_e32 v0, v1, v0, vcc_lo
	v_cmp_gt_i32_e32 vcc_lo, 32, v4
	v_cndmask_b32_e32 v4, v1, v4, vcc_lo
	v_cmp_gt_i32_e32 vcc_lo, 32, v5
	v_and_b32_e32 v2, 31, v16
	s_delay_alu instid0(VALU_DEP_3) | instskip(SKIP_2) | instid1(VALU_DEP_4)
	v_lshlrev_b32_e32 v9, 2, v4
	v_cndmask_b32_e32 v5, v1, v5, vcc_lo
	v_cmp_gt_i32_e32 vcc_lo, 32, v6
	v_cmp_gt_u32_e64 s0, 16, v2
	s_delay_alu instid0(VALU_DEP_3) | instskip(SKIP_1) | instid1(VALU_DEP_2)
	v_dual_cndmask_b32 v1, v1, v6 :: v_dual_lshlrev_b32 v10, 2, v5
	v_mad_u32_u24 v6, 0x41, v2, v3
	v_lshlrev_b32_e32 v11, 2, v1
	v_lshlrev_b32_e32 v8, 2, v0
	;; [unrolled: 1-line block ×3, first 2 shown]
	s_delay_alu instid0(VALU_DEP_4) | instskip(NEXT) | instid1(VALU_DEP_2)
	v_lshl_add_u32 v13, v6, 3, 0
                                        ; implicit-def: $vgpr6_vgpr7
	v_add_co_u32 v4, s4, s4, v0
	s_delay_alu instid0(VALU_DEP_1) | instskip(NEXT) | instid1(VALU_DEP_2)
	v_add_co_ci_u32_e64 v5, null, s5, 0, s4
	v_add_co_u32 v0, vcc_lo, s18, v4
	s_delay_alu instid0(VALU_DEP_2)
	v_add_co_ci_u32_e32 v1, vcc_lo, s19, v5, vcc_lo
	v_add_co_u32 v2, vcc_lo, s16, v4
	v_add_co_ci_u32_e32 v3, vcc_lo, s17, v5, vcc_lo
                                        ; implicit-def: $vgpr4_vgpr5
	s_branch .LBB35_14
.LBB35_13:                              ;   in Loop: Header=BB35_14 Depth=1
	s_or_b32 exec_lo, exec_lo, s4
	v_add_co_u32 v0, vcc_lo, 0x100, v0
	v_add_co_u32 v12, s4, v12, 32
	v_add_co_ci_u32_e32 v1, vcc_lo, 0, v1, vcc_lo
	v_add_co_u32 v2, vcc_lo, 0x100, v2
	s_xor_b32 s4, s4, -1
	v_add_co_ci_u32_e32 v3, vcc_lo, 0, v3, vcc_lo
	v_add_nc_u32_e32 v13, 0x100, v13
	s_and_b32 s4, exec_lo, s4
	s_delay_alu instid0(SALU_CYCLE_1) | instskip(NEXT) | instid1(SALU_CYCLE_1)
	s_or_b32 s15, s4, s15
	s_and_not1_b32 exec_lo, exec_lo, s15
	s_cbranch_execz .LBB35_21
.LBB35_14:                              ; =>This Inner Loop Header: Depth=1
	s_and_saveexec_b32 s4, s0
	s_cbranch_execz .LBB35_16
; %bb.15:                               ;   in Loop: Header=BB35_14 Depth=1
	ds_load_b64 v[4:5], v13
	ds_load_b64 v[6:7], v13 offset:8320
.LBB35_16:                              ;   in Loop: Header=BB35_14 Depth=1
	s_or_b32 exec_lo, exec_lo, s4
	s_waitcnt lgkmcnt(1)
	ds_bpermute_b32 v14, v8, v4
	ds_bpermute_b32 v15, v8, v5
	s_waitcnt lgkmcnt(2)
	ds_bpermute_b32 v16, v8, v6
	ds_bpermute_b32 v17, v8, v7
	s_waitcnt lgkmcnt(2)
	v_add_f64 v[4:5], v[4:5], v[14:15]
	s_waitcnt lgkmcnt(0)
	v_add_f64 v[6:7], v[6:7], v[16:17]
	ds_bpermute_b32 v14, v9, v4
	ds_bpermute_b32 v15, v9, v5
	ds_bpermute_b32 v16, v9, v6
	ds_bpermute_b32 v17, v9, v7
	s_waitcnt lgkmcnt(2)
	v_add_f64 v[4:5], v[4:5], v[14:15]
	s_waitcnt lgkmcnt(0)
	v_add_f64 v[6:7], v[6:7], v[16:17]
	ds_bpermute_b32 v14, v10, v4
	ds_bpermute_b32 v15, v10, v5
	;; [unrolled: 8-line block ×3, first 2 shown]
	ds_bpermute_b32 v16, v11, v6
	ds_bpermute_b32 v17, v11, v7
	s_waitcnt lgkmcnt(2)
	v_add_f64 v[4:5], v[4:5], v[14:15]
	s_waitcnt lgkmcnt(0)
	v_add_f64 v[6:7], v[6:7], v[16:17]
	s_and_saveexec_b32 s4, s1
	s_cbranch_execz .LBB35_13
; %bb.17:                               ;   in Loop: Header=BB35_14 Depth=1
	s_and_not1_b32 vcc_lo, exec_lo, s2
	s_cbranch_vccnz .LBB35_19
; %bb.18:                               ;   in Loop: Header=BB35_14 Depth=1
	global_store_b64 v[2:3], v[4:5], off
.LBB35_19:                              ;   in Loop: Header=BB35_14 Depth=1
	s_and_not1_b32 vcc_lo, exec_lo, s3
	s_cbranch_vccnz .LBB35_13
; %bb.20:                               ;   in Loop: Header=BB35_14 Depth=1
	global_store_b64 v[0:1], v[6:7], off
	s_branch .LBB35_13
.LBB35_21:
	s_nop 0
	s_sendmsg sendmsg(MSG_DEALLOC_VGPRS)
	s_endpgm
	.section	.rodata,"a",@progbits
	.p2align	6, 0x0
	.amdhsa_kernel _ZN2at6native12_GLOBAL__N_135GammaBetaBackwardCUDAKernelTemplateIddLj64ELj16ELj256ELb0ELb1ELb0EEEvllPKT_S5_PKT0_S8_PS3_S9_
		.amdhsa_group_segment_fixed_size 0
		.amdhsa_private_segment_fixed_size 0
		.amdhsa_kernarg_size 320
		.amdhsa_user_sgpr_count 14
		.amdhsa_user_sgpr_dispatch_ptr 0
		.amdhsa_user_sgpr_queue_ptr 0
		.amdhsa_user_sgpr_kernarg_segment_ptr 1
		.amdhsa_user_sgpr_dispatch_id 0
		.amdhsa_user_sgpr_private_segment_size 0
		.amdhsa_wavefront_size32 1
		.amdhsa_uses_dynamic_stack 0
		.amdhsa_enable_private_segment 0
		.amdhsa_system_sgpr_workgroup_id_x 1
		.amdhsa_system_sgpr_workgroup_id_y 1
		.amdhsa_system_sgpr_workgroup_id_z 0
		.amdhsa_system_sgpr_workgroup_info 0
		.amdhsa_system_vgpr_workitem_id 1
		.amdhsa_next_free_vgpr 84
		.amdhsa_next_free_sgpr 28
		.amdhsa_reserve_vcc 1
		.amdhsa_float_round_mode_32 0
		.amdhsa_float_round_mode_16_64 0
		.amdhsa_float_denorm_mode_32 3
		.amdhsa_float_denorm_mode_16_64 3
		.amdhsa_dx10_clamp 1
		.amdhsa_ieee_mode 1
		.amdhsa_fp16_overflow 0
		.amdhsa_workgroup_processor_mode 1
		.amdhsa_memory_ordered 1
		.amdhsa_forward_progress 0
		.amdhsa_shared_vgpr_count 0
		.amdhsa_exception_fp_ieee_invalid_op 0
		.amdhsa_exception_fp_denorm_src 0
		.amdhsa_exception_fp_ieee_div_zero 0
		.amdhsa_exception_fp_ieee_overflow 0
		.amdhsa_exception_fp_ieee_underflow 0
		.amdhsa_exception_fp_ieee_inexact 0
		.amdhsa_exception_int_div_zero 0
	.end_amdhsa_kernel
	.section	.text._ZN2at6native12_GLOBAL__N_135GammaBetaBackwardCUDAKernelTemplateIddLj64ELj16ELj256ELb0ELb1ELb0EEEvllPKT_S5_PKT0_S8_PS3_S9_,"axG",@progbits,_ZN2at6native12_GLOBAL__N_135GammaBetaBackwardCUDAKernelTemplateIddLj64ELj16ELj256ELb0ELb1ELb0EEEvllPKT_S5_PKT0_S8_PS3_S9_,comdat
.Lfunc_end35:
	.size	_ZN2at6native12_GLOBAL__N_135GammaBetaBackwardCUDAKernelTemplateIddLj64ELj16ELj256ELb0ELb1ELb0EEEvllPKT_S5_PKT0_S8_PS3_S9_, .Lfunc_end35-_ZN2at6native12_GLOBAL__N_135GammaBetaBackwardCUDAKernelTemplateIddLj64ELj16ELj256ELb0ELb1ELb0EEEvllPKT_S5_PKT0_S8_PS3_S9_
                                        ; -- End function
	.section	.AMDGPU.csdata,"",@progbits
; Kernel info:
; codeLenInByte = 3152
; NumSgprs: 30
; NumVgprs: 84
; ScratchSize: 0
; MemoryBound: 0
; FloatMode: 240
; IeeeMode: 1
; LDSByteSize: 0 bytes/workgroup (compile time only)
; SGPRBlocks: 3
; VGPRBlocks: 10
; NumSGPRsForWavesPerEU: 30
; NumVGPRsForWavesPerEU: 84
; Occupancy: 16
; WaveLimiterHint : 0
; COMPUTE_PGM_RSRC2:SCRATCH_EN: 0
; COMPUTE_PGM_RSRC2:USER_SGPR: 14
; COMPUTE_PGM_RSRC2:TRAP_HANDLER: 0
; COMPUTE_PGM_RSRC2:TGID_X_EN: 1
; COMPUTE_PGM_RSRC2:TGID_Y_EN: 1
; COMPUTE_PGM_RSRC2:TGID_Z_EN: 0
; COMPUTE_PGM_RSRC2:TIDIG_COMP_CNT: 1
	.section	.text._ZN2at6native12_GLOBAL__N_135GammaBetaBackwardCUDAKernelTemplateIddLj64ELj16ELj256ELb0ELb0ELb0EEEvllPKT_S5_PKT0_S8_PS3_S9_,"axG",@progbits,_ZN2at6native12_GLOBAL__N_135GammaBetaBackwardCUDAKernelTemplateIddLj64ELj16ELj256ELb0ELb0ELb0EEEvllPKT_S5_PKT0_S8_PS3_S9_,comdat
	.globl	_ZN2at6native12_GLOBAL__N_135GammaBetaBackwardCUDAKernelTemplateIddLj64ELj16ELj256ELb0ELb0ELb0EEEvllPKT_S5_PKT0_S8_PS3_S9_ ; -- Begin function _ZN2at6native12_GLOBAL__N_135GammaBetaBackwardCUDAKernelTemplateIddLj64ELj16ELj256ELb0ELb0ELb0EEEvllPKT_S5_PKT0_S8_PS3_S9_
	.p2align	8
	.type	_ZN2at6native12_GLOBAL__N_135GammaBetaBackwardCUDAKernelTemplateIddLj64ELj16ELj256ELb0ELb0ELb0EEEvllPKT_S5_PKT0_S8_PS3_S9_,@function
_ZN2at6native12_GLOBAL__N_135GammaBetaBackwardCUDAKernelTemplateIddLj64ELj16ELj256ELb0ELb0ELb0EEEvllPKT_S5_PKT0_S8_PS3_S9_: ; @_ZN2at6native12_GLOBAL__N_135GammaBetaBackwardCUDAKernelTemplateIddLj64ELj16ELj256ELb0ELb0ELb0EEEvllPKT_S5_PKT0_S8_PS3_S9_
; %bb.0:
	s_clause 0x1
	s_load_b256 s[4:11], s[0:1], 0x0
	s_load_b128 s[16:19], s[0:1], 0x20
	s_lshl_b32 s28, s14, 6
	s_mov_b32 s13, 0
	s_or_b32 s12, s28, 63
	v_mov_b32_e32 v144, v0
	s_waitcnt lgkmcnt(0)
	v_cmp_ge_i64_e64 s2, s[12:13], s[6:7]
	s_lshl_b32 s12, s15, 8
	s_delay_alu instid0(SALU_CYCLE_1) | instskip(NEXT) | instid1(VALU_DEP_2)
	v_cmp_lt_i64_e64 s15, s[12:13], s[4:5]
	s_and_b32 vcc_lo, exec_lo, s2
	s_delay_alu instid0(VALU_DEP_1) | instskip(NEXT) | instid1(VALU_DEP_1)
	v_cndmask_b32_e64 v0, 0, 1, s15
	v_cmp_ne_u32_e64 s2, 1, v0
	s_cbranch_vccz .LBB36_80
; %bb.1:
	v_mov_b32_e32 v147, 0
	v_mov_b32_e32 v148, 0
	s_delay_alu instid0(VALU_DEP_2) | instskip(SKIP_1) | instid1(VALU_DEP_2)
	v_mov_b32_e32 v145, v147
	s_and_b32 vcc_lo, exec_lo, s2
	v_mov_b32_e32 v146, v148
	s_cbranch_vccnz .LBB36_81
; %bb.2:
	v_bfe_u32 v76, v144, 10, 10
	v_dual_mov_b32 v145, 0 :: v_dual_and_b32 v78, 0x3ff, v144
	v_mov_b32_e32 v3, 0
	s_load_b32 s3, s[0:1], 0x44
	s_delay_alu instid0(VALU_DEP_3) | instskip(SKIP_3) | instid1(VALU_DEP_1)
	v_dual_mov_b32 v146, 0 :: v_dual_lshlrev_b32 v77, 4, v76
	s_add_u32 s20, s0, 64
	s_addc_u32 s21, s1, 0
	s_mov_b32 s36, 0
	v_add_co_u32 v8, s2, v77, s12
	s_delay_alu instid0(VALU_DEP_1) | instskip(SKIP_1) | instid1(VALU_DEP_3)
	v_add_co_ci_u32_e64 v9, null, 0, 0, s2
	v_mov_b32_e32 v148, v146
	v_add_co_u32 v2, vcc_lo, v8, 15
	s_delay_alu instid0(VALU_DEP_3) | instskip(SKIP_1) | instid1(VALU_DEP_3)
	v_add_co_ci_u32_e32 v0, vcc_lo, 0, v9, vcc_lo
	v_add_co_u32 v6, vcc_lo, v8, 14
	v_mul_lo_u32 v4, s7, v2
	s_delay_alu instid0(VALU_DEP_3)
	v_mul_lo_u32 v5, s6, v0
	v_mad_u64_u32 v[0:1], null, s6, v2, 0
	v_dual_mov_b32 v147, v145 :: v_dual_add_nc_u32 v2, s28, v78
	s_waitcnt lgkmcnt(0)
	s_lshl_b32 s29, s3, 8
	s_mov_b64 s[26:27], s[12:13]
	s_mul_i32 s3, s7, s29
	v_cmp_gt_i64_e64 s2, s[6:7], v[2:3]
	s_delay_alu instid0(VALU_DEP_3) | instskip(SKIP_3) | instid1(VALU_DEP_4)
	v_add3_u32 v1, v1, v5, v4
	v_add_co_ci_u32_e32 v4, vcc_lo, 0, v9, vcc_lo
	v_lshlrev_b64 v[40:41], 3, v[2:3]
	v_mul_lo_u32 v2, s7, v6
	v_lshlrev_b64 v[0:1], 3, v[0:1]
	s_delay_alu instid0(VALU_DEP_4) | instskip(SKIP_2) | instid1(VALU_DEP_3)
	v_mul_lo_u32 v10, s6, v4
	v_mad_u64_u32 v[4:5], null, s6, v6, 0
	s_mul_hi_u32 s22, s6, s29
	v_add_co_u32 v79, vcc_lo, s8, v0
	s_delay_alu instid0(VALU_DEP_4) | instskip(SKIP_3) | instid1(VALU_DEP_3)
	v_add_co_ci_u32_e32 v80, vcc_lo, s9, v1, vcc_lo
	v_add_co_u32 v11, vcc_lo, v8, 13
	v_add_co_ci_u32_e32 v7, vcc_lo, 0, v9, vcc_lo
	v_add3_u32 v5, v5, v10, v2
	v_mul_lo_u32 v12, s7, v11
	v_add_co_u32 v81, vcc_lo, s10, v0
	s_delay_alu instid0(VALU_DEP_4)
	v_mul_lo_u32 v13, s6, v7
	v_mad_u64_u32 v[6:7], null, s6, v11, 0
	v_add_co_ci_u32_e32 v82, vcc_lo, s11, v1, vcc_lo
	v_lshlrev_b64 v[0:1], 3, v[4:5]
	v_add_co_u32 v2, vcc_lo, v8, 12
	v_add_co_ci_u32_e32 v10, vcc_lo, 0, v9, vcc_lo
	v_add3_u32 v7, v7, v13, v12
	s_delay_alu instid0(VALU_DEP_4) | instskip(SKIP_1) | instid1(VALU_DEP_3)
	v_add_co_u32 v83, vcc_lo, s8, v0
	v_add_co_ci_u32_e32 v84, vcc_lo, s9, v1, vcc_lo
	v_lshlrev_b64 v[4:5], 3, v[6:7]
	v_add_co_u32 v85, vcc_lo, s10, v0
	v_mul_lo_u32 v11, s7, v2
	v_mul_lo_u32 v10, s6, v10
	v_mad_u64_u32 v[6:7], null, s6, v2, 0
	v_add_co_ci_u32_e32 v86, vcc_lo, s11, v1, vcc_lo
	v_add_co_u32 v87, vcc_lo, s8, v4
	v_add_co_ci_u32_e32 v88, vcc_lo, s9, v5, vcc_lo
	v_add_co_u32 v2, vcc_lo, v8, 11
	s_add_i32 s23, s22, s3
	v_add_co_u32 v89, s3, s10, v4
	v_add_co_ci_u32_e32 v4, vcc_lo, 0, v9, vcc_lo
	v_add3_u32 v7, v7, v10, v11
	v_add_co_u32 v11, vcc_lo, v8, 10
	v_add_co_ci_u32_e64 v90, s3, s11, v5, s3
	v_mul_lo_u32 v10, s7, v2
	v_mul_lo_u32 v12, s6, v4
	v_mad_u64_u32 v[4:5], null, s6, v2, 0
	v_lshlrev_b64 v[0:1], 3, v[6:7]
	v_add_co_ci_u32_e32 v6, vcc_lo, 0, v9, vcc_lo
	v_mul_lo_u32 v2, s7, v11
	s_mul_i32 s22, s6, s29
	s_delay_alu instid0(VALU_DEP_2)
	v_mul_lo_u32 v13, s6, v6
	v_mad_u64_u32 v[6:7], null, s6, v11, 0
	v_add_co_u32 v91, vcc_lo, s8, v0
	v_add3_u32 v5, v5, v12, v10
	v_add_co_ci_u32_e32 v92, vcc_lo, s9, v1, vcc_lo
	v_add_co_u32 v93, vcc_lo, s10, v0
	v_add_co_ci_u32_e32 v94, vcc_lo, s11, v1, vcc_lo
	s_delay_alu instid0(VALU_DEP_4) | instskip(SKIP_3) | instid1(VALU_DEP_4)
	v_lshlrev_b64 v[0:1], 3, v[4:5]
	v_add3_u32 v7, v7, v13, v2
	v_add_co_u32 v2, vcc_lo, v8, 9
	v_add_co_ci_u32_e32 v10, vcc_lo, 0, v9, vcc_lo
	v_add_co_u32 v95, vcc_lo, s8, v0
	s_delay_alu instid0(VALU_DEP_4)
	v_lshlrev_b64 v[4:5], 3, v[6:7]
	v_add_co_ci_u32_e32 v96, vcc_lo, s9, v1, vcc_lo
	v_add_co_u32 v97, vcc_lo, s10, v0
	v_mul_lo_u32 v11, s7, v2
	v_mul_lo_u32 v10, s6, v10
	v_mad_u64_u32 v[6:7], null, s6, v2, 0
	v_add_co_ci_u32_e32 v98, vcc_lo, s11, v1, vcc_lo
	v_add_co_u32 v99, vcc_lo, s8, v4
	v_add_co_ci_u32_e32 v100, vcc_lo, s9, v5, vcc_lo
	v_add_co_u32 v2, vcc_lo, v8, 8
	v_add_co_u32 v101, s3, s10, v4
	v_add_co_ci_u32_e32 v4, vcc_lo, 0, v9, vcc_lo
	v_add3_u32 v7, v7, v10, v11
	v_add_co_u32 v11, vcc_lo, v8, 7
	v_add_co_ci_u32_e64 v102, s3, s11, v5, s3
	v_mul_lo_u32 v10, s7, v2
	v_mul_lo_u32 v12, s6, v4
	v_mad_u64_u32 v[4:5], null, s6, v2, 0
	v_lshlrev_b64 v[0:1], 3, v[6:7]
	v_add_co_ci_u32_e32 v6, vcc_lo, 0, v9, vcc_lo
	v_mul_lo_u32 v2, s7, v11
	s_lshl_b64 s[22:23], s[22:23], 3
	s_add_u32 s24, s12, 0xff
	s_delay_alu instid0(VALU_DEP_2)
	v_mul_lo_u32 v13, s6, v6
	v_mad_u64_u32 v[6:7], null, s6, v11, 0
	v_add_co_u32 v103, vcc_lo, s8, v0
	v_add3_u32 v5, v5, v12, v10
	v_add_co_ci_u32_e32 v104, vcc_lo, s9, v1, vcc_lo
	v_add_co_u32 v105, vcc_lo, s10, v0
	v_add_co_ci_u32_e32 v106, vcc_lo, s11, v1, vcc_lo
	s_delay_alu instid0(VALU_DEP_4) | instskip(SKIP_3) | instid1(VALU_DEP_4)
	v_lshlrev_b64 v[0:1], 3, v[4:5]
	v_add3_u32 v7, v7, v13, v2
	v_add_co_u32 v2, vcc_lo, v8, 6
	v_add_co_ci_u32_e32 v10, vcc_lo, 0, v9, vcc_lo
	v_add_co_u32 v107, vcc_lo, s8, v0
	s_delay_alu instid0(VALU_DEP_4)
	v_lshlrev_b64 v[4:5], 3, v[6:7]
	v_add_co_ci_u32_e32 v108, vcc_lo, s9, v1, vcc_lo
	v_add_co_u32 v109, vcc_lo, s10, v0
	v_mul_lo_u32 v11, s7, v2
	v_mul_lo_u32 v10, s6, v10
	v_mad_u64_u32 v[6:7], null, s6, v2, 0
	v_add_co_ci_u32_e32 v110, vcc_lo, s11, v1, vcc_lo
	v_add_co_u32 v111, vcc_lo, s8, v4
	v_add_co_ci_u32_e32 v112, vcc_lo, s9, v5, vcc_lo
	v_add_co_u32 v2, vcc_lo, v8, 5
	v_add_co_u32 v113, s3, s10, v4
	v_add_co_ci_u32_e32 v4, vcc_lo, 0, v9, vcc_lo
	v_add3_u32 v7, v7, v10, v11
	v_add_co_u32 v11, vcc_lo, v8, 4
	v_add_co_ci_u32_e64 v114, s3, s11, v5, s3
	v_mul_lo_u32 v10, s7, v2
	v_mul_lo_u32 v12, s6, v4
	v_mad_u64_u32 v[4:5], null, s6, v2, 0
	v_lshlrev_b64 v[0:1], 3, v[6:7]
	v_add_co_ci_u32_e32 v6, vcc_lo, 0, v9, vcc_lo
	v_mul_lo_u32 v2, s7, v11
	s_addc_u32 s25, 0, 0
	s_delay_alu instid0(VALU_DEP_2)
	v_mul_lo_u32 v13, s6, v6
	v_mad_u64_u32 v[6:7], null, s6, v11, 0
	v_add_co_u32 v115, vcc_lo, s8, v0
	v_add3_u32 v5, v5, v12, v10
	v_add_co_ci_u32_e32 v116, vcc_lo, s9, v1, vcc_lo
	v_add_co_u32 v117, vcc_lo, s10, v0
	v_add_co_ci_u32_e32 v118, vcc_lo, s11, v1, vcc_lo
	s_delay_alu instid0(VALU_DEP_4) | instskip(SKIP_3) | instid1(VALU_DEP_4)
	v_lshlrev_b64 v[0:1], 3, v[4:5]
	v_add3_u32 v7, v7, v13, v2
	v_add_co_u32 v2, vcc_lo, v8, 3
	v_add_co_ci_u32_e32 v10, vcc_lo, 0, v9, vcc_lo
	v_add_co_u32 v119, vcc_lo, s8, v0
	s_delay_alu instid0(VALU_DEP_4)
	v_lshlrev_b64 v[4:5], 3, v[6:7]
	v_add_co_ci_u32_e32 v120, vcc_lo, s9, v1, vcc_lo
	v_mul_lo_u32 v11, s7, v2
	v_mul_lo_u32 v10, s6, v10
	v_mad_u64_u32 v[6:7], null, s6, v2, 0
	v_add_co_u32 v121, vcc_lo, s10, v0
	v_add_co_ci_u32_e32 v122, vcc_lo, s11, v1, vcc_lo
	v_add_co_u32 v123, vcc_lo, s8, v4
	v_add_co_ci_u32_e32 v124, vcc_lo, s9, v5, vcc_lo
	v_add_co_u32 v0, vcc_lo, v8, 2
	v_add3_u32 v7, v7, v10, v11
	v_add_co_ci_u32_e32 v10, vcc_lo, 0, v9, vcc_lo
	v_add_co_u32 v125, vcc_lo, s10, v4
	v_add_co_ci_u32_e32 v126, vcc_lo, s11, v5, vcc_lo
	v_mul_lo_u32 v11, s7, v0
	s_delay_alu instid0(VALU_DEP_4)
	v_mul_lo_u32 v10, s6, v10
	v_mad_u64_u32 v[4:5], null, s6, v0, 0
	v_lshlrev_b64 v[1:2], 3, v[6:7]
	v_mul_lo_u32 v12, s7, v8
	v_mul_lo_u32 v9, s6, v9
	v_mad_u64_u32 v[6:7], null, s6, v8, 0
	s_delay_alu instid0(VALU_DEP_4)
	v_add_co_u32 v0, vcc_lo, s8, v1
	v_add3_u32 v5, v5, v10, v11
	v_add_co_ci_u32_e32 v127, vcc_lo, s9, v2, vcc_lo
	v_add_co_u32 v128, vcc_lo, s10, v1
	v_add3_u32 v7, v7, v9, v12
	v_add_co_ci_u32_e32 v129, vcc_lo, s11, v2, vcc_lo
	v_lshlrev_b64 v[1:2], 3, v[4:5]
	v_add_co_u32 v4, vcc_lo, v6, s6
	s_delay_alu instid0(VALU_DEP_4) | instskip(NEXT) | instid1(VALU_DEP_3)
	v_add_co_ci_u32_e32 v5, vcc_lo, s7, v7, vcc_lo
	v_add_co_u32 v130, vcc_lo, s8, v1
	s_delay_alu instid0(VALU_DEP_2) | instskip(SKIP_3) | instid1(VALU_DEP_4)
	v_lshlrev_b64 v[4:5], 3, v[4:5]
	v_add_co_ci_u32_e32 v131, vcc_lo, s9, v2, vcc_lo
	v_add_co_u32 v132, vcc_lo, s10, v1
	v_add_co_ci_u32_e32 v133, vcc_lo, s11, v2, vcc_lo
	v_add_co_u32 v134, vcc_lo, s8, v4
	v_lshlrev_b64 v[1:2], 3, v[6:7]
	v_add_co_ci_u32_e32 v135, vcc_lo, s9, v5, vcc_lo
	v_add_co_u32 v136, vcc_lo, s10, v4
	v_add_co_ci_u32_e32 v137, vcc_lo, s11, v5, vcc_lo
	s_delay_alu instid0(VALU_DEP_4)
	v_add_co_u32 v36, vcc_lo, s8, v1
	v_add_co_ci_u32_e32 v37, vcc_lo, s9, v2, vcc_lo
	v_add_co_u32 v138, vcc_lo, s10, v1
	v_add_co_ci_u32_e32 v139, vcc_lo, s11, v2, vcc_lo
	s_branch .LBB36_5
.LBB36_3:                               ;   in Loop: Header=BB36_5 Depth=1
	s_or_b32 exec_lo, exec_lo, s3
	s_waitcnt vmcnt(1)
	ds_bpermute_b32 v38, v3, v42
	ds_bpermute_b32 v39, v3, v43
	s_waitcnt vmcnt(0)
	ds_bpermute_b32 v140, v3, v44
	ds_bpermute_b32 v141, v3, v45
	s_waitcnt lgkmcnt(2)
	v_add_f64 v[38:39], v[48:49], -v[38:39]
	ds_bpermute_b32 v48, v3, v42 offset:4
	ds_bpermute_b32 v49, v3, v43 offset:4
	s_waitcnt lgkmcnt(0)
	v_add_f64 v[46:47], v[46:47], -v[48:49]
	ds_bpermute_b32 v48, v3, v42 offset:8
	ds_bpermute_b32 v49, v3, v43 offset:8
	v_mul_f64 v[38:39], v[4:5], v[38:39]
	v_add_f64 v[4:5], v[147:148], v[4:5]
	s_waitcnt lgkmcnt(0)
	v_add_f64 v[48:49], v[54:55], -v[48:49]
	ds_bpermute_b32 v54, v3, v42 offset:12
	ds_bpermute_b32 v55, v3, v43 offset:12
	v_mul_f64 v[46:47], v[6:7], v[46:47]
	s_waitcnt lgkmcnt(0)
	v_add_f64 v[50:51], v[50:51], -v[54:55]
	v_fma_f64 v[38:39], v[38:39], v[140:141], v[145:146]
	ds_bpermute_b32 v140, v3, v44 offset:4
	ds_bpermute_b32 v141, v3, v45 offset:4
	v_add_f64 v[4:5], v[6:7], v[4:5]
	ds_bpermute_b32 v6, v3, v42 offset:16
	ds_bpermute_b32 v7, v3, v43 offset:16
	v_mul_f64 v[48:49], v[8:9], v[48:49]
	s_waitcnt lgkmcnt(0)
	v_add_f64 v[6:7], v[58:59], -v[6:7]
	v_mul_f64 v[50:51], v[10:11], v[50:51]
	v_fma_f64 v[38:39], v[46:47], v[140:141], v[38:39]
	ds_bpermute_b32 v46, v3, v44 offset:8
	ds_bpermute_b32 v47, v3, v45 offset:8
	v_add_f64 v[4:5], v[8:9], v[4:5]
	ds_bpermute_b32 v8, v3, v42 offset:20
	ds_bpermute_b32 v9, v3, v43 offset:20
	s_waitcnt lgkmcnt(0)
	v_add_f64 v[8:9], v[52:53], -v[8:9]
	v_mul_f64 v[6:7], v[12:13], v[6:7]
	v_fma_f64 v[38:39], v[48:49], v[46:47], v[38:39]
	ds_bpermute_b32 v46, v3, v44 offset:12
	ds_bpermute_b32 v47, v3, v45 offset:12
	v_add_f64 v[4:5], v[10:11], v[4:5]
	ds_bpermute_b32 v10, v3, v42 offset:24
	ds_bpermute_b32 v11, v3, v43 offset:24
	;; [unrolled: 9-line block ×4, first 2 shown]
	v_mul_f64 v[12:13], v[18:19], v[12:13]
	s_waitcnt lgkmcnt(2)
	v_fma_f64 v[6:7], v[8:9], v[38:39], v[6:7]
	ds_bpermute_b32 v8, v3, v42 offset:32
	ds_bpermute_b32 v9, v3, v43 offset:32
	v_add_f64 v[4:5], v[16:17], v[4:5]
	s_waitcnt lgkmcnt(0)
	v_add_f64 v[8:9], v[66:67], -v[8:9]
	v_fma_f64 v[6:7], v[10:11], v[14:15], v[6:7]
	ds_bpermute_b32 v10, v3, v42 offset:36
	ds_bpermute_b32 v11, v3, v43 offset:36
	ds_bpermute_b32 v14, v3, v44 offset:28
	ds_bpermute_b32 v15, v3, v45 offset:28
	v_add_f64 v[4:5], v[18:19], v[4:5]
	s_waitcnt lgkmcnt(2)
	v_add_f64 v[10:11], v[60:61], -v[10:11]
	v_mul_f64 v[8:9], v[20:21], v[8:9]
	s_waitcnt lgkmcnt(0)
	v_fma_f64 v[6:7], v[12:13], v[14:15], v[6:7]
	ds_bpermute_b32 v12, v3, v42 offset:40
	ds_bpermute_b32 v13, v3, v43 offset:40
	ds_bpermute_b32 v14, v3, v44 offset:32
	ds_bpermute_b32 v15, v3, v45 offset:32
	v_add_f64 v[4:5], v[20:21], v[4:5]
	s_waitcnt lgkmcnt(2)
	v_add_f64 v[12:13], v[70:71], -v[12:13]
	v_mul_f64 v[10:11], v[22:23], v[10:11]
	s_waitcnt lgkmcnt(0)
	;; [unrolled: 10-line block ×6, first 2 shown]
	v_fma_f64 v[6:7], v[10:11], v[14:15], v[6:7]
	ds_bpermute_b32 v10, v3, v44 offset:52
	ds_bpermute_b32 v11, v3, v45 offset:52
	v_mul_f64 v[8:9], v[32:33], v[8:9]
	s_waitcnt lgkmcnt(0)
	v_fma_f64 v[6:7], v[12:13], v[10:11], v[6:7]
	v_add_f64 v[10:11], v[30:31], v[4:5]
	ds_bpermute_b32 v4, v3, v44 offset:56
	ds_bpermute_b32 v5, v3, v45 offset:56
	;; [unrolled: 1-line block ×4, first 2 shown]
	s_waitcnt lgkmcnt(2)
	v_fma_f64 v[4:5], v[8:9], v[4:5], v[6:7]
	v_add_f64 v[6:7], v[32:33], v[10:11]
	ds_bpermute_b32 v8, v3, v42 offset:60
	ds_bpermute_b32 v9, v3, v43 offset:60
.LBB36_4:                               ;   in Loop: Header=BB36_5 Depth=1
	s_waitcnt lgkmcnt(0)
	v_add_f64 v[1:2], v[1:2], -v[8:9]
	v_add_co_u32 v79, vcc_lo, v79, s22
	v_add_co_ci_u32_e32 v80, vcc_lo, s23, v80, vcc_lo
	v_add_co_u32 v81, vcc_lo, v81, s22
	v_add_co_ci_u32_e32 v82, vcc_lo, s23, v82, vcc_lo
	;; [unrolled: 2-line block ×9, first 2 shown]
	v_add_co_u32 v97, vcc_lo, v97, s22
	v_mul_f64 v[1:2], v[34:35], v[1:2]
	v_add_co_ci_u32_e32 v98, vcc_lo, s23, v98, vcc_lo
	v_add_co_u32 v99, vcc_lo, v99, s22
	v_add_co_ci_u32_e32 v100, vcc_lo, s23, v100, vcc_lo
	v_add_co_u32 v101, vcc_lo, v101, s22
	;; [unrolled: 2-line block ×11, first 2 shown]
	v_add_f64 v[147:148], v[6:7], v[34:35]
	v_fma_f64 v[145:146], v[1:2], v[44:45], v[4:5]
	v_add_co_ci_u32_e32 v120, vcc_lo, s23, v120, vcc_lo
	v_add_co_u32 v121, vcc_lo, v121, s22
	v_add_co_ci_u32_e32 v122, vcc_lo, s23, v122, vcc_lo
	v_add_co_u32 v123, vcc_lo, v123, s22
	;; [unrolled: 2-line block ×9, first 2 shown]
	s_add_u32 s26, s26, s29
	v_add_co_ci_u32_e32 v137, vcc_lo, s23, v137, vcc_lo
	s_addc_u32 s27, s27, 0
	v_add_co_u32 v36, vcc_lo, v36, s22
	v_cmp_lt_i64_e64 s3, s[26:27], s[4:5]
	v_add_co_ci_u32_e32 v37, vcc_lo, s23, v37, vcc_lo
	v_add_co_u32 v138, vcc_lo, v138, s22
	v_add_co_ci_u32_e32 v139, vcc_lo, s23, v139, vcc_lo
	s_add_u32 s24, s24, s29
	s_addc_u32 s25, s25, 0
	s_and_b32 vcc_lo, exec_lo, s3
	s_cbranch_vccz .LBB36_81
.LBB36_5:                               ; =>This Inner Loop Header: Depth=1
	v_cmp_ge_i64_e64 s3, s[24:25], s[4:5]
	v_add_co_u32 v140, s30, v77, s24
	s_delay_alu instid0(VALU_DEP_1) | instskip(NEXT) | instid1(VALU_DEP_3)
	v_add_co_ci_u32_e64 v141, null, 0, s25, s30
	s_and_b32 vcc_lo, exec_lo, s3
	s_cbranch_vccz .LBB36_43
; %bb.6:                                ;   in Loop: Header=BB36_5 Depth=1
	s_load_b32 s3, s[20:21], 0xc
	s_waitcnt lgkmcnt(0)
	s_and_b32 s3, s3, 0xffff
	s_delay_alu instid0(SALU_CYCLE_1) | instskip(SKIP_2) | instid1(VALU_DEP_2)
	v_mad_u32_u24 v1, v76, s3, v78
	v_mov_b32_e32 v46, 0
	v_mov_b32_e32 v47, 0
	;; [unrolled: 1-line block ×3, first 2 shown]
	s_delay_alu instid0(VALU_DEP_4) | instskip(SKIP_1) | instid1(VALU_DEP_3)
	v_dual_mov_b32 v42, v46 :: v_dual_and_b32 v1, 31, v1
	s_mov_b32 s3, exec_lo
	v_mov_b32_e32 v43, v47
	v_mov_b32_e32 v45, v47
	s_delay_alu instid0(VALU_DEP_3)
	v_cmpx_gt_u32_e32 16, v1
	s_cbranch_execz .LBB36_10
; %bb.7:                                ;   in Loop: Header=BB36_5 Depth=1
	v_add_co_u32 v1, vcc_lo, v140, v1
	v_mov_b32_e32 v42, 0
	v_add_co_ci_u32_e32 v2, vcc_lo, 0, v141, vcc_lo
	v_mov_b32_e32 v43, 0
	s_delay_alu instid0(VALU_DEP_4) | instskip(NEXT) | instid1(VALU_DEP_3)
	v_add_co_u32 v1, vcc_lo, 0xffffff01, v1
	v_add_co_ci_u32_e32 v2, vcc_lo, -1, v2, vcc_lo
	s_delay_alu instid0(VALU_DEP_3) | instskip(SKIP_1) | instid1(VALU_DEP_2)
	v_dual_mov_b32 v45, v43 :: v_dual_mov_b32 v44, v42
	s_mov_b32 s30, exec_lo
	v_cmpx_gt_i64_e64 s[4:5], v[1:2]
	s_cbranch_execz .LBB36_9
; %bb.8:                                ;   in Loop: Header=BB36_5 Depth=1
	v_lshlrev_b64 v[1:2], 3, v[1:2]
	s_delay_alu instid0(VALU_DEP_1) | instskip(NEXT) | instid1(VALU_DEP_2)
	v_add_co_u32 v4, vcc_lo, s16, v1
	v_add_co_ci_u32_e32 v5, vcc_lo, s17, v2, vcc_lo
	v_add_co_u32 v1, vcc_lo, s18, v1
	v_add_co_ci_u32_e32 v2, vcc_lo, s19, v2, vcc_lo
	global_load_b64 v[42:43], v[4:5], off
	global_load_b64 v[44:45], v[1:2], off
.LBB36_9:                               ;   in Loop: Header=BB36_5 Depth=1
	s_or_b32 exec_lo, exec_lo, s30
.LBB36_10:                              ;   in Loop: Header=BB36_5 Depth=1
	s_delay_alu instid0(SALU_CYCLE_1)
	s_or_b32 exec_lo, exec_lo, s3
	v_add_co_u32 v1, vcc_lo, 0xffffff01, v140
	v_add_co_ci_u32_e32 v2, vcc_lo, -1, v141, vcc_lo
	s_mov_b32 s37, s36
	s_mov_b32 s38, s36
	;; [unrolled: 1-line block ×3, first 2 shown]
	s_delay_alu instid0(VALU_DEP_1)
	v_cmp_gt_i64_e32 vcc_lo, s[4:5], v[1:2]
	s_mov_b32 s40, s36
	s_mov_b32 s41, s36
	;; [unrolled: 1-line block ×28, first 2 shown]
	v_dual_mov_b32 v4, s36 :: v_dual_mov_b32 v5, s37
	v_dual_mov_b32 v6, s38 :: v_dual_mov_b32 v7, s39
	;; [unrolled: 1-line block ×17, first 2 shown]
	s_and_b32 s30, s2, vcc_lo
	s_delay_alu instid0(SALU_CYCLE_1)
	s_and_saveexec_b32 s3, s30
	s_cbranch_execz .LBB36_12
; %bb.11:                               ;   in Loop: Header=BB36_5 Depth=1
	v_add_co_u32 v1, vcc_lo, v36, v40
	v_add_co_ci_u32_e32 v2, vcc_lo, v37, v41, vcc_lo
	v_add_co_u32 v4, vcc_lo, v138, v40
	v_add_co_ci_u32_e32 v5, vcc_lo, v139, v41, vcc_lo
	global_load_b64 v[1:2], v[1:2], off
	v_mov_b32_e32 v32, v3
	v_mov_b32_e32 v6, v3
	global_load_b64 v[48:49], v[4:5], off
	v_mov_b32_e32 v4, v3
	v_mov_b32_e32 v5, v3
	;; [unrolled: 1-line block ×27, first 2 shown]
	s_waitcnt vmcnt(1)
	v_mov_b32_e32 v35, v32
	s_delay_alu instid0(VALU_DEP_2)
	v_dual_mov_b32 v34, v31 :: v_dual_mov_b32 v33, v30
	v_mov_b32_e32 v32, v29
	v_mov_b32_e32 v31, v28
	;; [unrolled: 1-line block ×29, first 2 shown]
.LBB36_12:                              ;   in Loop: Header=BB36_5 Depth=1
	s_or_b32 exec_lo, exec_lo, s3
	v_add_co_u32 v1, vcc_lo, 0xffffff02, v140
	v_add_co_ci_u32_e32 v2, vcc_lo, -1, v141, vcc_lo
	s_delay_alu instid0(VALU_DEP_1) | instskip(SKIP_1) | instid1(SALU_CYCLE_1)
	v_cmp_gt_i64_e32 vcc_lo, s[4:5], v[1:2]
	s_and_b32 s30, s2, vcc_lo
	s_and_saveexec_b32 s3, s30
	s_cbranch_execz .LBB36_14
; %bb.13:                               ;   in Loop: Header=BB36_5 Depth=1
	v_add_co_u32 v1, vcc_lo, v134, v40
	v_add_co_ci_u32_e32 v2, vcc_lo, v135, v41, vcc_lo
	v_add_co_u32 v38, vcc_lo, v136, v40
	v_add_co_ci_u32_e32 v39, vcc_lo, v137, v41, vcc_lo
	global_load_b64 v[6:7], v[1:2], off
	global_load_b64 v[46:47], v[38:39], off
.LBB36_14:                              ;   in Loop: Header=BB36_5 Depth=1
	s_or_b32 exec_lo, exec_lo, s3
	v_add_co_u32 v1, vcc_lo, 0xffffff03, v140
	v_add_co_ci_u32_e32 v2, vcc_lo, -1, v141, vcc_lo
	v_mov_b32_e32 v50, 0
	v_mov_b32_e32 v51, 0
	s_delay_alu instid0(VALU_DEP_3) | instskip(NEXT) | instid1(VALU_DEP_2)
	v_cmp_gt_i64_e32 vcc_lo, s[4:5], v[1:2]
	v_dual_mov_b32 v53, v51 :: v_dual_mov_b32 v52, v50
	s_and_b32 s30, s2, vcc_lo
	s_delay_alu instid0(SALU_CYCLE_1)
	s_and_saveexec_b32 s3, s30
	s_cbranch_execz .LBB36_16
; %bb.15:                               ;   in Loop: Header=BB36_5 Depth=1
	v_add_co_u32 v1, vcc_lo, v130, v40
	v_add_co_ci_u32_e32 v2, vcc_lo, v131, v41, vcc_lo
	v_add_co_u32 v38, vcc_lo, v132, v40
	v_add_co_ci_u32_e32 v39, vcc_lo, v133, v41, vcc_lo
	global_load_b64 v[8:9], v[1:2], off
	global_load_b64 v[52:53], v[38:39], off
.LBB36_16:                              ;   in Loop: Header=BB36_5 Depth=1
	s_or_b32 exec_lo, exec_lo, s3
	v_add_co_u32 v1, vcc_lo, 0xffffff04, v140
	v_add_co_ci_u32_e32 v2, vcc_lo, -1, v141, vcc_lo
	s_delay_alu instid0(VALU_DEP_1) | instskip(SKIP_1) | instid1(SALU_CYCLE_1)
	v_cmp_gt_i64_e32 vcc_lo, s[4:5], v[1:2]
	s_and_b32 s30, s2, vcc_lo
	s_and_saveexec_b32 s3, s30
	s_cbranch_execz .LBB36_18
; %bb.17:                               ;   in Loop: Header=BB36_5 Depth=1
	v_add_co_u32 v1, vcc_lo, v0, v40
	v_add_co_ci_u32_e32 v2, vcc_lo, v127, v41, vcc_lo
	v_add_co_u32 v38, vcc_lo, v128, v40
	v_add_co_ci_u32_e32 v39, vcc_lo, v129, v41, vcc_lo
	global_load_b64 v[10:11], v[1:2], off
	global_load_b64 v[50:51], v[38:39], off
.LBB36_18:                              ;   in Loop: Header=BB36_5 Depth=1
	s_or_b32 exec_lo, exec_lo, s3
	v_add_co_u32 v1, vcc_lo, 0xffffff05, v140
	v_add_co_ci_u32_e32 v2, vcc_lo, -1, v141, vcc_lo
	v_mov_b32_e32 v54, 0
	v_mov_b32_e32 v55, 0
	s_delay_alu instid0(VALU_DEP_3) | instskip(NEXT) | instid1(VALU_DEP_2)
	v_cmp_gt_i64_e32 vcc_lo, s[4:5], v[1:2]
	v_dual_mov_b32 v57, v55 :: v_dual_mov_b32 v56, v54
	s_and_b32 s30, s2, vcc_lo
	s_delay_alu instid0(SALU_CYCLE_1)
	s_and_saveexec_b32 s3, s30
	s_cbranch_execz .LBB36_20
; %bb.19:                               ;   in Loop: Header=BB36_5 Depth=1
	v_add_co_u32 v1, vcc_lo, v123, v40
	v_add_co_ci_u32_e32 v2, vcc_lo, v124, v41, vcc_lo
	v_add_co_u32 v38, vcc_lo, v125, v40
	v_add_co_ci_u32_e32 v39, vcc_lo, v126, v41, vcc_lo
	global_load_b64 v[12:13], v[1:2], off
	global_load_b64 v[56:57], v[38:39], off
.LBB36_20:                              ;   in Loop: Header=BB36_5 Depth=1
	;; [unrolled: 36-line block ×7, first 2 shown]
	s_or_b32 exec_lo, exec_lo, s3
	v_add_co_u32 v38, vcc_lo, 0xffffff10, v140
	v_add_co_ci_u32_e32 v39, vcc_lo, -1, v141, vcc_lo
	s_delay_alu instid0(VALU_DEP_1) | instskip(SKIP_1) | instid1(SALU_CYCLE_1)
	v_cmp_gt_i64_e32 vcc_lo, s[4:5], v[38:39]
	s_and_b32 s30, s2, vcc_lo
	s_and_saveexec_b32 s3, s30
	s_cbranch_execz .LBB36_42
; %bb.41:                               ;   in Loop: Header=BB36_5 Depth=1
	v_add_co_u32 v1, vcc_lo, v79, v40
	v_add_co_ci_u32_e32 v2, vcc_lo, v80, v41, vcc_lo
	v_add_co_u32 v38, vcc_lo, v81, v40
	v_add_co_ci_u32_e32 v39, vcc_lo, v82, v41, vcc_lo
	global_load_b64 v[34:35], v[1:2], off
	global_load_b64 v[1:2], v[38:39], off
.LBB36_42:                              ;   in Loop: Header=BB36_5 Depth=1
	s_or_b32 exec_lo, exec_lo, s3
	s_waitcnt vmcnt(1)
	ds_bpermute_b32 v38, v3, v42
	ds_bpermute_b32 v39, v3, v43
	s_waitcnt vmcnt(0)
	ds_bpermute_b32 v142, v3, v44
	ds_bpermute_b32 v143, v3, v45
	s_waitcnt lgkmcnt(2)
	v_add_f64 v[38:39], v[48:49], -v[38:39]
	ds_bpermute_b32 v48, v3, v42 offset:4
	ds_bpermute_b32 v49, v3, v43 offset:4
	s_waitcnt lgkmcnt(0)
	v_add_f64 v[46:47], v[46:47], -v[48:49]
	ds_bpermute_b32 v48, v3, v42 offset:8
	ds_bpermute_b32 v49, v3, v43 offset:8
	v_mul_f64 v[38:39], v[4:5], v[38:39]
	v_add_f64 v[4:5], v[147:148], v[4:5]
	s_waitcnt lgkmcnt(0)
	v_add_f64 v[48:49], v[52:53], -v[48:49]
	ds_bpermute_b32 v52, v3, v42 offset:12
	ds_bpermute_b32 v53, v3, v43 offset:12
	v_mul_f64 v[46:47], v[6:7], v[46:47]
	s_waitcnt lgkmcnt(0)
	v_add_f64 v[50:51], v[50:51], -v[52:53]
	v_fma_f64 v[38:39], v[38:39], v[142:143], v[145:146]
	ds_bpermute_b32 v142, v3, v44 offset:4
	ds_bpermute_b32 v143, v3, v45 offset:4
	v_add_f64 v[4:5], v[6:7], v[4:5]
	ds_bpermute_b32 v6, v3, v42 offset:16
	ds_bpermute_b32 v7, v3, v43 offset:16
	v_mul_f64 v[48:49], v[8:9], v[48:49]
	s_waitcnt lgkmcnt(0)
	v_add_f64 v[6:7], v[56:57], -v[6:7]
	v_mul_f64 v[50:51], v[10:11], v[50:51]
	v_fma_f64 v[38:39], v[46:47], v[142:143], v[38:39]
	ds_bpermute_b32 v46, v3, v44 offset:8
	ds_bpermute_b32 v47, v3, v45 offset:8
	v_add_f64 v[4:5], v[8:9], v[4:5]
	ds_bpermute_b32 v8, v3, v42 offset:20
	ds_bpermute_b32 v9, v3, v43 offset:20
	s_waitcnt lgkmcnt(0)
	v_add_f64 v[8:9], v[54:55], -v[8:9]
	v_mul_f64 v[6:7], v[12:13], v[6:7]
	v_fma_f64 v[38:39], v[48:49], v[46:47], v[38:39]
	ds_bpermute_b32 v46, v3, v44 offset:12
	ds_bpermute_b32 v47, v3, v45 offset:12
	v_add_f64 v[4:5], v[10:11], v[4:5]
	ds_bpermute_b32 v10, v3, v42 offset:24
	ds_bpermute_b32 v11, v3, v43 offset:24
	;; [unrolled: 9-line block ×4, first 2 shown]
	v_mul_f64 v[12:13], v[18:19], v[12:13]
	s_waitcnt lgkmcnt(2)
	v_fma_f64 v[6:7], v[8:9], v[38:39], v[6:7]
	ds_bpermute_b32 v8, v3, v42 offset:32
	ds_bpermute_b32 v9, v3, v43 offset:32
	v_add_f64 v[4:5], v[16:17], v[4:5]
	s_waitcnt lgkmcnt(0)
	v_add_f64 v[8:9], v[64:65], -v[8:9]
	v_fma_f64 v[6:7], v[10:11], v[14:15], v[6:7]
	ds_bpermute_b32 v10, v3, v42 offset:36
	ds_bpermute_b32 v11, v3, v43 offset:36
	ds_bpermute_b32 v14, v3, v44 offset:28
	ds_bpermute_b32 v15, v3, v45 offset:28
	v_add_f64 v[4:5], v[18:19], v[4:5]
	s_waitcnt lgkmcnt(2)
	v_add_f64 v[10:11], v[62:63], -v[10:11]
	v_mul_f64 v[8:9], v[20:21], v[8:9]
	s_waitcnt lgkmcnt(0)
	v_fma_f64 v[6:7], v[12:13], v[14:15], v[6:7]
	ds_bpermute_b32 v12, v3, v42 offset:40
	ds_bpermute_b32 v13, v3, v43 offset:40
	ds_bpermute_b32 v14, v3, v44 offset:32
	ds_bpermute_b32 v15, v3, v45 offset:32
	v_add_f64 v[4:5], v[20:21], v[4:5]
	s_waitcnt lgkmcnt(2)
	v_add_f64 v[12:13], v[68:69], -v[12:13]
	v_mul_f64 v[10:11], v[22:23], v[10:11]
	s_waitcnt lgkmcnt(0)
	;; [unrolled: 10-line block ×6, first 2 shown]
	v_fma_f64 v[6:7], v[10:11], v[14:15], v[6:7]
	ds_bpermute_b32 v10, v3, v44 offset:52
	ds_bpermute_b32 v11, v3, v45 offset:52
	v_mul_f64 v[8:9], v[32:33], v[8:9]
	s_waitcnt lgkmcnt(0)
	v_fma_f64 v[6:7], v[12:13], v[10:11], v[6:7]
	v_add_f64 v[10:11], v[30:31], v[4:5]
	ds_bpermute_b32 v4, v3, v44 offset:56
	ds_bpermute_b32 v5, v3, v45 offset:56
	;; [unrolled: 1-line block ×4, first 2 shown]
	s_waitcnt lgkmcnt(2)
	v_fma_f64 v[4:5], v[8:9], v[4:5], v[6:7]
	v_add_f64 v[6:7], v[32:33], v[10:11]
	ds_bpermute_b32 v8, v3, v42 offset:60
	ds_bpermute_b32 v9, v3, v43 offset:60
	s_branch .LBB36_4
.LBB36_43:                              ;   in Loop: Header=BB36_5 Depth=1
                                        ; implicit-def: $vgpr4_vgpr5_vgpr6_vgpr7_vgpr8_vgpr9_vgpr10_vgpr11_vgpr12_vgpr13_vgpr14_vgpr15_vgpr16_vgpr17_vgpr18_vgpr19_vgpr20_vgpr21_vgpr22_vgpr23_vgpr24_vgpr25_vgpr26_vgpr27_vgpr28_vgpr29_vgpr30_vgpr31_vgpr32_vgpr33_vgpr34_vgpr35
                                        ; implicit-def: $vgpr44_vgpr45
                                        ; implicit-def: $vgpr1_vgpr2
                                        ; implicit-def: $vgpr8
                                        ; implicit-def: $vgpr6_vgpr7
                                        ; implicit-def: $vgpr4_vgpr5
	s_cbranch_execz .LBB36_4
; %bb.44:                               ;   in Loop: Header=BB36_5 Depth=1
	s_load_b32 s3, s[20:21], 0x0
	s_waitcnt lgkmcnt(0)
	s_cmp_lt_u32 s14, s3
	s_cselect_b32 s3, 12, 18
	s_delay_alu instid0(SALU_CYCLE_1)
	s_add_u32 s30, s20, s3
	s_addc_u32 s31, s21, 0
	s_mov_b32 s3, exec_lo
	global_load_u16 v1, v3, s[30:31]
	s_waitcnt vmcnt(0)
	v_mad_u32_u24 v1, v76, v1, v78
	v_mov_b32_e32 v46, 0
	v_mov_b32_e32 v47, 0
	s_delay_alu instid0(VALU_DEP_2) | instskip(NEXT) | instid1(VALU_DEP_4)
	v_mov_b32_e32 v44, v46
	v_dual_mov_b32 v42, v46 :: v_dual_and_b32 v1, 31, v1
	s_delay_alu instid0(VALU_DEP_3) | instskip(SKIP_1) | instid1(VALU_DEP_3)
	v_mov_b32_e32 v43, v47
	v_mov_b32_e32 v45, v47
	v_cmpx_gt_u32_e32 16, v1
	s_cbranch_execz .LBB36_48
; %bb.45:                               ;   in Loop: Header=BB36_5 Depth=1
	v_add_co_u32 v1, vcc_lo, v140, v1
	v_mov_b32_e32 v42, 0
	v_add_co_ci_u32_e32 v2, vcc_lo, 0, v141, vcc_lo
	v_mov_b32_e32 v43, 0
	s_delay_alu instid0(VALU_DEP_4) | instskip(NEXT) | instid1(VALU_DEP_3)
	v_add_co_u32 v1, vcc_lo, 0xffffff01, v1
	v_add_co_ci_u32_e32 v2, vcc_lo, -1, v2, vcc_lo
	s_delay_alu instid0(VALU_DEP_3) | instskip(SKIP_1) | instid1(VALU_DEP_2)
	v_dual_mov_b32 v45, v43 :: v_dual_mov_b32 v44, v42
	s_mov_b32 s30, exec_lo
	v_cmpx_gt_i64_e64 s[4:5], v[1:2]
	s_cbranch_execz .LBB36_47
; %bb.46:                               ;   in Loop: Header=BB36_5 Depth=1
	v_lshlrev_b64 v[1:2], 3, v[1:2]
	s_delay_alu instid0(VALU_DEP_1) | instskip(NEXT) | instid1(VALU_DEP_2)
	v_add_co_u32 v4, vcc_lo, s16, v1
	v_add_co_ci_u32_e32 v5, vcc_lo, s17, v2, vcc_lo
	v_add_co_u32 v1, vcc_lo, s18, v1
	v_add_co_ci_u32_e32 v2, vcc_lo, s19, v2, vcc_lo
	global_load_b64 v[42:43], v[4:5], off
	global_load_b64 v[44:45], v[1:2], off
.LBB36_47:                              ;   in Loop: Header=BB36_5 Depth=1
	s_or_b32 exec_lo, exec_lo, s30
.LBB36_48:                              ;   in Loop: Header=BB36_5 Depth=1
	s_delay_alu instid0(SALU_CYCLE_1)
	s_or_b32 exec_lo, exec_lo, s3
	s_mov_b32 s37, s36
	s_mov_b32 s38, s36
	;; [unrolled: 1-line block ×31, first 2 shown]
	v_dual_mov_b32 v4, s36 :: v_dual_mov_b32 v5, s37
	v_dual_mov_b32 v6, s38 :: v_dual_mov_b32 v7, s39
	;; [unrolled: 1-line block ×17, first 2 shown]
	s_and_saveexec_b32 s3, s2
	s_cbranch_execz .LBB36_50
; %bb.49:                               ;   in Loop: Header=BB36_5 Depth=1
	v_add_co_u32 v1, vcc_lo, v36, v40
	v_add_co_ci_u32_e32 v2, vcc_lo, v37, v41, vcc_lo
	v_add_co_u32 v4, vcc_lo, v138, v40
	v_add_co_ci_u32_e32 v5, vcc_lo, v139, v41, vcc_lo
	global_load_b64 v[1:2], v[1:2], off
	v_mov_b32_e32 v32, v3
	v_mov_b32_e32 v6, v3
	global_load_b64 v[48:49], v[4:5], off
	v_mov_b32_e32 v4, v3
	v_mov_b32_e32 v5, v3
	;; [unrolled: 1-line block ×27, first 2 shown]
	s_waitcnt vmcnt(1)
	v_mov_b32_e32 v35, v32
	s_delay_alu instid0(VALU_DEP_2)
	v_dual_mov_b32 v34, v31 :: v_dual_mov_b32 v33, v30
	v_mov_b32_e32 v32, v29
	v_mov_b32_e32 v31, v28
	v_mov_b32_e32 v30, v27
	v_mov_b32_e32 v29, v26
	v_mov_b32_e32 v28, v25
	v_mov_b32_e32 v27, v24
	v_mov_b32_e32 v26, v23
	v_mov_b32_e32 v25, v22
	v_mov_b32_e32 v24, v21
	v_mov_b32_e32 v23, v20
	v_mov_b32_e32 v22, v19
	v_mov_b32_e32 v21, v18
	v_mov_b32_e32 v20, v17
	v_mov_b32_e32 v19, v16
	v_mov_b32_e32 v18, v15
	v_mov_b32_e32 v17, v14
	v_mov_b32_e32 v16, v13
	v_mov_b32_e32 v15, v12
	v_mov_b32_e32 v14, v11
	v_mov_b32_e32 v13, v10
	v_mov_b32_e32 v12, v9
	v_mov_b32_e32 v11, v8
	v_mov_b32_e32 v10, v7
	v_mov_b32_e32 v9, v6
	v_mov_b32_e32 v8, v5
	v_mov_b32_e32 v7, v4
	v_mov_b32_e32 v6, v3
	v_mov_b32_e32 v5, v2
	v_mov_b32_e32 v4, v1
.LBB36_50:                              ;   in Loop: Header=BB36_5 Depth=1
	s_or_b32 exec_lo, exec_lo, s3
	s_and_saveexec_b32 s3, s2
	s_cbranch_execz .LBB36_52
; %bb.51:                               ;   in Loop: Header=BB36_5 Depth=1
	v_add_co_u32 v1, vcc_lo, v134, v40
	v_add_co_ci_u32_e32 v2, vcc_lo, v135, v41, vcc_lo
	v_add_co_u32 v38, vcc_lo, v136, v40
	v_add_co_ci_u32_e32 v39, vcc_lo, v137, v41, vcc_lo
	global_load_b64 v[6:7], v[1:2], off
	global_load_b64 v[46:47], v[38:39], off
.LBB36_52:                              ;   in Loop: Header=BB36_5 Depth=1
	s_or_b32 exec_lo, exec_lo, s3
	v_mov_b32_e32 v50, 0
	v_mov_b32_e32 v51, 0
	s_delay_alu instid0(VALU_DEP_1)
	v_dual_mov_b32 v55, v51 :: v_dual_mov_b32 v54, v50
	s_and_saveexec_b32 s3, s2
	s_cbranch_execz .LBB36_54
; %bb.53:                               ;   in Loop: Header=BB36_5 Depth=1
	v_add_co_u32 v1, vcc_lo, v130, v40
	v_add_co_ci_u32_e32 v2, vcc_lo, v131, v41, vcc_lo
	v_add_co_u32 v38, vcc_lo, v132, v40
	v_add_co_ci_u32_e32 v39, vcc_lo, v133, v41, vcc_lo
	global_load_b64 v[8:9], v[1:2], off
	global_load_b64 v[54:55], v[38:39], off
.LBB36_54:                              ;   in Loop: Header=BB36_5 Depth=1
	s_or_b32 exec_lo, exec_lo, s3
	s_and_saveexec_b32 s3, s2
	s_cbranch_execz .LBB36_56
; %bb.55:                               ;   in Loop: Header=BB36_5 Depth=1
	v_add_co_u32 v1, vcc_lo, v0, v40
	v_add_co_ci_u32_e32 v2, vcc_lo, v127, v41, vcc_lo
	v_add_co_u32 v38, vcc_lo, v128, v40
	v_add_co_ci_u32_e32 v39, vcc_lo, v129, v41, vcc_lo
	global_load_b64 v[10:11], v[1:2], off
	global_load_b64 v[50:51], v[38:39], off
.LBB36_56:                              ;   in Loop: Header=BB36_5 Depth=1
	s_or_b32 exec_lo, exec_lo, s3
	v_mov_b32_e32 v52, 0
	v_mov_b32_e32 v53, 0
	s_delay_alu instid0(VALU_DEP_1)
	v_dual_mov_b32 v59, v53 :: v_dual_mov_b32 v58, v52
	s_and_saveexec_b32 s3, s2
	s_cbranch_execz .LBB36_58
; %bb.57:                               ;   in Loop: Header=BB36_5 Depth=1
	v_add_co_u32 v1, vcc_lo, v123, v40
	v_add_co_ci_u32_e32 v2, vcc_lo, v124, v41, vcc_lo
	v_add_co_u32 v38, vcc_lo, v125, v40
	v_add_co_ci_u32_e32 v39, vcc_lo, v126, v41, vcc_lo
	global_load_b64 v[12:13], v[1:2], off
	global_load_b64 v[58:59], v[38:39], off
.LBB36_58:                              ;   in Loop: Header=BB36_5 Depth=1
	;; [unrolled: 26-line block ×7, first 2 shown]
	s_or_b32 exec_lo, exec_lo, s3
	s_and_saveexec_b32 s3, s2
	s_cbranch_execz .LBB36_3
; %bb.79:                               ;   in Loop: Header=BB36_5 Depth=1
	v_add_co_u32 v1, vcc_lo, v79, v40
	v_add_co_ci_u32_e32 v2, vcc_lo, v80, v41, vcc_lo
	v_add_co_u32 v38, vcc_lo, v81, v40
	v_add_co_ci_u32_e32 v39, vcc_lo, v82, v41, vcc_lo
	global_load_b64 v[34:35], v[1:2], off
	global_load_b64 v[1:2], v[38:39], off
	s_branch .LBB36_3
.LBB36_80:
                                        ; implicit-def: $vgpr147_vgpr148
                                        ; implicit-def: $vgpr145_vgpr146
	s_branch .LBB36_82
.LBB36_81:
	s_cbranch_execnz .LBB36_130
.LBB36_82:
	v_mov_b32_e32 v147, 0
	v_mov_b32_e32 v148, 0
	s_delay_alu instid0(VALU_DEP_2) | instskip(SKIP_1) | instid1(VALU_DEP_2)
	v_mov_b32_e32 v145, v147
	s_and_not1_b32 vcc_lo, exec_lo, s15
	v_mov_b32_e32 v146, v148
	s_cbranch_vccnz .LBB36_130
; %bb.83:
	s_load_b32 s15, s[0:1], 0x44
	v_bfe_u32 v12, v144, 10, 10
	s_add_u32 s2, s0, 64
	s_addc_u32 s3, s1, 0
	s_mov_b32 s36, 0
	scratch_store_b32 off, v144, off offset:76 ; 4-byte Folded Spill
	v_lshlrev_b32_e32 v0, 7, v12
	v_lshlrev_b32_e32 v68, 4, v12
	s_clause 0x1
	scratch_store_b32 off, v12, off offset:64
	scratch_store_b32 off, v68, off offset:68
	s_waitcnt lgkmcnt(0)
	s_lshl_b32 s15, s15, 8
	s_add_u32 s20, s12, 0xff
	s_addc_u32 s21, 0, 0
	s_lshl_b64 s[22:23], s[12:13], 3
	s_delay_alu instid0(SALU_CYCLE_1) | instskip(NEXT) | instid1(VALU_DEP_1)
	v_add_co_u32 v0, s22, v0, s22
	v_add_co_ci_u32_e64 v1, null, 0, s23, s22
	v_add_co_u32 v102, s22, v68, s12
	s_delay_alu instid0(VALU_DEP_3) | instskip(NEXT) | instid1(VALU_DEP_3)
	v_add_co_u32 v3, vcc_lo, v0, 8
	v_add_co_ci_u32_e32 v2, vcc_lo, 0, v1, vcc_lo
	v_add_co_u32 v4, vcc_lo, v0, 16
	v_add_co_ci_u32_e32 v5, vcc_lo, 0, v1, vcc_lo
	;; [unrolled: 2-line block ×3, first 2 shown]
	v_add_co_u32 v12, vcc_lo, v0, 32
	v_mul_lo_u32 v8, s6, v2
	v_add_co_ci_u32_e32 v2, vcc_lo, 0, v1, vcc_lo
	v_add_co_u32 v13, vcc_lo, v0, 40
	v_add_co_ci_u32_e32 v14, vcc_lo, 0, v1, vcc_lo
	v_add_co_u32 v17, vcc_lo, v0, 48
	s_delay_alu instid0(VALU_DEP_4) | instskip(SKIP_4) | instid1(VALU_DEP_4)
	v_mul_lo_u32 v15, s6, v2
	v_add_co_ci_u32_e32 v2, vcc_lo, 0, v1, vcc_lo
	v_add_co_u32 v19, vcc_lo, v0, 56
	v_add_co_ci_u32_e32 v20, vcc_lo, 0, v1, vcc_lo
	v_add_co_u32 v23, vcc_lo, v0, 64
	v_mul_lo_u32 v21, s6, v2
	v_add_co_ci_u32_e32 v2, vcc_lo, 0, v1, vcc_lo
	v_add_co_u32 v25, vcc_lo, 0x48, v0
	v_add_co_ci_u32_e32 v26, vcc_lo, 0, v1, vcc_lo
	v_add_co_u32 v30, vcc_lo, 0x50, v0
	s_delay_alu instid0(VALU_DEP_4) | instskip(SKIP_4) | instid1(VALU_DEP_4)
	v_mul_lo_u32 v27, s6, v2
	v_add_co_ci_u32_e32 v2, vcc_lo, 0, v1, vcc_lo
	v_add_co_u32 v31, vcc_lo, 0x58, v0
	v_add_co_ci_u32_e32 v32, vcc_lo, 0, v1, vcc_lo
	v_add_co_u32 v35, vcc_lo, 0x60, v0
	v_mul_lo_u32 v33, s6, v2
	v_add_co_ci_u32_e32 v2, vcc_lo, 0, v1, vcc_lo
	v_add_co_u32 v37, vcc_lo, 0x68, v0
	v_add_co_ci_u32_e32 v38, vcc_lo, 0, v1, vcc_lo
	v_mad_u64_u32 v[42:43], null, s6, v4, s[8:9]
	v_mul_lo_u32 v5, s6, v5
	v_mul_lo_u32 v10, s7, v4
	v_mad_u64_u32 v[72:73], null, s6, v4, s[10:11]
	v_mad_u64_u32 v[62:63], null, s6, v35, s[8:9]
	v_mul_lo_u32 v39, s6, v2
	v_mul_lo_u32 v96, s7, v35
	v_mad_u64_u32 v[64:65], null, s6, v37, s[8:9]
	v_mul_lo_u32 v38, s6, v38
	v_mul_lo_u32 v97, s7, v37
	v_add_co_u32 v98, vcc_lo, 0x70, v0
	v_mad_u64_u32 v[92:93], null, s6, v35, s[10:11]
	v_mad_u64_u32 v[94:95], null, s6, v37, s[10:11]
	;; [unrolled: 1-line block ×3, first 2 shown]
	v_mul_lo_u32 v9, s7, v3
	v_mad_u64_u32 v[70:71], null, s6, v3, s[10:11]
	v_add_co_ci_u32_e32 v2, vcc_lo, 0, v1, vcc_lo
	v_add_co_u32 v0, vcc_lo, 0x78, v0
	v_add_co_ci_u32_e64 v103, null, 0, 0, s22
	v_add_co_ci_u32_e32 v1, vcc_lo, 0, v1, vcc_lo
	v_add3_u32 v43, v10, v43, v5
	v_add3_u32 v73, v10, v73, v5
	v_add_co_u32 v5, vcc_lo, v102, 15
	v_mad_u64_u32 v[44:45], null, s6, v6, s[8:9]
	v_mul_lo_u32 v7, s6, v7
	v_mul_lo_u32 v11, s7, v6
	v_add3_u32 v63, v96, v63, v39
	v_add3_u32 v65, v97, v65, v38
	v_mad_u64_u32 v[66:67], null, s6, v98, s[8:9]
	v_mul_lo_u32 v101, s7, v98
	v_mad_u64_u32 v[68:69], null, s6, v0, s[8:9]
	v_mul_lo_u32 v105, s7, v0
	v_mad_u64_u32 v[74:75], null, s6, v6, s[10:11]
	v_add3_u32 v93, v96, v93, v39
	v_add3_u32 v95, v97, v95, v38
	v_mad_u64_u32 v[96:97], null, s6, v98, s[10:11]
	v_mad_u64_u32 v[98:99], null, s6, v0, s[10:11]
	v_add_co_ci_u32_e32 v0, vcc_lo, 0, v103, vcc_lo
	v_add3_u32 v41, v9, v41, v8
	v_add3_u32 v71, v9, v71, v8
	v_add_co_u32 v8, vcc_lo, v102, 14
	v_add_co_ci_u32_e32 v6, vcc_lo, 0, v103, vcc_lo
	v_add3_u32 v45, v11, v45, v7
	v_mul_lo_u32 v100, s6, v2
	v_mul_lo_u32 v104, s6, v1
	;; [unrolled: 1-line block ×4, first 2 shown]
	v_mad_u64_u32 v[1:2], null, s6, v102, 0
	v_add3_u32 v75, v11, v75, v7
	v_mul_lo_u32 v7, s7, v5
	v_mad_u64_u32 v[3:4], null, s6, v5, 0
	v_mul_lo_u32 v9, s7, v8
	v_mul_lo_u32 v10, s6, v6
	v_mad_u64_u32 v[5:6], null, s6, v8, 0
	v_mul_lo_u32 v0, s6, v0
	v_add_co_u32 v11, vcc_lo, v102, 13
	v_add_co_ci_u32_e32 v8, vcc_lo, 0, v103, vcc_lo
	v_mad_u64_u32 v[46:47], null, s6, v12, s[8:9]
	v_mul_lo_u32 v16, s7, v12
	v_mad_u64_u32 v[76:77], null, s6, v12, s[10:11]
	v_add_co_u32 v12, vcc_lo, v102, 12
	v_mad_u64_u32 v[48:49], null, s6, v13, s[8:9]
	v_mul_lo_u32 v14, s6, v14
	v_mul_lo_u32 v18, s7, v13
	v_mad_u64_u32 v[50:51], null, s6, v17, s[8:9]
	v_mul_lo_u32 v22, s7, v17
	v_mad_u64_u32 v[52:53], null, s6, v19, s[8:9]
	v_mul_lo_u32 v20, s6, v20
	v_mul_lo_u32 v24, s7, v19
	v_mad_u64_u32 v[78:79], null, s6, v13, s[10:11]
	v_add3_u32 v2, v2, v81, v80
	v_mad_u64_u32 v[80:81], null, s6, v17, s[10:11]
	v_mad_u64_u32 v[82:83], null, s6, v19, s[10:11]
	v_add3_u32 v6, v6, v10, v9
	v_add_co_ci_u32_e32 v9, vcc_lo, 0, v103, vcc_lo
	v_add_co_u32 v13, vcc_lo, v102, 11
	v_add3_u32 v4, v4, v0, v7
	v_mul_lo_u32 v0, s7, v11
	v_mul_lo_u32 v17, s6, v8
	v_mad_u64_u32 v[7:8], null, s6, v11, 0
	v_add_co_ci_u32_e32 v11, vcc_lo, 0, v103, vcc_lo
	v_add3_u32 v47, v16, v47, v15
	v_add3_u32 v77, v16, v77, v15
	v_add_co_u32 v15, vcc_lo, v102, 10
	v_add3_u32 v49, v18, v49, v14
	v_add3_u32 v51, v22, v51, v21
	;; [unrolled: 1-line block ×6, first 2 shown]
	v_mul_lo_u32 v18, s7, v12
	v_mul_lo_u32 v19, s6, v9
	v_mad_u64_u32 v[9:10], null, s6, v12, 0
	v_mul_lo_u32 v20, s7, v13
	v_mul_lo_u32 v21, s6, v11
	v_mad_u64_u32 v[11:12], null, s6, v13, 0
	v_add_co_ci_u32_e32 v13, vcc_lo, 0, v103, vcc_lo
	v_mad_u64_u32 v[54:55], null, s6, v23, s[8:9]
	v_mul_lo_u32 v28, s7, v23
	v_mad_u64_u32 v[84:85], null, s6, v23, s[10:11]
	v_add_co_u32 v23, vcc_lo, v102, 9
	v_mad_u64_u32 v[60:61], null, s6, v31, s[8:9]
	v_mul_lo_u32 v32, s6, v32
	v_mul_lo_u32 v36, s7, v31
	v_mad_u64_u32 v[90:91], null, s6, v31, s[10:11]
	v_add_co_ci_u32_e32 v16, vcc_lo, 0, v103, vcc_lo
	v_mul_lo_u32 v22, s7, v15
	v_mul_lo_u32 v24, s6, v13
	v_mad_u64_u32 v[13:14], null, s6, v15, 0
	v_add3_u32 v8, v8, v17, v0
	v_add_co_u32 v0, vcc_lo, v102, 8
	v_add_co_ci_u32_e32 v17, vcc_lo, 0, v103, vcc_lo
	v_add3_u32 v12, v12, v21, v20
	v_add_co_u32 v21, vcc_lo, v102, 7
	v_mad_u64_u32 v[58:59], null, s6, v30, s[8:9]
	v_mul_lo_u32 v34, s7, v30
	v_mad_u64_u32 v[88:89], null, s6, v30, s[10:11]
	v_add3_u32 v10, v10, v19, v18
	v_add_co_ci_u32_e32 v19, vcc_lo, 0, v103, vcc_lo
	v_add3_u32 v61, v36, v61, v32
	v_add3_u32 v91, v36, v91, v32
	v_mul_lo_u32 v31, s7, v23
	v_mul_lo_u32 v32, s6, v16
	v_mad_u64_u32 v[15:16], null, s6, v23, 0
	v_add_co_u32 v23, vcc_lo, v102, 6
	v_mad_u64_u32 v[56:57], null, s6, v25, s[8:9]
	v_mul_lo_u32 v26, s6, v26
	v_mul_lo_u32 v29, s7, v25
	v_mad_u64_u32 v[86:87], null, s6, v25, s[10:11]
	v_add3_u32 v14, v14, v24, v22
	v_add_co_ci_u32_e32 v22, vcc_lo, 0, v103, vcc_lo
	v_add_co_u32 v25, vcc_lo, v102, 5
	v_add3_u32 v59, v34, v59, v33
	v_add3_u32 v89, v34, v89, v33
	v_mul_lo_u32 v33, s7, v0
	v_mul_lo_u32 v34, s6, v17
	v_mad_u64_u32 v[17:18], null, s6, v0, 0
	v_mul_lo_u32 v0, s7, v21
	v_mul_lo_u32 v35, s6, v19
	v_mad_u64_u32 v[19:20], null, s6, v21, 0
	;; [unrolled: 3-line block ×3, first 2 shown]
	v_add_co_ci_u32_e32 v23, vcc_lo, 0, v103, vcc_lo
	v_add3_u32 v55, v28, v55, v27
	v_add3_u32 v85, v28, v85, v27
	v_add_co_u32 v27, vcc_lo, v102, 4
	v_add3_u32 v57, v29, v57, v26
	v_add3_u32 v87, v29, v87, v26
	v_add_co_ci_u32_e32 v26, vcc_lo, 0, v103, vcc_lo
	v_add_co_u32 v29, vcc_lo, v102, 3
	v_add3_u32 v67, v101, v67, v100
	v_add3_u32 v97, v101, v97, v100
	v_mul_lo_u32 v38, s7, v25
	v_mul_lo_u32 v39, s6, v23
	v_mad_u64_u32 v[23:24], null, s6, v25, 0
	v_mul_lo_u32 v100, s7, v27
	v_mul_lo_u32 v101, s6, v26
	v_mad_u64_u32 v[25:26], null, s6, v27, 0
	v_add_co_ci_u32_e32 v27, vcc_lo, 0, v103, vcc_lo
	v_add_co_u32 v102, vcc_lo, v102, 2
	v_add3_u32 v16, v16, v32, v31
	v_lshlrev_b64 v[31:32], 3, v[1:2]
	v_add_co_ci_u32_e32 v30, vcc_lo, 0, v103, vcc_lo
	v_add_co_u32 v1, vcc_lo, v1, s6
	v_add_co_ci_u32_e32 v2, vcc_lo, s7, v2, vcc_lo
	s_delay_alu instid0(VALU_DEP_4)
	v_add_co_u32 v138, vcc_lo, s8, v31
	v_lshlrev_b64 v[3:4], 3, v[3:4]
	v_add_co_ci_u32_e32 v139, vcc_lo, s9, v32, vcc_lo
	v_add_co_u32 v140, vcc_lo, s10, v31
	v_add_co_ci_u32_e32 v141, vcc_lo, s11, v32, vcc_lo
	v_add3_u32 v20, v20, v35, v0
	v_add_co_u32 v0, vcc_lo, s8, v3
	v_lshlrev_b64 v[5:6], 3, v[5:6]
	v_add3_u32 v18, v18, v34, v33
	v_add3_u32 v22, v22, v37, v36
	scratch_store_b32 off, v0, off          ; 4-byte Folded Spill
	v_add_co_ci_u32_e32 v0, vcc_lo, s9, v4, vcc_lo
	v_add3_u32 v24, v24, v39, v38
	v_add3_u32 v69, v105, v69, v104
	v_add3_u32 v99, v105, v99, v104
	scratch_store_b32 off, v0, off offset:4 ; 4-byte Folded Spill
	v_add_co_u32 v0, vcc_lo, s10, v3
	v_mul_lo_u32 v103, s6, v27
	v_mul_lo_u32 v104, s7, v29
	v_mad_u64_u32 v[27:28], null, s6, v29, 0
	scratch_store_b32 off, v0, off offset:8 ; 4-byte Folded Spill
	v_add_co_ci_u32_e32 v0, vcc_lo, s11, v4, vcc_lo
	v_add_co_u32 v146, vcc_lo, s8, v5
	v_lshlrev_b64 v[3:4], 3, v[7:8]
	v_add_co_ci_u32_e32 v147, vcc_lo, s9, v6, vcc_lo
	v_add_co_u32 v148, vcc_lo, s10, v5
	v_add_co_ci_u32_e32 v149, vcc_lo, s11, v6, vcc_lo
	s_delay_alu instid0(VALU_DEP_4) | instskip(SKIP_4) | instid1(VALU_DEP_4)
	v_add_co_u32 v150, vcc_lo, s8, v3
	v_lshlrev_b64 v[5:6], 3, v[9:10]
	v_add_co_ci_u32_e32 v151, vcc_lo, s9, v4, vcc_lo
	v_add_co_u32 v152, vcc_lo, s10, v3
	v_add_co_ci_u32_e32 v153, vcc_lo, s11, v4, vcc_lo
	v_add_co_u32 v154, vcc_lo, s8, v5
	v_lshlrev_b64 v[3:4], 3, v[11:12]
	v_add_co_ci_u32_e32 v155, vcc_lo, s9, v6, vcc_lo
	v_add_co_u32 v156, vcc_lo, s10, v5
	v_add_co_ci_u32_e32 v157, vcc_lo, s11, v6, vcc_lo
	s_delay_alu instid0(VALU_DEP_4) | instskip(SKIP_4) | instid1(VALU_DEP_4)
	v_add_co_u32 v158, vcc_lo, s8, v3
	v_lshlrev_b64 v[5:6], 3, v[13:14]
	v_add_co_ci_u32_e32 v159, vcc_lo, s9, v4, vcc_lo
	v_add_co_u32 v160, vcc_lo, s10, v3
	;; [unrolled: 11-line block ×4, first 2 shown]
	v_add_co_ci_u32_e32 v177, vcc_lo, s11, v4, vcc_lo
	v_add_co_u32 v178, vcc_lo, s8, v5
	v_lshlrev_b64 v[3:4], 3, v[23:24]
	v_add3_u32 v26, v26, v101, v100
	v_add_co_ci_u32_e32 v179, vcc_lo, s9, v6, vcc_lo
	v_add_co_u32 v180, vcc_lo, s10, v5
	v_mul_lo_u32 v105, s6, v30
	v_mul_lo_u32 v106, s7, v102
	v_mad_u64_u32 v[29:30], null, s6, v102, 0
	v_add_co_ci_u32_e32 v181, vcc_lo, s11, v6, vcc_lo
	v_add_co_u32 v182, vcc_lo, s8, v3
	v_lshlrev_b64 v[5:6], 3, v[25:26]
	v_add3_u32 v28, v28, v103, v104
	v_add_co_ci_u32_e32 v183, vcc_lo, s9, v4, vcc_lo
	v_add_co_u32 v184, vcc_lo, s10, v3
	v_add_co_ci_u32_e32 v185, vcc_lo, s11, v4, vcc_lo
	v_add_co_u32 v186, vcc_lo, s8, v5
	v_lshlrev_b64 v[3:4], 3, v[27:28]
	v_add3_u32 v30, v30, v105, v106
	v_add_co_ci_u32_e32 v187, vcc_lo, s9, v6, vcc_lo
	v_add_co_u32 v188, vcc_lo, s10, v5
	v_add_co_ci_u32_e32 v189, vcc_lo, s11, v6, vcc_lo
	v_add_co_u32 v190, vcc_lo, s8, v3
	v_lshlrev_b64 v[5:6], 3, v[29:30]
	v_add_co_ci_u32_e32 v191, vcc_lo, s9, v4, vcc_lo
	v_add_co_u32 v137, vcc_lo, s10, v3
	v_lshlrev_b64 v[7:8], 3, v[1:2]
	v_and_b32_e32 v1, 0x3ff, v144
	scratch_store_b32 off, v0, off offset:12 ; 4-byte Folded Spill
	v_add_co_ci_u32_e32 v0, vcc_lo, s11, v4, vcc_lo
	v_add_co_u32 v136, vcc_lo, s8, v5
	v_add_co_ci_u32_e32 v108, vcc_lo, s9, v6, vcc_lo
	v_add_co_u32 v109, vcc_lo, s10, v5
	v_add_co_ci_u32_e32 v112, vcc_lo, s11, v6, vcc_lo
	v_dual_mov_b32 v3, 0 :: v_dual_mov_b32 v4, 0
	scratch_store_b32 off, v1, off offset:72 ; 4-byte Folded Spill
	v_add_nc_u32_e32 v2, s28, v1
	v_add_co_u32 v113, vcc_lo, s8, v7
	v_add_co_ci_u32_e32 v116, vcc_lo, s9, v8, vcc_lo
	v_add_co_u32 v117, vcc_lo, s10, v7
	s_mul_i32 s8, s7, s15
	s_mul_hi_u32 s9, s6, s15
	v_lshlrev_b64 v[100:101], 3, v[2:3]
	v_mov_b32_e32 v5, 0
	v_add_co_ci_u32_e32 v36, vcc_lo, s11, v8, vcc_lo
	s_add_i32 s9, s9, s8
	s_mul_i32 s8, s6, s15
	s_clause 0x1
	scratch_store_b64 off, v[4:5], off offset:16
	scratch_store_b64 off, v[4:5], off offset:24
	s_lshl_b64 s[8:9], s[8:9], 3
	s_branch .LBB36_87
.LBB36_84:                              ;   in Loop: Header=BB36_87 Depth=1
	s_or_b32 exec_lo, exec_lo, s11
.LBB36_85:                              ;   in Loop: Header=BB36_87 Depth=1
	s_delay_alu instid0(SALU_CYCLE_1)
	s_or_b32 exec_lo, exec_lo, s10
	v_add_co_u32 v6, vcc_lo, v140, v100
	v_add_co_ci_u32_e32 v7, vcc_lo, v141, v101, vcc_lo
	s_waitcnt vmcnt(1)
	ds_bpermute_b32 v106, v3, v4
	ds_bpermute_b32 v107, v3, v5
	ds_bpermute_b32 v114, v3, v4 offset:4
	global_load_b64 v[10:11], v[6:7], off
	v_add_co_u32 v6, vcc_lo, v70, v100
	v_add_co_ci_u32_e32 v7, vcc_lo, v71, v101, vcc_lo
	v_add_co_u32 v8, vcc_lo, v138, v100
	v_add_co_ci_u32_e32 v9, vcc_lo, v139, v101, vcc_lo
	global_load_b64 v[12:13], v[6:7], off
	global_load_b64 v[14:15], v[8:9], off
	v_add_co_u32 v6, vcc_lo, v72, v100
	v_add_co_ci_u32_e32 v7, vcc_lo, v73, v101, vcc_lo
	v_add_co_u32 v8, vcc_lo, v40, v100
	v_add_co_ci_u32_e32 v9, vcc_lo, v41, v101, vcc_lo
	global_load_b64 v[16:17], v[6:7], off
	;; [unrolled: 6-line block ×8, first 2 shown]
	global_load_b64 v[104:105], v[104:105], off
	v_add_co_u32 v34, vcc_lo, v86, v100
	v_add_co_ci_u32_e32 v35, vcc_lo, v87, v101, vcc_lo
	ds_bpermute_b32 v115, v3, v5 offset:4
	s_waitcnt vmcnt(17)
	ds_bpermute_b32 v122, v3, v1
	ds_bpermute_b32 v123, v3, v2
	ds_bpermute_b32 v37, v3, v4 offset:12
	ds_bpermute_b32 v38, v3, v5 offset:12
	s_waitcnt vmcnt(16) lgkmcnt(6)
	v_add_f64 v[10:11], v[10:11], -v[106:107]
	v_add_co_u32 v106, vcc_lo, v54, v100
	v_add_co_ci_u32_e32 v107, vcc_lo, v55, v101, vcc_lo
	global_load_b64 v[118:119], v[34:35], off
	global_load_b64 v[106:107], v[106:107], off
	v_add_co_u32 v34, vcc_lo, v88, v100
	v_add_co_ci_u32_e32 v35, vcc_lo, v89, v101, vcc_lo
	v_add_co_u32 v120, vcc_lo, v56, v100
	v_add_co_ci_u32_e32 v121, vcc_lo, v57, v101, vcc_lo
	global_load_b64 v[124:125], v[34:35], off
	global_load_b64 v[120:121], v[120:121], off
	scratch_load_b64 v[34:35], off, off offset:24 ; 8-byte Folded Reload
	s_waitcnt vmcnt(20) lgkmcnt(4)
	v_add_f64 v[12:13], v[12:13], -v[114:115]
	ds_bpermute_b32 v114, v3, v4 offset:8
	ds_bpermute_b32 v115, v3, v5 offset:8
	s_waitcnt vmcnt(16) lgkmcnt(2)
	v_add_f64 v[20:21], v[20:21], -v[37:38]
	ds_bpermute_b32 v37, v3, v1 offset:8
	ds_bpermute_b32 v38, v3, v2 offset:8
	v_mul_f64 v[10:11], v[14:15], v[10:11]
	s_waitcnt lgkmcnt(2)
	v_add_f64 v[16:17], v[16:17], -v[114:115]
	v_mul_f64 v[12:13], v[18:19], v[12:13]
	s_waitcnt vmcnt(13)
	v_mul_f64 v[20:21], v[26:27], v[20:21]
	s_delay_alu instid0(VALU_DEP_3) | instskip(SKIP_4) | instid1(VALU_DEP_1)
	v_mul_f64 v[16:17], v[22:23], v[16:17]
	s_waitcnt vmcnt(0)
	v_add_f64 v[14:15], v[34:35], v[14:15]
	scratch_load_b64 v[34:35], off, off offset:16 ; 8-byte Folded Reload
	v_add_f64 v[14:15], v[14:15], v[18:19]
	v_add_f64 v[14:15], v[14:15], v[22:23]
	s_delay_alu instid0(VALU_DEP_1)
	v_add_f64 v[14:15], v[14:15], v[26:27]
	ds_bpermute_b32 v26, v3, v1 offset:16
	ds_bpermute_b32 v27, v3, v2 offset:16
	v_add_f64 v[14:15], v[14:15], v[30:31]
	s_waitcnt vmcnt(0)
	v_fma_f64 v[10:11], v[10:11], v[122:123], v[34:35]
	v_add_co_u32 v34, vcc_lo, v90, v100
	v_add_co_ci_u32_e32 v35, vcc_lo, v91, v101, vcc_lo
	v_add_co_u32 v114, vcc_lo, v58, v100
	v_add_co_ci_u32_e32 v115, vcc_lo, v59, v101, vcc_lo
	ds_bpermute_b32 v122, v3, v1 offset:4
	ds_bpermute_b32 v123, v3, v2 offset:4
	global_load_b64 v[126:127], v[34:35], off
	global_load_b64 v[114:115], v[114:115], off
	v_add_co_u32 v18, vcc_lo, v92, v100
	v_add_co_ci_u32_e32 v19, vcc_lo, v93, v101, vcc_lo
	v_add_co_u32 v34, vcc_lo, v60, v100
	v_add_co_ci_u32_e32 v35, vcc_lo, v61, v101, vcc_lo
	;; [unrolled: 2-line block ×3, first 2 shown]
	s_waitcnt lgkmcnt(0)
	v_fma_f64 v[10:11], v[12:13], v[122:123], v[10:11]
	ds_bpermute_b32 v12, v3, v4 offset:16
	ds_bpermute_b32 v13, v3, v5 offset:16
	global_load_b64 v[18:19], v[18:19], off
	global_load_b64 v[122:123], v[34:35], off
	ds_bpermute_b32 v34, v3, v1 offset:12
	ds_bpermute_b32 v35, v3, v2 offset:12
	s_waitcnt lgkmcnt(2)
	v_add_f64 v[12:13], v[24:25], -v[12:13]
	v_add_co_u32 v24, vcc_lo, v62, v100
	v_add_co_ci_u32_e32 v25, vcc_lo, v63, v101, vcc_lo
	global_load_b64 v[22:23], v[22:23], off
	global_load_b64 v[24:25], v[24:25], off
	v_fma_f64 v[10:11], v[16:17], v[37:38], v[10:11]
	ds_bpermute_b32 v16, v3, v4 offset:20
	ds_bpermute_b32 v17, v3, v5 offset:20
	s_waitcnt lgkmcnt(0)
	v_add_f64 v[16:17], v[28:29], -v[16:17]
	v_mul_f64 v[12:13], v[30:31], v[12:13]
	v_add_co_u32 v28, vcc_lo, v64, v100
	v_add_co_ci_u32_e32 v29, vcc_lo, v65, v101, vcc_lo
	v_fma_f64 v[10:11], v[20:21], v[34:35], v[10:11]
	v_add_co_u32 v34, vcc_lo, v96, v100
	v_add_co_ci_u32_e32 v35, vcc_lo, v97, v101, vcc_lo
	v_add_co_u32 v37, vcc_lo, v98, v100
	ds_bpermute_b32 v20, v3, v4 offset:24
	ds_bpermute_b32 v21, v3, v5 offset:24
	v_add_co_ci_u32_e32 v38, vcc_lo, v99, v101, vcc_lo
	global_load_b64 v[128:129], v[34:35], off
	global_load_b64 v[28:29], v[28:29], off
	;; [unrolled: 1-line block ×3, first 2 shown]
	v_add_co_u32 v30, vcc_lo, v66, v100
	v_add_co_ci_u32_e32 v31, vcc_lo, v67, v101, vcc_lo
	v_mul_f64 v[16:17], v[6:7], v[16:17]
	v_add_f64 v[6:7], v[14:15], v[6:7]
	ds_bpermute_b32 v14, v3, v4 offset:32
	ds_bpermute_b32 v15, v3, v5 offset:32
	s_waitcnt lgkmcnt(2)
	v_add_f64 v[20:21], v[32:33], -v[20:21]
	v_add_co_u32 v32, vcc_lo, v68, v100
	v_add_co_ci_u32_e32 v33, vcc_lo, v69, v101, vcc_lo
	global_load_b64 v[30:31], v[30:31], off
	global_load_b64 v[34:35], v[32:33], off
	v_fma_f64 v[10:11], v[12:13], v[26:27], v[10:11]
	ds_bpermute_b32 v12, v3, v4 offset:28
	ds_bpermute_b32 v13, v3, v5 offset:28
	;; [unrolled: 1-line block ×4, first 2 shown]
	s_waitcnt lgkmcnt(4)
	v_add_f64 v[14:15], v[110:111], -v[14:15]
	s_waitcnt lgkmcnt(2)
	v_add_f64 v[12:13], v[102:103], -v[12:13]
	v_add_f64 v[6:7], v[6:7], v[8:9]
	v_mul_f64 v[20:21], v[8:9], v[20:21]
	s_waitcnt lgkmcnt(0)
	v_fma_f64 v[10:11], v[16:17], v[26:27], v[10:11]
	ds_bpermute_b32 v16, v3, v1 offset:24
	ds_bpermute_b32 v17, v3, v2 offset:24
	v_mul_f64 v[14:15], v[106:107], v[14:15]
	v_mul_f64 v[12:13], v[104:105], v[12:13]
	v_add_f64 v[6:7], v[6:7], v[104:105]
	s_waitcnt lgkmcnt(0)
	v_fma_f64 v[8:9], v[20:21], v[16:17], v[10:11]
	ds_bpermute_b32 v10, v3, v4 offset:36
	ds_bpermute_b32 v11, v3, v5 offset:36
	;; [unrolled: 1-line block ×4, first 2 shown]
	s_waitcnt lgkmcnt(2)
	v_add_f64 v[10:11], v[118:119], -v[10:11]
	v_add_f64 v[6:7], v[6:7], v[106:107]
	s_waitcnt lgkmcnt(0)
	v_fma_f64 v[8:9], v[12:13], v[16:17], v[8:9]
	ds_bpermute_b32 v12, v3, v4 offset:40
	ds_bpermute_b32 v13, v3, v5 offset:40
	;; [unrolled: 1-line block ×4, first 2 shown]
	s_waitcnt lgkmcnt(2)
	v_add_f64 v[12:13], v[124:125], -v[12:13]
	v_mul_f64 v[10:11], v[120:121], v[10:11]
	v_add_f64 v[6:7], v[6:7], v[120:121]
	s_waitcnt lgkmcnt(0)
	v_fma_f64 v[8:9], v[14:15], v[16:17], v[8:9]
	ds_bpermute_b32 v14, v3, v4 offset:44
	ds_bpermute_b32 v15, v3, v5 offset:44
	ds_bpermute_b32 v16, v3, v1 offset:36
	ds_bpermute_b32 v17, v3, v2 offset:36
	s_waitcnt vmcnt(10) lgkmcnt(2)
	v_add_f64 v[14:15], v[126:127], -v[14:15]
	s_waitcnt vmcnt(9)
	v_mul_f64 v[12:13], v[114:115], v[12:13]
	v_add_f64 v[6:7], v[6:7], v[114:115]
	s_waitcnt lgkmcnt(0)
	v_fma_f64 v[8:9], v[10:11], v[16:17], v[8:9]
	ds_bpermute_b32 v10, v3, v4 offset:48
	ds_bpermute_b32 v11, v3, v5 offset:48
	ds_bpermute_b32 v16, v3, v1 offset:40
	ds_bpermute_b32 v17, v3, v2 offset:40
	s_waitcnt vmcnt(8) lgkmcnt(2)
	v_add_f64 v[10:11], v[18:19], -v[10:11]
	s_waitcnt vmcnt(7)
	v_mul_f64 v[14:15], v[122:123], v[14:15]
	v_add_f64 v[6:7], v[6:7], v[122:123]
	s_waitcnt lgkmcnt(0)
	v_fma_f64 v[8:9], v[12:13], v[16:17], v[8:9]
	ds_bpermute_b32 v12, v3, v4 offset:52
	ds_bpermute_b32 v13, v3, v5 offset:52
	ds_bpermute_b32 v16, v3, v1 offset:44
	ds_bpermute_b32 v17, v3, v2 offset:44
	s_waitcnt vmcnt(6) lgkmcnt(2)
	v_add_f64 v[12:13], v[22:23], -v[12:13]
	s_waitcnt vmcnt(5)
	v_mul_f64 v[10:11], v[24:25], v[10:11]
	v_add_f64 v[6:7], v[6:7], v[24:25]
	s_waitcnt lgkmcnt(0)
	v_fma_f64 v[8:9], v[14:15], v[16:17], v[8:9]
	ds_bpermute_b32 v14, v3, v4 offset:56
	ds_bpermute_b32 v15, v3, v5 offset:56
	;; [unrolled: 1-line block ×6, first 2 shown]
	s_waitcnt vmcnt(4) lgkmcnt(4)
	v_add_f64 v[14:15], v[128:129], -v[14:15]
	s_waitcnt vmcnt(3)
	v_mul_f64 v[12:13], v[28:29], v[12:13]
	s_waitcnt vmcnt(2) lgkmcnt(0)
	v_add_f64 v[4:5], v[37:38], -v[4:5]
	v_add_f64 v[6:7], v[6:7], v[28:29]
	v_fma_f64 v[8:9], v[10:11], v[16:17], v[8:9]
	ds_bpermute_b32 v10, v3, v1 offset:52
	ds_bpermute_b32 v11, v3, v2 offset:52
	;; [unrolled: 1-line block ×4, first 2 shown]
	s_waitcnt vmcnt(1)
	v_mul_f64 v[14:15], v[30:31], v[14:15]
	s_waitcnt lgkmcnt(2)
	v_fma_f64 v[8:9], v[12:13], v[10:11], v[8:9]
	s_waitcnt vmcnt(0)
	v_mul_f64 v[10:11], v[34:35], v[4:5]
	ds_bpermute_b32 v12, v3, v1 offset:56
	ds_bpermute_b32 v13, v3, v2 offset:56
	v_add_f64 v[4:5], v[6:7], v[30:31]
	s_waitcnt lgkmcnt(0)
	v_fma_f64 v[1:2], v[14:15], v[12:13], v[8:9]
	v_mul_f64 v[102:103], v[10:11], v[16:17]
.LBB36_86:                              ;   in Loop: Header=BB36_87 Depth=1
	s_delay_alu instid0(VALU_DEP_1)
	v_add_f64 v[1:2], v[1:2], v[102:103]
	v_add_co_u32 v40, vcc_lo, v40, s8
	v_add_co_ci_u32_e32 v41, vcc_lo, s9, v41, vcc_lo
	v_add_co_u32 v42, vcc_lo, v42, s8
	v_add_co_ci_u32_e32 v43, vcc_lo, s9, v43, vcc_lo
	;; [unrolled: 2-line block ×9, first 2 shown]
	v_add_co_u32 v58, vcc_lo, v58, s8
	scratch_store_b64 off, v[1:2], off offset:16 ; 8-byte Folded Spill
	v_add_f64 v[1:2], v[4:5], v[34:35]
	v_add_co_ci_u32_e32 v59, vcc_lo, s9, v59, vcc_lo
	v_add_co_u32 v60, vcc_lo, v60, s8
	v_add_co_ci_u32_e32 v61, vcc_lo, s9, v61, vcc_lo
	v_add_co_u32 v62, vcc_lo, v62, s8
	;; [unrolled: 2-line block ×9, first 2 shown]
	v_add_co_ci_u32_e32 v75, vcc_lo, s9, v75, vcc_lo
	scratch_store_b64 off, v[1:2], off offset:24 ; 8-byte Folded Spill
	scratch_load_b32 v1, off, off           ; 4-byte Folded Reload
	v_add_co_u32 v76, vcc_lo, v76, s8
	v_add_co_ci_u32_e32 v77, vcc_lo, s9, v77, vcc_lo
	v_add_co_u32 v78, vcc_lo, v78, s8
	v_add_co_ci_u32_e32 v79, vcc_lo, s9, v79, vcc_lo
	;; [unrolled: 2-line block ×13, first 2 shown]
	s_add_u32 s12, s12, s15
	s_addc_u32 s13, s13, 0
	s_add_u32 s20, s20, s15
	v_cmp_ge_i64_e64 s10, s[12:13], s[4:5]
	s_addc_u32 s21, s21, 0
	s_waitcnt vmcnt(0)
	v_add_co_u32 v1, vcc_lo, v1, s8
	scratch_store_b32 off, v1, off          ; 4-byte Folded Spill
	scratch_load_b32 v1, off, off offset:4  ; 4-byte Folded Reload
	s_waitcnt vmcnt(0)
	v_add_co_ci_u32_e32 v1, vcc_lo, s9, v1, vcc_lo
	scratch_store_b32 off, v1, off offset:4 ; 4-byte Folded Spill
	scratch_load_b32 v1, off, off offset:8  ; 4-byte Folded Reload
	s_waitcnt vmcnt(0)
	v_add_co_u32 v1, vcc_lo, v1, s8
	scratch_store_b32 off, v1, off offset:8 ; 4-byte Folded Spill
	scratch_load_b32 v1, off, off offset:12 ; 4-byte Folded Reload
	s_waitcnt vmcnt(0)
	v_add_co_ci_u32_e32 v1, vcc_lo, s9, v1, vcc_lo
	v_add_co_u32 v146, vcc_lo, v146, s8
	v_add_co_ci_u32_e32 v147, vcc_lo, s9, v147, vcc_lo
	v_add_co_u32 v148, vcc_lo, v148, s8
	;; [unrolled: 2-line block ×28, first 2 shown]
	v_add_co_ci_u32_e32 v36, vcc_lo, s9, v36, vcc_lo
	s_and_b32 vcc_lo, exec_lo, s10
	scratch_store_b32 off, v1, off offset:12 ; 4-byte Folded Spill
	s_cbranch_vccnz .LBB36_129
.LBB36_87:                              ; =>This Inner Loop Header: Depth=1
	scratch_load_b32 v1, off, off offset:68 ; 4-byte Folded Reload
	v_cmp_ge_i64_e64 s10, s[20:21], s[4:5]
	s_delay_alu instid0(VALU_DEP_1) | instskip(SKIP_2) | instid1(VALU_DEP_1)
	s_and_b32 vcc_lo, exec_lo, s10
	s_waitcnt vmcnt(0)
	v_add_co_u32 v37, s11, v1, s20
	v_add_co_ci_u32_e64 v118, null, 0, s21, s11
	s_cbranch_vccz .LBB36_125
; %bb.88:                               ;   in Loop: Header=BB36_87 Depth=1
	s_load_b32 s10, s[2:3], 0xc
	s_clause 0x1
	scratch_load_b32 v1, off, off offset:64
	scratch_load_b32 v2, off, off offset:72
	s_waitcnt lgkmcnt(0)
	s_and_b32 s10, s10, 0xffff
	s_waitcnt vmcnt(0)
	v_mad_u32_u24 v1, v1, s10, v2
	v_mov_b32_e32 v106, 0
	v_mov_b32_e32 v107, 0
	s_delay_alu instid0(VALU_DEP_2) | instskip(NEXT) | instid1(VALU_DEP_4)
	v_mov_b32_e32 v102, v106
	v_dual_mov_b32 v104, v106 :: v_dual_and_b32 v1, 31, v1
	s_mov_b32 s10, exec_lo
	s_delay_alu instid0(VALU_DEP_3) | instskip(SKIP_1) | instid1(VALU_DEP_3)
	v_mov_b32_e32 v105, v107
	v_mov_b32_e32 v103, v107
	v_cmpx_gt_u32_e32 16, v1
	s_cbranch_execz .LBB36_92
; %bb.89:                               ;   in Loop: Header=BB36_87 Depth=1
	v_add_co_u32 v1, vcc_lo, v37, v1
	v_mov_b32_e32 v104, 0
	v_add_co_ci_u32_e32 v2, vcc_lo, 0, v118, vcc_lo
	v_mov_b32_e32 v105, 0
	s_delay_alu instid0(VALU_DEP_4) | instskip(NEXT) | instid1(VALU_DEP_3)
	v_add_co_u32 v1, vcc_lo, 0xffffff01, v1
	v_add_co_ci_u32_e32 v2, vcc_lo, -1, v2, vcc_lo
	s_delay_alu instid0(VALU_DEP_3) | instskip(SKIP_1) | instid1(VALU_DEP_2)
	v_dual_mov_b32 v102, v104 :: v_dual_mov_b32 v103, v105
	s_mov_b32 s11, exec_lo
	v_cmpx_gt_i64_e64 s[4:5], v[1:2]
	s_cbranch_execz .LBB36_91
; %bb.90:                               ;   in Loop: Header=BB36_87 Depth=1
	v_lshlrev_b64 v[1:2], 3, v[1:2]
	s_delay_alu instid0(VALU_DEP_1) | instskip(NEXT) | instid1(VALU_DEP_2)
	v_add_co_u32 v4, vcc_lo, s16, v1
	v_add_co_ci_u32_e32 v5, vcc_lo, s17, v2, vcc_lo
	v_add_co_u32 v1, vcc_lo, s18, v1
	v_add_co_ci_u32_e32 v2, vcc_lo, s19, v2, vcc_lo
	global_load_b64 v[104:105], v[4:5], off
	global_load_b64 v[102:103], v[1:2], off
.LBB36_91:                              ;   in Loop: Header=BB36_87 Depth=1
	s_or_b32 exec_lo, exec_lo, s11
.LBB36_92:                              ;   in Loop: Header=BB36_87 Depth=1
	s_delay_alu instid0(SALU_CYCLE_1)
	s_or_b32 exec_lo, exec_lo, s10
	v_add_co_u32 v1, vcc_lo, 0xffffff01, v37
	s_mov_b32 s37, s36
	s_mov_b32 s38, s36
	;; [unrolled: 1-line block ×31, first 2 shown]
	v_dual_mov_b32 v4, s36 :: v_dual_mov_b32 v5, s37
	v_add_co_ci_u32_e32 v2, vcc_lo, -1, v118, vcc_lo
	v_dual_mov_b32 v6, s38 :: v_dual_mov_b32 v7, s39
	v_dual_mov_b32 v8, s40 :: v_dual_mov_b32 v9, s41
	;; [unrolled: 1-line block ×15, first 2 shown]
	s_mov_b32 s10, exec_lo
	scratch_store_b64 off, v[106:107], off offset:32 ; 8-byte Folded Spill
	v_cmpx_gt_i64_e64 s[4:5], v[1:2]
	s_cbranch_execz .LBB36_94
; %bb.93:                               ;   in Loop: Header=BB36_87 Depth=1
	v_add_co_u32 v1, vcc_lo, v138, v100
	v_add_co_ci_u32_e32 v2, vcc_lo, v139, v101, vcc_lo
	v_add_co_u32 v4, vcc_lo, v140, v100
	v_add_co_ci_u32_e32 v5, vcc_lo, v141, v101, vcc_lo
	global_load_b64 v[1:2], v[1:2], off
	v_mov_b32_e32 v32, v3
	v_mov_b32_e32 v6, v3
	global_load_b64 v[4:5], v[4:5], off
	v_mov_b32_e32 v7, v3
	v_mov_b32_e32 v8, v3
	;; [unrolled: 1-line block ×25, first 2 shown]
	s_waitcnt vmcnt(0)
	scratch_store_b64 off, v[4:5], off offset:32 ; 8-byte Folded Spill
	v_mov_b32_e32 v4, v3
	v_mov_b32_e32 v5, v3
	;; [unrolled: 1-line block ×3, first 2 shown]
	v_dual_mov_b32 v34, v31 :: v_dual_mov_b32 v33, v30
	v_mov_b32_e32 v32, v29
	v_mov_b32_e32 v31, v28
	;; [unrolled: 1-line block ×29, first 2 shown]
.LBB36_94:                              ;   in Loop: Header=BB36_87 Depth=1
	s_or_b32 exec_lo, exec_lo, s10
	v_add_co_u32 v1, vcc_lo, 0xffffff02, v37
	v_add_co_ci_u32_e32 v2, vcc_lo, -1, v118, vcc_lo
	s_mov_b32 s10, exec_lo
	s_delay_alu instid0(VALU_DEP_1)
	v_cmpx_gt_i64_e64 s[4:5], v[1:2]
	s_cbranch_execz .LBB36_96
; %bb.95:                               ;   in Loop: Header=BB36_87 Depth=1
	v_add_co_u32 v1, vcc_lo, v113, v100
	v_add_co_ci_u32_e32 v2, vcc_lo, v116, v101, vcc_lo
	v_add_co_u32 v106, vcc_lo, v117, v100
	v_add_co_ci_u32_e32 v107, vcc_lo, v36, v101, vcc_lo
	global_load_b64 v[6:7], v[1:2], off
	global_load_b64 v[106:107], v[106:107], off
.LBB36_96:                              ;   in Loop: Header=BB36_87 Depth=1
	s_or_b32 exec_lo, exec_lo, s10
	v_add_co_u32 v110, vcc_lo, 0xffffff03, v37
	v_mov_b32_e32 v1, 0
	v_add_co_ci_u32_e32 v111, vcc_lo, -1, v118, vcc_lo
	v_mov_b32_e32 v2, 0
	s_mov_b32 s10, exec_lo
	scratch_store_b64 off, v[1:2], off offset:40 ; 8-byte Folded Spill
	v_cmpx_gt_i64_e64 s[4:5], v[110:111]
	s_cbranch_execz .LBB36_98
; %bb.97:                               ;   in Loop: Header=BB36_87 Depth=1
	v_add_co_u32 v8, vcc_lo, v136, v100
	v_add_co_ci_u32_e32 v9, vcc_lo, v108, v101, vcc_lo
	v_add_co_u32 v110, vcc_lo, v109, v100
	v_add_co_ci_u32_e32 v111, vcc_lo, v112, v101, vcc_lo
	global_load_b64 v[8:9], v[8:9], off
	global_load_b64 v[38:39], v[110:111], off
	s_waitcnt vmcnt(0)
	scratch_store_b64 off, v[38:39], off offset:40 ; 8-byte Folded Spill
.LBB36_98:                              ;   in Loop: Header=BB36_87 Depth=1
	s_or_b32 exec_lo, exec_lo, s10
	v_add_co_u32 v110, vcc_lo, 0xffffff04, v37
	v_add_co_ci_u32_e32 v111, vcc_lo, -1, v118, vcc_lo
	s_mov_b32 s10, exec_lo
	s_delay_alu instid0(VALU_DEP_1)
	v_cmpx_gt_i64_e64 s[4:5], v[110:111]
	s_cbranch_execz .LBB36_100
; %bb.99:                               ;   in Loop: Header=BB36_87 Depth=1
	v_add_co_u32 v1, vcc_lo, v190, v100
	v_add_co_ci_u32_e32 v2, vcc_lo, v191, v101, vcc_lo
	v_add_co_u32 v110, vcc_lo, v137, v100
	v_add_co_ci_u32_e32 v111, vcc_lo, v0, v101, vcc_lo
	global_load_b64 v[10:11], v[1:2], off
	global_load_b64 v[1:2], v[110:111], off
.LBB36_100:                             ;   in Loop: Header=BB36_87 Depth=1
	s_or_b32 exec_lo, exec_lo, s10
	v_add_co_u32 v114, vcc_lo, 0xffffff05, v37
	v_mov_b32_e32 v110, 0
	v_add_co_ci_u32_e32 v115, vcc_lo, -1, v118, vcc_lo
	v_mov_b32_e32 v111, 0
	s_mov_b32 s10, exec_lo
	scratch_store_b64 off, v[110:111], off offset:48 ; 8-byte Folded Spill
	v_cmpx_gt_i64_e64 s[4:5], v[114:115]
	s_cbranch_execz .LBB36_102
; %bb.101:                              ;   in Loop: Header=BB36_87 Depth=1
	v_add_co_u32 v12, vcc_lo, v186, v100
	v_add_co_ci_u32_e32 v13, vcc_lo, v187, v101, vcc_lo
	v_add_co_u32 v114, vcc_lo, v188, v100
	v_add_co_ci_u32_e32 v115, vcc_lo, v189, v101, vcc_lo
	global_load_b64 v[12:13], v[12:13], off
	global_load_b64 v[38:39], v[114:115], off
	s_waitcnt vmcnt(0)
	scratch_store_b64 off, v[38:39], off offset:48 ; 8-byte Folded Spill
.LBB36_102:                             ;   in Loop: Header=BB36_87 Depth=1
	s_or_b32 exec_lo, exec_lo, s10
	v_add_co_u32 v114, vcc_lo, 0xffffff06, v37
	v_add_co_ci_u32_e32 v115, vcc_lo, -1, v118, vcc_lo
	s_mov_b32 s10, exec_lo
	s_delay_alu instid0(VALU_DEP_1)
	v_cmpx_gt_i64_e64 s[4:5], v[114:115]
	s_cbranch_execz .LBB36_104
; %bb.103:                              ;   in Loop: Header=BB36_87 Depth=1
	v_add_co_u32 v14, vcc_lo, v182, v100
	v_add_co_ci_u32_e32 v15, vcc_lo, v183, v101, vcc_lo
	v_add_co_u32 v110, vcc_lo, v184, v100
	v_add_co_ci_u32_e32 v111, vcc_lo, v185, v101, vcc_lo
	global_load_b64 v[14:15], v[14:15], off
	global_load_b64 v[110:111], v[110:111], off
.LBB36_104:                             ;   in Loop: Header=BB36_87 Depth=1
	s_or_b32 exec_lo, exec_lo, s10
	v_add_co_u32 v119, vcc_lo, 0xffffff07, v37
	v_mov_b32_e32 v114, 0
	v_add_co_ci_u32_e32 v120, vcc_lo, -1, v118, vcc_lo
	v_mov_b32_e32 v115, 0
	s_mov_b32 s10, exec_lo
	scratch_store_b64 off, v[114:115], off offset:56 ; 8-byte Folded Spill
	v_cmpx_gt_i64_e64 s[4:5], v[119:120]
	s_cbranch_execz .LBB36_106
; %bb.105:                              ;   in Loop: Header=BB36_87 Depth=1
	v_add_co_u32 v16, vcc_lo, v178, v100
	v_add_co_ci_u32_e32 v17, vcc_lo, v179, v101, vcc_lo
	v_add_co_u32 v119, vcc_lo, v180, v100
	v_add_co_ci_u32_e32 v120, vcc_lo, v181, v101, vcc_lo
	global_load_b64 v[16:17], v[16:17], off
	global_load_b64 v[38:39], v[119:120], off
	s_waitcnt vmcnt(0)
	scratch_store_b64 off, v[38:39], off offset:56 ; 8-byte Folded Spill
.LBB36_106:                             ;   in Loop: Header=BB36_87 Depth=1
	s_or_b32 exec_lo, exec_lo, s10
	v_add_co_u32 v119, vcc_lo, 0xffffff08, v37
	v_add_co_ci_u32_e32 v120, vcc_lo, -1, v118, vcc_lo
	s_mov_b32 s10, exec_lo
	s_delay_alu instid0(VALU_DEP_1)
	v_cmpx_gt_i64_e64 s[4:5], v[119:120]
	s_cbranch_execz .LBB36_108
; %bb.107:                              ;   in Loop: Header=BB36_87 Depth=1
	v_add_co_u32 v18, vcc_lo, v174, v100
	v_add_co_ci_u32_e32 v19, vcc_lo, v175, v101, vcc_lo
	v_add_co_u32 v114, vcc_lo, v176, v100
	v_add_co_ci_u32_e32 v115, vcc_lo, v177, v101, vcc_lo
	global_load_b64 v[18:19], v[18:19], off
	global_load_b64 v[114:115], v[114:115], off
.LBB36_108:                             ;   in Loop: Header=BB36_87 Depth=1
	s_or_b32 exec_lo, exec_lo, s10
	v_mov_b32_e32 v120, 0
	v_mov_b32_e32 v121, 0
	v_add_co_u32 v122, vcc_lo, 0xffffff09, v37
	v_add_co_ci_u32_e32 v123, vcc_lo, -1, v118, vcc_lo
	s_delay_alu instid0(VALU_DEP_3) | instskip(SKIP_1) | instid1(VALU_DEP_2)
	v_dual_mov_b32 v143, v121 :: v_dual_mov_b32 v142, v120
	s_mov_b32 s10, exec_lo
	v_cmpx_gt_i64_e64 s[4:5], v[122:123]
	s_cbranch_execz .LBB36_110
; %bb.109:                              ;   in Loop: Header=BB36_87 Depth=1
	v_add_co_u32 v20, vcc_lo, v170, v100
	v_add_co_ci_u32_e32 v21, vcc_lo, v171, v101, vcc_lo
	v_add_co_u32 v122, vcc_lo, v172, v100
	v_add_co_ci_u32_e32 v123, vcc_lo, v173, v101, vcc_lo
	global_load_b64 v[20:21], v[20:21], off
	global_load_b64 v[142:143], v[122:123], off
.LBB36_110:                             ;   in Loop: Header=BB36_87 Depth=1
	s_or_b32 exec_lo, exec_lo, s10
	v_add_co_u32 v124, vcc_lo, 0xffffff0a, v37
	v_add_co_ci_u32_e32 v125, vcc_lo, -1, v118, vcc_lo
	s_mov_b32 s10, exec_lo
	s_delay_alu instid0(VALU_DEP_1)
	v_cmpx_gt_i64_e64 s[4:5], v[124:125]
	s_cbranch_execz .LBB36_112
; %bb.111:                              ;   in Loop: Header=BB36_87 Depth=1
	v_add_co_u32 v22, vcc_lo, v166, v100
	v_add_co_ci_u32_e32 v23, vcc_lo, v167, v101, vcc_lo
	v_add_co_u32 v119, vcc_lo, v168, v100
	v_add_co_ci_u32_e32 v120, vcc_lo, v169, v101, vcc_lo
	global_load_b64 v[22:23], v[22:23], off
	global_load_b64 v[120:121], v[119:120], off
.LBB36_112:                             ;   in Loop: Header=BB36_87 Depth=1
	s_or_b32 exec_lo, exec_lo, s10
	v_mov_b32_e32 v124, 0
	v_mov_b32_e32 v125, 0
	v_add_co_u32 v126, vcc_lo, 0xffffff0b, v37
	v_add_co_ci_u32_e32 v127, vcc_lo, -1, v118, vcc_lo
	s_delay_alu instid0(VALU_DEP_3) | instskip(SKIP_1) | instid1(VALU_DEP_2)
	v_dual_mov_b32 v145, v125 :: v_dual_mov_b32 v144, v124
	s_mov_b32 s10, exec_lo
	v_cmpx_gt_i64_e64 s[4:5], v[126:127]
	s_cbranch_execz .LBB36_114
; %bb.113:                              ;   in Loop: Header=BB36_87 Depth=1
	v_add_co_u32 v24, vcc_lo, v162, v100
	v_add_co_ci_u32_e32 v25, vcc_lo, v163, v101, vcc_lo
	v_add_co_u32 v126, vcc_lo, v164, v100
	v_add_co_ci_u32_e32 v127, vcc_lo, v165, v101, vcc_lo
	global_load_b64 v[24:25], v[24:25], off
	global_load_b64 v[144:145], v[126:127], off
.LBB36_114:                             ;   in Loop: Header=BB36_87 Depth=1
	s_or_b32 exec_lo, exec_lo, s10
	v_add_co_u32 v128, vcc_lo, 0xffffff0c, v37
	v_add_co_ci_u32_e32 v129, vcc_lo, -1, v118, vcc_lo
	s_mov_b32 s10, exec_lo
	s_delay_alu instid0(VALU_DEP_1)
	v_cmpx_gt_i64_e64 s[4:5], v[128:129]
	s_cbranch_execz .LBB36_116
; %bb.115:                              ;   in Loop: Header=BB36_87 Depth=1
	v_add_co_u32 v26, vcc_lo, v158, v100
	v_add_co_ci_u32_e32 v27, vcc_lo, v159, v101, vcc_lo
	v_add_co_u32 v124, vcc_lo, v160, v100
	v_add_co_ci_u32_e32 v125, vcc_lo, v161, v101, vcc_lo
	global_load_b64 v[26:27], v[26:27], off
	global_load_b64 v[124:125], v[124:125], off
.LBB36_116:                             ;   in Loop: Header=BB36_87 Depth=1
	s_or_b32 exec_lo, exec_lo, s10
	v_add_co_u32 v130, vcc_lo, 0xffffff0d, v37
	v_add_co_ci_u32_e32 v131, vcc_lo, -1, v118, vcc_lo
	v_mov_b32_e32 v128, 0
	v_mov_b32_e32 v129, 0
	s_delay_alu instid0(VALU_DEP_3) | instskip(NEXT) | instid1(VALU_DEP_2)
	v_cmp_gt_i64_e32 vcc_lo, s[4:5], v[130:131]
	v_dual_mov_b32 v131, v129 :: v_dual_mov_b32 v130, v128
	s_and_saveexec_b32 s10, vcc_lo
	s_cbranch_execz .LBB36_118
; %bb.117:                              ;   in Loop: Header=BB36_87 Depth=1
	v_add_co_u32 v28, vcc_lo, v154, v100
	v_add_co_ci_u32_e32 v29, vcc_lo, v155, v101, vcc_lo
	v_add_co_u32 v130, vcc_lo, v156, v100
	v_add_co_ci_u32_e32 v131, vcc_lo, v157, v101, vcc_lo
	global_load_b64 v[28:29], v[28:29], off
	global_load_b64 v[130:131], v[130:131], off
.LBB36_118:                             ;   in Loop: Header=BB36_87 Depth=1
	s_or_b32 exec_lo, exec_lo, s10
	v_add_co_u32 v132, vcc_lo, 0xffffff0e, v37
	v_add_co_ci_u32_e32 v133, vcc_lo, -1, v118, vcc_lo
	s_mov_b32 s10, exec_lo
	s_delay_alu instid0(VALU_DEP_1)
	v_cmpx_gt_i64_e64 s[4:5], v[132:133]
	s_cbranch_execz .LBB36_120
; %bb.119:                              ;   in Loop: Header=BB36_87 Depth=1
	v_add_co_u32 v30, vcc_lo, v150, v100
	v_add_co_ci_u32_e32 v31, vcc_lo, v151, v101, vcc_lo
	v_add_co_u32 v128, vcc_lo, v152, v100
	v_add_co_ci_u32_e32 v129, vcc_lo, v153, v101, vcc_lo
	global_load_b64 v[30:31], v[30:31], off
	global_load_b64 v[128:129], v[128:129], off
.LBB36_120:                             ;   in Loop: Header=BB36_87 Depth=1
	s_or_b32 exec_lo, exec_lo, s10
	v_add_co_u32 v134, vcc_lo, 0xffffff0f, v37
	v_add_co_ci_u32_e32 v135, vcc_lo, -1, v118, vcc_lo
	v_mov_b32_e32 v132, 0
	v_mov_b32_e32 v133, 0
	s_delay_alu instid0(VALU_DEP_3) | instskip(NEXT) | instid1(VALU_DEP_2)
	v_cmp_gt_i64_e32 vcc_lo, s[4:5], v[134:135]
	v_dual_mov_b32 v135, v133 :: v_dual_mov_b32 v134, v132
	s_and_saveexec_b32 s10, vcc_lo
	s_cbranch_execz .LBB36_122
; %bb.121:                              ;   in Loop: Header=BB36_87 Depth=1
	v_add_co_u32 v32, vcc_lo, v146, v100
	v_add_co_ci_u32_e32 v33, vcc_lo, v147, v101, vcc_lo
	v_add_co_u32 v134, vcc_lo, v148, v100
	v_add_co_ci_u32_e32 v135, vcc_lo, v149, v101, vcc_lo
	global_load_b64 v[32:33], v[32:33], off
	global_load_b64 v[134:135], v[134:135], off
.LBB36_122:                             ;   in Loop: Header=BB36_87 Depth=1
	s_or_b32 exec_lo, exec_lo, s10
	v_add_co_u32 v38, vcc_lo, 0xffffff10, v37
	v_add_co_ci_u32_e32 v39, vcc_lo, -1, v118, vcc_lo
	s_mov_b32 s10, exec_lo
	s_delay_alu instid0(VALU_DEP_1)
	v_cmpx_gt_i64_e64 s[4:5], v[38:39]
	s_cbranch_execz .LBB36_124
; %bb.123:                              ;   in Loop: Header=BB36_87 Depth=1
	s_clause 0x3
	scratch_load_b32 v34, off, off
	scratch_load_b32 v35, off, off offset:4
	scratch_load_b32 v38, off, off offset:8
	;; [unrolled: 1-line block ×3, first 2 shown]
	s_waitcnt vmcnt(3)
	v_add_co_u32 v34, vcc_lo, v34, v100
	s_waitcnt vmcnt(2)
	v_add_co_ci_u32_e32 v35, vcc_lo, v35, v101, vcc_lo
	s_waitcnt vmcnt(1)
	v_add_co_u32 v38, vcc_lo, v38, v100
	s_waitcnt vmcnt(0)
	v_add_co_ci_u32_e32 v39, vcc_lo, v39, v101, vcc_lo
	global_load_b64 v[34:35], v[34:35], off
	global_load_b64 v[132:133], v[38:39], off
.LBB36_124:                             ;   in Loop: Header=BB36_87 Depth=1
	s_or_b32 exec_lo, exec_lo, s10
	s_clause 0x1
	scratch_load_b64 v[122:123], off, off offset:32
	scratch_load_b64 v[126:127], off, off offset:16
	s_waitcnt vmcnt(3)
	ds_bpermute_b32 v38, v3, v104
	ds_bpermute_b32 v39, v3, v105
	s_waitcnt vmcnt(1) lgkmcnt(0)
	v_add_f64 v[38:39], v[122:123], -v[38:39]
	ds_bpermute_b32 v122, v3, v104 offset:4
	ds_bpermute_b32 v123, v3, v105 offset:4
	s_waitcnt lgkmcnt(0)
	v_add_f64 v[106:107], v[106:107], -v[122:123]
	ds_bpermute_b32 v122, v3, v102
	ds_bpermute_b32 v123, v3, v103
	v_mul_f64 v[38:39], v[4:5], v[38:39]
	v_mul_f64 v[106:107], v[6:7], v[106:107]
	s_waitcnt vmcnt(0) lgkmcnt(0)
	s_delay_alu instid0(VALU_DEP_2)
	v_fma_f64 v[38:39], v[38:39], v[122:123], v[126:127]
	ds_bpermute_b32 v122, v3, v102 offset:4
	ds_bpermute_b32 v123, v3, v103 offset:4
	s_waitcnt lgkmcnt(0)
	v_fma_f64 v[38:39], v[106:107], v[122:123], v[38:39]
	scratch_load_b64 v[122:123], off, off offset:40 ; 8-byte Folded Reload
	ds_bpermute_b32 v106, v3, v104 offset:8
	ds_bpermute_b32 v107, v3, v105 offset:8
	s_waitcnt vmcnt(0) lgkmcnt(0)
	v_add_f64 v[106:107], v[122:123], -v[106:107]
	ds_bpermute_b32 v122, v3, v102 offset:8
	ds_bpermute_b32 v123, v3, v103 offset:8
	v_mul_f64 v[106:107], v[8:9], v[106:107]
	s_waitcnt lgkmcnt(0)
	s_delay_alu instid0(VALU_DEP_1)
	v_fma_f64 v[38:39], v[106:107], v[122:123], v[38:39]
	ds_bpermute_b32 v106, v3, v104 offset:12
	ds_bpermute_b32 v107, v3, v105 offset:12
	s_waitcnt lgkmcnt(0)
	v_add_f64 v[1:2], v[1:2], -v[106:107]
	ds_bpermute_b32 v106, v3, v102 offset:12
	ds_bpermute_b32 v107, v3, v103 offset:12
	v_mul_f64 v[1:2], v[10:11], v[1:2]
	s_waitcnt lgkmcnt(0)
	s_delay_alu instid0(VALU_DEP_1)
	v_fma_f64 v[1:2], v[1:2], v[106:107], v[38:39]
	scratch_load_b64 v[106:107], off, off offset:48 ; 8-byte Folded Reload
	ds_bpermute_b32 v38, v3, v104 offset:16
	ds_bpermute_b32 v39, v3, v105 offset:16
	s_waitcnt vmcnt(0) lgkmcnt(0)
	v_add_f64 v[38:39], v[106:107], -v[38:39]
	ds_bpermute_b32 v106, v3, v102 offset:16
	ds_bpermute_b32 v107, v3, v103 offset:16
	v_mul_f64 v[38:39], v[12:13], v[38:39]
	s_waitcnt lgkmcnt(0)
	s_delay_alu instid0(VALU_DEP_1)
	v_fma_f64 v[1:2], v[38:39], v[106:107], v[1:2]
	ds_bpermute_b32 v38, v3, v104 offset:20
	ds_bpermute_b32 v39, v3, v105 offset:20
	;; [unrolled: 1-line block ×4, first 2 shown]
	s_waitcnt lgkmcnt(2)
	v_add_f64 v[38:39], v[110:111], -v[38:39]
	s_delay_alu instid0(VALU_DEP_1) | instskip(SKIP_1) | instid1(VALU_DEP_1)
	v_mul_f64 v[38:39], v[14:15], v[38:39]
	s_waitcnt lgkmcnt(0)
	v_fma_f64 v[1:2], v[38:39], v[106:107], v[1:2]
	scratch_load_b64 v[106:107], off, off offset:56 ; 8-byte Folded Reload
	ds_bpermute_b32 v38, v3, v104 offset:24
	ds_bpermute_b32 v39, v3, v105 offset:24
	s_waitcnt vmcnt(0) lgkmcnt(0)
	v_add_f64 v[38:39], v[106:107], -v[38:39]
	ds_bpermute_b32 v106, v3, v102 offset:24
	ds_bpermute_b32 v107, v3, v103 offset:24
	v_mul_f64 v[38:39], v[16:17], v[38:39]
	s_waitcnt lgkmcnt(0)
	s_delay_alu instid0(VALU_DEP_1)
	v_fma_f64 v[1:2], v[38:39], v[106:107], v[1:2]
	ds_bpermute_b32 v38, v3, v104 offset:28
	ds_bpermute_b32 v39, v3, v105 offset:28
	ds_bpermute_b32 v106, v3, v102 offset:28
	ds_bpermute_b32 v107, v3, v103 offset:28
	s_waitcnt lgkmcnt(2)
	v_add_f64 v[38:39], v[114:115], -v[38:39]
	s_delay_alu instid0(VALU_DEP_1) | instskip(SKIP_1) | instid1(VALU_DEP_1)
	v_mul_f64 v[38:39], v[18:19], v[38:39]
	s_waitcnt lgkmcnt(0)
	v_fma_f64 v[1:2], v[38:39], v[106:107], v[1:2]
	ds_bpermute_b32 v38, v3, v104 offset:32
	ds_bpermute_b32 v39, v3, v105 offset:32
	ds_bpermute_b32 v106, v3, v102 offset:32
	ds_bpermute_b32 v107, v3, v103 offset:32
	s_waitcnt lgkmcnt(2)
	v_add_f64 v[38:39], v[142:143], -v[38:39]
	s_delay_alu instid0(VALU_DEP_1) | instskip(SKIP_1) | instid1(VALU_DEP_1)
	v_mul_f64 v[38:39], v[20:21], v[38:39]
	s_waitcnt lgkmcnt(0)
	;; [unrolled: 10-line block ×7, first 2 shown]
	v_fma_f64 v[1:2], v[38:39], v[106:107], v[1:2]
	ds_bpermute_b32 v38, v3, v104 offset:56
	ds_bpermute_b32 v39, v3, v105 offset:56
	;; [unrolled: 1-line block ×6, first 2 shown]
	s_waitcnt lgkmcnt(4)
	v_add_f64 v[38:39], v[134:135], -v[38:39]
	s_delay_alu instid0(VALU_DEP_1) | instskip(SKIP_1) | instid1(VALU_DEP_1)
	v_mul_f64 v[38:39], v[32:33], v[38:39]
	s_waitcnt lgkmcnt(2)
	v_fma_f64 v[1:2], v[38:39], v[106:107], v[1:2]
	ds_bpermute_b32 v38, v3, v104 offset:60
	ds_bpermute_b32 v39, v3, v105 offset:60
	s_waitcnt lgkmcnt(0)
	v_add_f64 v[38:39], v[132:133], -v[38:39]
	s_delay_alu instid0(VALU_DEP_1) | instskip(NEXT) | instid1(VALU_DEP_1)
	v_mul_f64 v[38:39], v[34:35], v[38:39]
	v_mul_f64 v[102:103], v[38:39], v[102:103]
	scratch_load_b64 v[38:39], off, off offset:24 ; 8-byte Folded Reload
	s_waitcnt vmcnt(0)
	v_add_f64 v[4:5], v[38:39], v[4:5]
	s_delay_alu instid0(VALU_DEP_1) | instskip(NEXT) | instid1(VALU_DEP_1)
	v_add_f64 v[4:5], v[6:7], v[4:5]
	v_add_f64 v[4:5], v[8:9], v[4:5]
	s_delay_alu instid0(VALU_DEP_1) | instskip(NEXT) | instid1(VALU_DEP_1)
	v_add_f64 v[4:5], v[10:11], v[4:5]
	;; [unrolled: 3-line block ×7, first 2 shown]
	v_add_f64 v[4:5], v[32:33], v[4:5]
	s_branch .LBB36_86
.LBB36_125:                             ;   in Loop: Header=BB36_87 Depth=1
                                        ; implicit-def: $vgpr34_vgpr35
                                        ; implicit-def: $vgpr102_vgpr103
                                        ; implicit-def: $vgpr4_vgpr5
                                        ; implicit-def: $vgpr1_vgpr2
	s_cbranch_execz .LBB36_86
; %bb.126:                              ;   in Loop: Header=BB36_87 Depth=1
	s_load_b32 s10, s[2:3], 0x0
	s_waitcnt lgkmcnt(0)
	s_cmp_lt_u32 s14, s10
	s_cselect_b32 s10, 12, 18
	s_delay_alu instid0(SALU_CYCLE_1)
	s_add_u32 s10, s2, s10
	s_addc_u32 s11, s3, 0
	global_load_u16 v1, v3, s[10:11]
	s_clause 0x1
	scratch_load_b32 v2, off, off offset:64
	scratch_load_b32 v4, off, off offset:72
	s_mov_b32 s10, exec_lo
	s_waitcnt vmcnt(0)
	v_mad_u32_u24 v4, v2, v1, v4
	v_mov_b32_e32 v1, 0
	v_mov_b32_e32 v2, 0
	s_delay_alu instid0(VALU_DEP_1) | instskip(NEXT) | instid1(VALU_DEP_3)
	v_dual_mov_b32 v5, v2 :: v_dual_and_b32 v6, 31, v4
	v_mov_b32_e32 v4, v1
	s_delay_alu instid0(VALU_DEP_2)
	v_cmpx_gt_u32_e32 16, v6
	s_cbranch_execz .LBB36_85
; %bb.127:                              ;   in Loop: Header=BB36_87 Depth=1
	v_add_co_u32 v1, vcc_lo, v37, v6
	v_mov_b32_e32 v4, 0
	v_add_co_ci_u32_e32 v2, vcc_lo, 0, v118, vcc_lo
	v_mov_b32_e32 v5, 0
	s_delay_alu instid0(VALU_DEP_4) | instskip(NEXT) | instid1(VALU_DEP_3)
	v_add_co_u32 v6, vcc_lo, 0xffffff01, v1
	v_add_co_ci_u32_e32 v7, vcc_lo, -1, v2, vcc_lo
	s_delay_alu instid0(VALU_DEP_3) | instskip(SKIP_1) | instid1(VALU_DEP_2)
	v_dual_mov_b32 v1, v4 :: v_dual_mov_b32 v2, v5
	s_mov_b32 s11, exec_lo
	v_cmpx_gt_i64_e64 s[4:5], v[6:7]
	s_cbranch_execz .LBB36_84
; %bb.128:                              ;   in Loop: Header=BB36_87 Depth=1
	v_lshlrev_b64 v[1:2], 3, v[6:7]
	s_delay_alu instid0(VALU_DEP_1) | instskip(NEXT) | instid1(VALU_DEP_2)
	v_add_co_u32 v4, vcc_lo, s16, v1
	v_add_co_ci_u32_e32 v5, vcc_lo, s17, v2, vcc_lo
	v_add_co_u32 v1, vcc_lo, s18, v1
	v_add_co_ci_u32_e32 v2, vcc_lo, s19, v2, vcc_lo
	global_load_b64 v[4:5], v[4:5], off
	global_load_b64 v[1:2], v[1:2], off
	s_branch .LBB36_84
.LBB36_129:
	s_clause 0x2
	scratch_load_b32 v144, off, off offset:76
	scratch_load_b64 v[145:146], off, off offset:16
	scratch_load_b64 v[147:148], off, off offset:24
.LBB36_130:
	s_waitcnt vmcnt(2)
	v_and_b32_e32 v0, 0x3ff, v144
	v_bfe_u32 v1, v144, 10, 10
	s_mov_b32 s15, 0
	s_mov_b32 s2, exec_lo
	s_delay_alu instid0(VALU_DEP_1) | instskip(NEXT) | instid1(VALU_DEP_1)
	v_mad_u32_u24 v2, 0x41, v1, v0
	v_sub_nc_u32_e32 v1, v2, v1
	v_lshl_add_u32 v2, v2, 3, 0
	s_waitcnt vmcnt(1)
	ds_store_b64 v2, v[145:146]
	s_waitcnt vmcnt(0)
	ds_store_b64 v2, v[147:148] offset:8320
	s_waitcnt lgkmcnt(0)
	s_waitcnt_vscnt null, 0x0
	s_barrier
	buffer_gl0_inv
	v_cmpx_gt_u32_e32 0x800, v1
	s_cbranch_execz .LBB36_140
; %bb.131:
	v_mbcnt_lo_u32_b32 v2, -1, 0
	s_load_b128 s[8:11], s[0:1], 0x30
	v_cmp_eq_u32_e64 s0, 0, v0
	v_lshrrev_b32_e32 v8, 5, v1
	s_lshl_b64 s[4:5], s[14:15], 6
	v_xor_b32_e32 v5, 1, v2
	v_and_b32_e32 v3, 31, v0
	v_xor_b32_e32 v0, 8, v2
	v_xor_b32_e32 v1, 4, v2
	;; [unrolled: 1-line block ×3, first 2 shown]
                                        ; implicit-def: $vgpr6_vgpr7
	v_mov_b32_e32 v13, 0
	s_delay_alu instid0(VALU_DEP_4) | instskip(SKIP_4) | instid1(VALU_DEP_2)
	v_cmp_gt_i32_e32 vcc_lo, 32, v0
	v_cndmask_b32_e32 v0, v2, v0, vcc_lo
	v_cmp_gt_i32_e32 vcc_lo, 32, v1
	s_waitcnt lgkmcnt(0)
	s_cmp_lg_u64 s[8:9], 0
	v_lshlrev_b32_e32 v9, 2, v0
	v_dual_cndmask_b32 v1, v2, v1 :: v_dual_lshlrev_b32 v0, 3, v8
	v_cmp_gt_i32_e32 vcc_lo, 32, v4
	s_cselect_b32 s3, -1, 0
	s_cmp_lg_u64 s[10:11], 0
	s_delay_alu instid0(VALU_DEP_2) | instskip(SKIP_4) | instid1(VALU_DEP_2)
	v_lshlrev_b32_e32 v10, 2, v1
	s_cselect_b32 s12, -1, 0
	v_cndmask_b32_e32 v4, v2, v4, vcc_lo
	v_cmp_gt_i32_e32 vcc_lo, 32, v5
	s_lshl_b64 s[16:17], s[14:15], 9
	v_dual_cndmask_b32 v2, v2, v5 :: v_dual_lshlrev_b32 v11, 2, v4
	v_mad_u32_u24 v5, 0x41, v3, v8
	v_cmp_gt_u32_e64 s1, 16, v3
	s_delay_alu instid0(VALU_DEP_3) | instskip(SKIP_1) | instid1(VALU_DEP_1)
	v_lshlrev_b32_e32 v12, 2, v2
	v_add_co_u32 v2, s2, s16, v0
	v_add_co_ci_u32_e64 v4, null, s17, 0, s2
	v_lshl_add_u32 v14, v5, 3, 0
	s_delay_alu instid0(VALU_DEP_3) | instskip(NEXT) | instid1(VALU_DEP_3)
	v_add_co_u32 v0, vcc_lo, s10, v2
	v_add_co_ci_u32_e32 v1, vcc_lo, s11, v4, vcc_lo
	v_add_co_u32 v2, vcc_lo, s8, v2
	v_add_co_ci_u32_e32 v3, vcc_lo, s9, v4, vcc_lo
                                        ; implicit-def: $vgpr4_vgpr5
	s_branch .LBB36_133
.LBB36_132:                             ;   in Loop: Header=BB36_133 Depth=1
	s_or_b32 exec_lo, exec_lo, s2
	v_add_co_u32 v8, vcc_lo, v8, 32
	v_add_co_ci_u32_e32 v13, vcc_lo, 0, v13, vcc_lo
	v_add_co_u32 v0, vcc_lo, 0x100, v0
	s_delay_alu instid0(VALU_DEP_3) | instskip(SKIP_2) | instid1(VALU_DEP_3)
	v_subrev_nc_u32_e32 v15, 32, v8
	v_add_co_ci_u32_e32 v1, vcc_lo, 0, v1, vcc_lo
	v_add_co_u32 v2, s2, 0x100, v2
	v_cmp_lt_u32_e32 vcc_lo, 31, v15
	v_add_co_ci_u32_e64 v3, s2, 0, v3, s2
	v_add_nc_u32_e32 v14, 0x100, v14
	s_or_b32 s15, vcc_lo, s15
	s_delay_alu instid0(SALU_CYCLE_1)
	s_and_not1_b32 exec_lo, exec_lo, s15
	s_cbranch_execz .LBB36_140
.LBB36_133:                             ; =>This Inner Loop Header: Depth=1
	s_and_saveexec_b32 s2, s1
	s_cbranch_execz .LBB36_135
; %bb.134:                              ;   in Loop: Header=BB36_133 Depth=1
	ds_load_b64 v[4:5], v14
	ds_load_b64 v[6:7], v14 offset:8320
.LBB36_135:                             ;   in Loop: Header=BB36_133 Depth=1
	s_or_b32 exec_lo, exec_lo, s2
	s_waitcnt lgkmcnt(1)
	ds_bpermute_b32 v15, v9, v4
	ds_bpermute_b32 v16, v9, v5
	s_waitcnt lgkmcnt(2)
	ds_bpermute_b32 v17, v9, v6
	ds_bpermute_b32 v18, v9, v7
	s_waitcnt lgkmcnt(2)
	v_add_f64 v[4:5], v[4:5], v[15:16]
	s_waitcnt lgkmcnt(0)
	v_add_f64 v[6:7], v[6:7], v[17:18]
	ds_bpermute_b32 v15, v10, v4
	ds_bpermute_b32 v16, v10, v5
	ds_bpermute_b32 v17, v10, v6
	ds_bpermute_b32 v18, v10, v7
	s_waitcnt lgkmcnt(2)
	v_add_f64 v[4:5], v[4:5], v[15:16]
	s_waitcnt lgkmcnt(0)
	v_add_f64 v[6:7], v[6:7], v[17:18]
	ds_bpermute_b32 v15, v11, v4
	ds_bpermute_b32 v16, v11, v5
	;; [unrolled: 8-line block ×3, first 2 shown]
	ds_bpermute_b32 v17, v12, v6
	ds_bpermute_b32 v18, v12, v7
	s_waitcnt lgkmcnt(2)
	v_add_f64 v[4:5], v[4:5], v[15:16]
	v_add_co_u32 v15, vcc_lo, s4, v8
	s_waitcnt lgkmcnt(0)
	v_add_f64 v[6:7], v[6:7], v[17:18]
	v_add_co_ci_u32_e32 v16, vcc_lo, s5, v13, vcc_lo
	s_delay_alu instid0(VALU_DEP_1) | instskip(SKIP_1) | instid1(SALU_CYCLE_1)
	v_cmp_gt_i64_e32 vcc_lo, s[6:7], v[15:16]
	s_and_b32 s8, s0, vcc_lo
	s_and_saveexec_b32 s2, s8
	s_cbranch_execz .LBB36_132
; %bb.136:                              ;   in Loop: Header=BB36_133 Depth=1
	s_and_not1_b32 vcc_lo, exec_lo, s3
	s_cbranch_vccnz .LBB36_138
; %bb.137:                              ;   in Loop: Header=BB36_133 Depth=1
	global_store_b64 v[2:3], v[4:5], off
.LBB36_138:                             ;   in Loop: Header=BB36_133 Depth=1
	s_and_not1_b32 vcc_lo, exec_lo, s12
	s_cbranch_vccnz .LBB36_132
; %bb.139:                              ;   in Loop: Header=BB36_133 Depth=1
	global_store_b64 v[0:1], v[6:7], off
	s_branch .LBB36_132
.LBB36_140:
	s_nop 0
	s_sendmsg sendmsg(MSG_DEALLOC_VGPRS)
	s_endpgm
	.section	.rodata,"a",@progbits
	.p2align	6, 0x0
	.amdhsa_kernel _ZN2at6native12_GLOBAL__N_135GammaBetaBackwardCUDAKernelTemplateIddLj64ELj16ELj256ELb0ELb0ELb0EEEvllPKT_S5_PKT0_S8_PS3_S9_
		.amdhsa_group_segment_fixed_size 0
		.amdhsa_private_segment_fixed_size 84
		.amdhsa_kernarg_size 320
		.amdhsa_user_sgpr_count 14
		.amdhsa_user_sgpr_dispatch_ptr 0
		.amdhsa_user_sgpr_queue_ptr 0
		.amdhsa_user_sgpr_kernarg_segment_ptr 1
		.amdhsa_user_sgpr_dispatch_id 0
		.amdhsa_user_sgpr_private_segment_size 0
		.amdhsa_wavefront_size32 1
		.amdhsa_uses_dynamic_stack 0
		.amdhsa_enable_private_segment 1
		.amdhsa_system_sgpr_workgroup_id_x 1
		.amdhsa_system_sgpr_workgroup_id_y 1
		.amdhsa_system_sgpr_workgroup_id_z 0
		.amdhsa_system_sgpr_workgroup_info 0
		.amdhsa_system_vgpr_workitem_id 1
		.amdhsa_next_free_vgpr 192
		.amdhsa_next_free_sgpr 68
		.amdhsa_reserve_vcc 1
		.amdhsa_float_round_mode_32 0
		.amdhsa_float_round_mode_16_64 0
		.amdhsa_float_denorm_mode_32 3
		.amdhsa_float_denorm_mode_16_64 3
		.amdhsa_dx10_clamp 1
		.amdhsa_ieee_mode 1
		.amdhsa_fp16_overflow 0
		.amdhsa_workgroup_processor_mode 1
		.amdhsa_memory_ordered 1
		.amdhsa_forward_progress 0
		.amdhsa_shared_vgpr_count 0
		.amdhsa_exception_fp_ieee_invalid_op 0
		.amdhsa_exception_fp_denorm_src 0
		.amdhsa_exception_fp_ieee_div_zero 0
		.amdhsa_exception_fp_ieee_overflow 0
		.amdhsa_exception_fp_ieee_underflow 0
		.amdhsa_exception_fp_ieee_inexact 0
		.amdhsa_exception_int_div_zero 0
	.end_amdhsa_kernel
	.section	.text._ZN2at6native12_GLOBAL__N_135GammaBetaBackwardCUDAKernelTemplateIddLj64ELj16ELj256ELb0ELb0ELb0EEEvllPKT_S5_PKT0_S8_PS3_S9_,"axG",@progbits,_ZN2at6native12_GLOBAL__N_135GammaBetaBackwardCUDAKernelTemplateIddLj64ELj16ELj256ELb0ELb0ELb0EEEvllPKT_S5_PKT0_S8_PS3_S9_,comdat
.Lfunc_end36:
	.size	_ZN2at6native12_GLOBAL__N_135GammaBetaBackwardCUDAKernelTemplateIddLj64ELj16ELj256ELb0ELb0ELb0EEEvllPKT_S5_PKT0_S8_PS3_S9_, .Lfunc_end36-_ZN2at6native12_GLOBAL__N_135GammaBetaBackwardCUDAKernelTemplateIddLj64ELj16ELj256ELb0ELb0ELb0EEEvllPKT_S5_PKT0_S8_PS3_S9_
                                        ; -- End function
	.section	.AMDGPU.csdata,"",@progbits
; Kernel info:
; codeLenInByte = 17808
; NumSgprs: 70
; NumVgprs: 192
; ScratchSize: 84
; MemoryBound: 0
; FloatMode: 240
; IeeeMode: 1
; LDSByteSize: 0 bytes/workgroup (compile time only)
; SGPRBlocks: 8
; VGPRBlocks: 23
; NumSGPRsForWavesPerEU: 70
; NumVGPRsForWavesPerEU: 192
; Occupancy: 8
; WaveLimiterHint : 0
; COMPUTE_PGM_RSRC2:SCRATCH_EN: 1
; COMPUTE_PGM_RSRC2:USER_SGPR: 14
; COMPUTE_PGM_RSRC2:TRAP_HANDLER: 0
; COMPUTE_PGM_RSRC2:TGID_X_EN: 1
; COMPUTE_PGM_RSRC2:TGID_Y_EN: 1
; COMPUTE_PGM_RSRC2:TGID_Z_EN: 0
; COMPUTE_PGM_RSRC2:TIDIG_COMP_CNT: 1
	.section	.text._ZN2at6native12_GLOBAL__N_135GammaBetaBackwardCUDAKernelTemplateIddLj32ELj1ELj32ELb1ELb1ELb0EEEvllPKT_S5_PKT0_S8_PS3_S9_,"axG",@progbits,_ZN2at6native12_GLOBAL__N_135GammaBetaBackwardCUDAKernelTemplateIddLj32ELj1ELj32ELb1ELb1ELb0EEEvllPKT_S5_PKT0_S8_PS3_S9_,comdat
	.globl	_ZN2at6native12_GLOBAL__N_135GammaBetaBackwardCUDAKernelTemplateIddLj32ELj1ELj32ELb1ELb1ELb0EEEvllPKT_S5_PKT0_S8_PS3_S9_ ; -- Begin function _ZN2at6native12_GLOBAL__N_135GammaBetaBackwardCUDAKernelTemplateIddLj32ELj1ELj32ELb1ELb1ELb0EEEvllPKT_S5_PKT0_S8_PS3_S9_
	.p2align	8
	.type	_ZN2at6native12_GLOBAL__N_135GammaBetaBackwardCUDAKernelTemplateIddLj32ELj1ELj32ELb1ELb1ELb0EEEvllPKT_S5_PKT0_S8_PS3_S9_,@function
_ZN2at6native12_GLOBAL__N_135GammaBetaBackwardCUDAKernelTemplateIddLj32ELj1ELj32ELb1ELb1ELb0EEEvllPKT_S5_PKT0_S8_PS3_S9_: ; @_ZN2at6native12_GLOBAL__N_135GammaBetaBackwardCUDAKernelTemplateIddLj32ELj1ELj32ELb1ELb1ELb0EEEvllPKT_S5_PKT0_S8_PS3_S9_
; %bb.0:
	s_load_b128 s[16:19], s[0:1], 0x0
	s_mov_b32 s13, 0
	s_lshl_b32 s12, s15, 5
	v_bfe_u32 v16, v0, 10, 10
	s_mov_b32 s2, s15
	s_waitcnt lgkmcnt(0)
	v_cmp_lt_i64_e64 s3, s[12:13], s[16:17]
	s_delay_alu instid0(VALU_DEP_1)
	s_and_b32 vcc_lo, exec_lo, s3
	s_cbranch_vccnz .LBB37_2
; %bb.1:
	v_bfe_u32 v1, v0, 10, 10
	s_add_u32 s24, s0, 64
	s_addc_u32 s25, s1, 0
	s_mov_b64 s[4:5], 0
	s_mov_b32 s3, s13
	s_branch .LBB37_3
.LBB37_2:
	s_mov_b32 s3, -1
                                        ; implicit-def: $sgpr4_sgpr5
                                        ; implicit-def: $sgpr24_sgpr25
                                        ; implicit-def: $vgpr1
.LBB37_3:
	s_load_b128 s[20:23], s[0:1], 0x30
	v_mov_b32_e32 v15, s5
	v_dual_mov_b32 v13, s5 :: v_dual_mov_b32 v12, s4
	v_dual_mov_b32 v14, s4 :: v_dual_and_b32 v17, 0x3ff, v0
	s_and_not1_b32 vcc_lo, exec_lo, s3
	s_cbranch_vccnz .LBB37_9
; %bb.4:
	s_clause 0x2
	s_load_b32 s3, s[0:1], 0x4c
	s_load_b32 s15, s[0:1], 0x44
	s_load_b256 s[4:11], s[0:1], 0x10
	v_dual_mov_b32 v1, 0 :: v_dual_lshlrev_b32 v2, 5, v16
	s_add_u32 s24, s0, 64
	s_addc_u32 s25, s1, 0
	v_lshl_add_u32 v0, s14, 5, v17
	v_mov_b32_e32 v37, 0x50
	v_mov_b32_e32 v34, 0x44
	v_dual_mov_b32 v18, 4 :: v_dual_mov_b32 v19, 8
	s_delay_alu instid0(VALU_DEP_4)
	v_lshlrev_b64 v[8:9], 3, v[0:1]
	v_dual_mov_b32 v20, 12 :: v_dual_mov_b32 v21, 16
	v_dual_mov_b32 v22, 20 :: v_dual_mov_b32 v23, 24
	;; [unrolled: 1-line block ×4, first 2 shown]
	s_waitcnt lgkmcnt(0)
	s_and_b32 s0, s3, 0xffff
	s_lshl_b32 s26, s15, 5
	v_mad_u32_u24 v3, v16, s0, v17
	v_add_co_u32 v5, s0, v2, s12
	s_delay_alu instid0(VALU_DEP_1) | instskip(NEXT) | instid1(VALU_DEP_3)
	v_add_co_ci_u32_e64 v10, null, 0, 0, s0
	v_dual_mov_b32 v35, 0x48 :: v_dual_and_b32 v4, 31, v3
	s_delay_alu instid0(VALU_DEP_3) | instskip(NEXT) | instid1(VALU_DEP_3)
	v_mul_lo_u32 v6, s19, v5
	v_mul_lo_u32 v7, s18, v10
	v_mad_u64_u32 v[2:3], null, s18, v5, 0
	s_mul_i32 s0, s19, s26
	s_mul_hi_u32 s1, s18, s26
	v_dual_mov_b32 v28, 44 :: v_dual_mov_b32 v29, 48
	v_dual_mov_b32 v30, 52 :: v_dual_mov_b32 v31, 56
	s_delay_alu instid0(VALU_DEP_3) | instskip(SKIP_3) | instid1(VALU_DEP_4)
	v_add3_u32 v3, v3, v7, v6
	v_dual_mov_b32 v32, 60 :: v_dual_mov_b32 v33, 64
	v_mov_b32_e32 v40, 0x5c
	v_mov_b32_e32 v42, 0x64
	v_lshlrev_b64 v[6:7], 3, v[2:3]
	v_add_co_u32 v2, vcc_lo, v5, v4
	v_mov_b32_e32 v4, 0
	v_add_co_ci_u32_e32 v3, vcc_lo, 0, v10, vcc_lo
	v_mov_b32_e32 v5, 0
	v_add_co_u32 v0, vcc_lo, v6, v8
	v_mov_b32_e32 v36, 0x4c
	s_delay_alu instid0(VALU_DEP_3)
	v_dual_mov_b32 v38, 0x54 :: v_dual_mov_b32 v13, v5
	v_add_co_ci_u32_e32 v49, vcc_lo, v7, v9, vcc_lo
	v_lshlrev_b64 v[6:7], 3, v[2:3]
	v_mov_b32_e32 v15, v5
	v_dual_mov_b32 v39, 0x58 :: v_dual_mov_b32 v14, v4
	v_dual_mov_b32 v41, 0x60 :: v_dual_mov_b32 v12, v4
	v_mov_b32_e32 v43, 0x68
	v_mov_b32_e32 v44, 0x6c
	v_mov_b32_e32 v45, 0x70
	v_mov_b32_e32 v46, 0x74
	v_mov_b32_e32 v47, 0x78
	v_mov_b32_e32 v48, 0x7c
	s_mov_b32 s27, 0
	s_add_i32 s1, s1, s0
	s_mul_i32 s0, s18, s26
	s_lshl_b64 s[28:29], s[26:27], 3
	s_lshl_b64 s[0:1], s[0:1], 3
	;; [unrolled: 1-line block ×3, first 2 shown]
	s_branch .LBB37_6
.LBB37_5:                               ;   in Loop: Header=BB37_6 Depth=1
	s_or_b32 exec_lo, exec_lo, s3
	v_add_co_u32 v50, vcc_lo, s6, v0
	v_add_co_ci_u32_e32 v51, vcc_lo, s7, v49, vcc_lo
	s_waitcnt vmcnt(1)
	ds_bpermute_b32 v82, v1, v10
	ds_bpermute_b32 v83, v1, v11
	s_waitcnt vmcnt(0)
	ds_bpermute_b32 v90, v1, v8
	global_load_b64 v[52:53], v[50:51], off
	v_add_co_u32 v50, vcc_lo, v50, s30
	v_add_co_ci_u32_e32 v51, vcc_lo, s31, v51, vcc_lo
	v_add_co_u32 v54, vcc_lo, s4, v0
	v_add_co_ci_u32_e32 v55, vcc_lo, s5, v49, vcc_lo
	global_load_b64 v[56:57], v[50:51], off
	global_load_b64 v[58:59], v[54:55], off
	v_add_co_u32 v50, vcc_lo, v50, s30
	v_add_co_ci_u32_e32 v51, vcc_lo, s31, v51, vcc_lo
	v_add_co_u32 v54, vcc_lo, v54, s30
	v_add_co_ci_u32_e32 v55, vcc_lo, s31, v55, vcc_lo
	global_load_b64 v[60:61], v[50:51], off
	;; [unrolled: 6-line block ×3, first 2 shown]
	v_add_co_u32 v54, vcc_lo, v54, s30
	global_load_b64 v[66:67], v[50:51], off
	v_add_co_ci_u32_e32 v55, vcc_lo, s31, v55, vcc_lo
	v_add_co_u32 v50, vcc_lo, v50, s30
	v_add_co_ci_u32_e32 v51, vcc_lo, s31, v51, vcc_lo
	global_load_b64 v[68:69], v[54:55], off
	v_add_co_u32 v54, vcc_lo, v54, s30
	global_load_b64 v[70:71], v[50:51], off
	v_add_co_ci_u32_e32 v55, vcc_lo, s31, v55, vcc_lo
	v_add_co_u32 v50, vcc_lo, v50, s30
	v_add_co_ci_u32_e32 v51, vcc_lo, s31, v51, vcc_lo
	global_load_b64 v[72:73], v[54:55], off
	ds_bpermute_b32 v91, v1, v9
	ds_bpermute_b32 v88, v19, v10
	global_load_b64 v[74:75], v[50:51], off
	v_add_co_u32 v50, vcc_lo, v50, s30
	v_add_co_ci_u32_e32 v51, vcc_lo, s31, v51, vcc_lo
	v_add_co_u32 v54, vcc_lo, v54, s30
	v_add_co_ci_u32_e32 v55, vcc_lo, s31, v55, vcc_lo
	global_load_b64 v[76:77], v[50:51], off
	global_load_b64 v[78:79], v[54:55], off
	v_add_co_u32 v50, vcc_lo, v50, s30
	v_add_co_ci_u32_e32 v51, vcc_lo, s31, v51, vcc_lo
	v_add_co_u32 v54, vcc_lo, v54, s30
	v_add_co_ci_u32_e32 v55, vcc_lo, s31, v55, vcc_lo
	global_load_b64 v[80:81], v[50:51], off
	ds_bpermute_b32 v89, v19, v11
	ds_bpermute_b32 v92, v20, v10
	global_load_b64 v[84:85], v[54:55], off
	v_add_co_u32 v54, vcc_lo, v54, s30
	v_add_co_ci_u32_e32 v55, vcc_lo, s31, v55, vcc_lo
	v_add_co_u32 v50, vcc_lo, v50, s30
	v_add_co_ci_u32_e32 v51, vcc_lo, s31, v51, vcc_lo
	global_load_b64 v[86:87], v[54:55], off
	ds_bpermute_b32 v93, v20, v11
	s_add_u32 s12, s12, s26
	s_addc_u32 s13, s13, 0
	s_delay_alu instid0(SALU_CYCLE_1)
	v_cmp_lt_i64_e64 s3, s[12:13], s[16:17]
	s_waitcnt vmcnt(15) lgkmcnt(6)
	v_add_f64 v[52:53], v[52:53], -v[82:83]
	ds_bpermute_b32 v82, v18, v10
	ds_bpermute_b32 v83, v18, v11
	s_waitcnt vmcnt(13)
	v_add_f64 v[12:13], v[12:13], v[58:59]
	s_waitcnt vmcnt(12) lgkmcnt(4)
	v_add_f64 v[60:61], v[60:61], -v[88:89]
	s_waitcnt lgkmcnt(0)
	v_add_f64 v[56:57], v[56:57], -v[82:83]
	global_load_b64 v[82:83], v[50:51], off
	ds_bpermute_b32 v88, v18, v8
	ds_bpermute_b32 v89, v18, v9
	v_mul_f64 v[52:53], v[58:59], v[52:53]
	ds_bpermute_b32 v58, v21, v8
	ds_bpermute_b32 v59, v21, v9
	s_waitcnt vmcnt(12)
	v_add_f64 v[12:13], v[12:13], v[62:63]
	s_waitcnt vmcnt(11)
	v_mul_f64 v[60:61], v[64:65], v[60:61]
	v_mul_f64 v[56:57], v[62:63], v[56:57]
	ds_bpermute_b32 v62, v24, v10
	ds_bpermute_b32 v63, v24, v11
	v_fma_f64 v[14:15], v[52:53], v[90:91], v[14:15]
	v_add_co_u32 v52, vcc_lo, v54, s30
	v_add_co_ci_u32_e32 v53, vcc_lo, s31, v55, vcc_lo
	v_add_co_u32 v50, vcc_lo, v50, s30
	v_add_co_ci_u32_e32 v51, vcc_lo, s31, v51, vcc_lo
	global_load_b64 v[54:55], v[52:53], off
	v_add_co_u32 v52, vcc_lo, v52, s30
	global_load_b64 v[90:91], v[50:51], off
	v_add_co_ci_u32_e32 v53, vcc_lo, s31, v53, vcc_lo
	v_add_co_u32 v50, vcc_lo, v50, s30
	v_add_co_ci_u32_e32 v51, vcc_lo, s31, v51, vcc_lo
	s_waitcnt vmcnt(5) lgkmcnt(0)
	v_add_f64 v[62:63], v[80:81], -v[62:63]
	ds_bpermute_b32 v80, v22, v8
	ds_bpermute_b32 v81, v22, v9
	v_add_f64 v[12:13], v[12:13], v[64:65]
	v_fma_f64 v[14:15], v[56:57], v[88:89], v[14:15]
	v_add_f64 v[56:57], v[66:67], -v[92:93]
	ds_bpermute_b32 v66, v19, v8
	ds_bpermute_b32 v67, v19, v9
	global_load_b64 v[88:89], v[52:53], off
	global_load_b64 v[92:93], v[50:51], off
	v_add_co_u32 v52, vcc_lo, v52, s30
	v_add_co_ci_u32_e32 v53, vcc_lo, s31, v53, vcc_lo
	v_add_co_u32 v50, vcc_lo, v50, s30
	v_add_co_ci_u32_e32 v51, vcc_lo, s31, v51, vcc_lo
	s_waitcnt vmcnt(5)
	v_mul_f64 v[62:63], v[86:87], v[62:63]
	v_add_f64 v[12:13], v[12:13], v[68:69]
	s_waitcnt lgkmcnt(0)
	v_fma_f64 v[14:15], v[60:61], v[66:67], v[14:15]
	ds_bpermute_b32 v60, v21, v10
	ds_bpermute_b32 v61, v21, v11
	v_mul_f64 v[56:57], v[68:69], v[56:57]
	ds_bpermute_b32 v66, v20, v8
	ds_bpermute_b32 v67, v20, v9
	;; [unrolled: 1-line block ×4, first 2 shown]
	v_add_f64 v[12:13], v[12:13], v[72:73]
	s_waitcnt lgkmcnt(4)
	v_add_f64 v[60:61], v[70:71], -v[60:61]
	global_load_b64 v[70:71], v[52:53], off
	v_add_co_u32 v52, vcc_lo, v52, s30
	v_add_co_ci_u32_e32 v53, vcc_lo, s31, v53, vcc_lo
	s_waitcnt lgkmcnt(2)
	v_fma_f64 v[14:15], v[56:57], v[66:67], v[14:15]
	global_load_b64 v[56:57], v[50:51], off
	ds_bpermute_b32 v66, v22, v10
	ds_bpermute_b32 v67, v22, v11
	v_add_co_u32 v50, vcc_lo, v50, s30
	v_add_co_ci_u32_e32 v51, vcc_lo, s31, v51, vcc_lo
	v_add_f64 v[12:13], v[12:13], v[78:79]
	v_mul_f64 v[60:61], v[72:73], v[60:61]
	ds_bpermute_b32 v72, v26, v10
	ds_bpermute_b32 v73, v26, v11
	s_waitcnt lgkmcnt(2)
	v_add_f64 v[66:67], v[74:75], -v[66:67]
	global_load_b64 v[74:75], v[52:53], off
	v_add_co_u32 v52, vcc_lo, v52, s30
	v_add_co_ci_u32_e32 v53, vcc_lo, s31, v53, vcc_lo
	v_add_f64 v[12:13], v[12:13], v[84:85]
	v_fma_f64 v[14:15], v[60:61], v[58:59], v[14:15]
	global_load_b64 v[58:59], v[50:51], off
	ds_bpermute_b32 v60, v23, v10
	ds_bpermute_b32 v61, v23, v11
	v_mul_f64 v[66:67], v[78:79], v[66:67]
	v_add_co_u32 v50, vcc_lo, v50, s30
	v_add_co_ci_u32_e32 v51, vcc_lo, s31, v51, vcc_lo
	global_load_b64 v[64:65], v[50:51], off
	s_waitcnt lgkmcnt(0)
	v_add_f64 v[60:61], v[76:77], -v[60:61]
	global_load_b64 v[76:77], v[52:53], off
	v_add_co_u32 v52, vcc_lo, v52, s30
	v_add_co_ci_u32_e32 v53, vcc_lo, s31, v53, vcc_lo
	v_add_co_u32 v50, vcc_lo, v50, s30
	v_add_co_ci_u32_e32 v51, vcc_lo, s31, v51, vcc_lo
	v_add_f64 v[12:13], v[12:13], v[86:87]
	v_fma_f64 v[14:15], v[66:67], v[80:81], v[14:15]
	ds_bpermute_b32 v66, v23, v8
	ds_bpermute_b32 v67, v23, v9
	;; [unrolled: 1-line block ×4, first 2 shown]
	v_mul_f64 v[60:61], v[84:85], v[60:61]
	s_waitcnt vmcnt(10) lgkmcnt(0)
	v_add_f64 v[80:81], v[82:83], -v[80:81]
	s_delay_alu instid0(VALU_DEP_2)
	v_fma_f64 v[14:15], v[60:61], v[66:67], v[14:15]
	global_load_b64 v[60:61], v[50:51], off
	global_load_b64 v[66:67], v[52:53], off
	v_add_co_u32 v50, vcc_lo, v50, s30
	v_add_co_ci_u32_e32 v51, vcc_lo, s31, v51, vcc_lo
	v_add_co_u32 v52, vcc_lo, v52, s30
	v_add_co_ci_u32_e32 v53, vcc_lo, s31, v53, vcc_lo
	global_load_b64 v[82:83], v[50:51], off
	v_add_co_u32 v50, vcc_lo, v50, s30
	v_add_co_ci_u32_e32 v51, vcc_lo, s31, v51, vcc_lo
	v_fma_f64 v[14:15], v[62:63], v[68:69], v[14:15]
	global_load_b64 v[62:63], v[52:53], off
	v_add_co_u32 v52, vcc_lo, v52, s30
	v_add_co_ci_u32_e32 v53, vcc_lo, s31, v53, vcc_lo
	s_waitcnt vmcnt(13)
	v_mul_f64 v[68:69], v[54:55], v[80:81]
	ds_bpermute_b32 v80, v25, v8
	ds_bpermute_b32 v81, v25, v9
	s_waitcnt vmcnt(12)
	v_add_f64 v[72:73], v[90:91], -v[72:73]
	global_load_b64 v[78:79], v[50:51], off
	global_load_b64 v[90:91], v[52:53], off
	v_add_co_u32 v50, vcc_lo, v50, s30
	v_add_co_ci_u32_e32 v51, vcc_lo, s31, v51, vcc_lo
	v_add_co_u32 v52, vcc_lo, v52, s30
	v_add_co_ci_u32_e32 v53, vcc_lo, s31, v53, vcc_lo
	global_load_b64 v[84:85], v[50:51], off
	v_add_f64 v[12:13], v[12:13], v[54:55]
	s_waitcnt lgkmcnt(0)
	v_fma_f64 v[14:15], v[68:69], v[80:81], v[14:15]
	ds_bpermute_b32 v68, v27, v10
	ds_bpermute_b32 v69, v27, v11
	s_waitcnt vmcnt(14)
	v_mul_f64 v[72:73], v[88:89], v[72:73]
	ds_bpermute_b32 v80, v26, v8
	ds_bpermute_b32 v81, v26, v9
	v_add_f64 v[12:13], v[12:13], v[88:89]
	s_waitcnt vmcnt(13) lgkmcnt(2)
	v_add_f64 v[68:69], v[92:93], -v[68:69]
	global_load_b64 v[92:93], v[52:53], off
	v_add_co_u32 v52, vcc_lo, v52, s30
	v_add_co_ci_u32_e32 v53, vcc_lo, s31, v53, vcc_lo
	v_add_co_u32 v50, vcc_lo, v50, s30
	v_add_co_ci_u32_e32 v51, vcc_lo, s31, v51, vcc_lo
	s_waitcnt lgkmcnt(0)
	v_fma_f64 v[14:15], v[72:73], v[80:81], v[14:15]
	ds_bpermute_b32 v72, v28, v10
	ds_bpermute_b32 v73, v28, v11
	v_add_co_u32 v80, vcc_lo, v52, s30
	v_add_co_ci_u32_e32 v81, vcc_lo, s31, v53, vcc_lo
	global_load_b64 v[86:87], v[50:51], off
	global_load_b64 v[52:53], v[52:53], off
	v_add_co_u32 v50, vcc_lo, v50, s30
	global_load_b64 v[54:55], v[80:81], off
	v_add_co_ci_u32_e32 v51, vcc_lo, s31, v51, vcc_lo
	s_waitcnt vmcnt(16)
	v_add_f64 v[12:13], v[12:13], v[70:71]
	v_mul_f64 v[68:69], v[70:71], v[68:69]
	ds_bpermute_b32 v70, v29, v8
	ds_bpermute_b32 v71, v29, v9
	s_waitcnt vmcnt(15) lgkmcnt(2)
	v_add_f64 v[56:57], v[56:57], -v[72:73]
	ds_bpermute_b32 v72, v27, v8
	ds_bpermute_b32 v73, v27, v9
	s_waitcnt vmcnt(14)
	v_add_f64 v[12:13], v[12:13], v[74:75]
	s_waitcnt lgkmcnt(0)
	v_fma_f64 v[14:15], v[68:69], v[72:73], v[14:15]
	ds_bpermute_b32 v68, v29, v10
	global_load_b64 v[72:73], v[50:51], off
	ds_bpermute_b32 v69, v29, v11
	v_mul_f64 v[56:57], v[74:75], v[56:57]
	ds_bpermute_b32 v74, v32, v10
	ds_bpermute_b32 v75, v32, v11
	s_waitcnt vmcnt(14) lgkmcnt(2)
	v_add_f64 v[58:59], v[58:59], -v[68:69]
	v_add_co_u32 v68, vcc_lo, v80, s30
	v_add_co_ci_u32_e32 v69, vcc_lo, s31, v81, vcc_lo
	ds_bpermute_b32 v80, v28, v8
	ds_bpermute_b32 v81, v28, v9
	v_add_co_u32 v50, vcc_lo, v50, s30
	v_add_co_ci_u32_e32 v51, vcc_lo, s31, v51, vcc_lo
	global_load_b64 v[88:89], v[68:69], off
	v_add_co_u32 v68, vcc_lo, v68, s30
	v_add_co_ci_u32_e32 v69, vcc_lo, s31, v69, vcc_lo
	s_waitcnt vmcnt(13)
	v_add_f64 v[12:13], v[12:13], v[76:77]
	s_waitcnt lgkmcnt(0)
	v_fma_f64 v[14:15], v[56:57], v[80:81], v[14:15]
	global_load_b64 v[56:57], v[50:51], off
	ds_bpermute_b32 v80, v30, v10
	ds_bpermute_b32 v81, v30, v11
	v_add_co_u32 v50, vcc_lo, v50, s30
	v_add_co_ci_u32_e32 v51, vcc_lo, s31, v51, vcc_lo
	v_mul_f64 v[58:59], v[76:77], v[58:59]
	s_waitcnt lgkmcnt(0)
	v_add_f64 v[64:65], v[64:65], -v[80:81]
	global_load_b64 v[80:81], v[68:69], off
	v_add_co_u32 v68, vcc_lo, v68, s30
	v_add_co_ci_u32_e32 v69, vcc_lo, s31, v69, vcc_lo
	v_fma_f64 v[14:15], v[58:59], v[70:71], v[14:15]
	global_load_b64 v[58:59], v[50:51], off
	ds_bpermute_b32 v70, v31, v10
	ds_bpermute_b32 v71, v31, v11
	v_add_co_u32 v50, vcc_lo, v50, s30
	v_add_co_ci_u32_e32 v51, vcc_lo, s31, v51, vcc_lo
	global_load_b64 v[76:77], v[50:51], off
	v_add_co_u32 v50, vcc_lo, v50, s30
	v_add_co_ci_u32_e32 v51, vcc_lo, s31, v51, vcc_lo
	s_waitcnt vmcnt(16) lgkmcnt(0)
	v_add_f64 v[60:61], v[60:61], -v[70:71]
	s_waitcnt vmcnt(15)
	v_mul_f64 v[64:65], v[66:67], v[64:65]
	global_load_b64 v[70:71], v[68:69], off
	v_add_f64 v[12:13], v[12:13], v[66:67]
	v_add_co_u32 v66, vcc_lo, v68, s30
	v_add_co_ci_u32_e32 v67, vcc_lo, s31, v69, vcc_lo
	s_waitcnt vmcnt(15)
	v_add_f64 v[74:75], v[82:83], -v[74:75]
	ds_bpermute_b32 v82, v30, v8
	ds_bpermute_b32 v83, v30, v9
	s_waitcnt vmcnt(14)
	v_mul_f64 v[60:61], v[62:63], v[60:61]
	s_waitcnt lgkmcnt(0)
	v_fma_f64 v[14:15], v[64:65], v[82:83], v[14:15]
	ds_bpermute_b32 v64, v33, v10
	ds_bpermute_b32 v65, v33, v11
	;; [unrolled: 1-line block ×4, first 2 shown]
	v_add_f64 v[12:13], v[12:13], v[62:63]
	s_waitcnt vmcnt(12)
	v_mul_f64 v[68:69], v[90:91], v[74:75]
	s_waitcnt lgkmcnt(2)
	v_add_f64 v[64:65], v[78:79], -v[64:65]
	ds_bpermute_b32 v78, v34, v10
	ds_bpermute_b32 v79, v34, v11
	s_waitcnt lgkmcnt(2)
	v_fma_f64 v[14:15], v[60:61], v[82:83], v[14:15]
	global_load_b64 v[60:61], v[50:51], off
	global_load_b64 v[74:75], v[66:67], off
	ds_bpermute_b32 v82, v32, v8
	ds_bpermute_b32 v83, v32, v9
	v_add_co_u32 v66, vcc_lo, v66, s30
	v_add_co_ci_u32_e32 v67, vcc_lo, s31, v67, vcc_lo
	v_add_co_u32 v50, vcc_lo, v50, s30
	v_add_co_ci_u32_e32 v51, vcc_lo, s31, v51, vcc_lo
	s_waitcnt vmcnt(13) lgkmcnt(2)
	v_add_f64 v[78:79], v[84:85], -v[78:79]
	ds_bpermute_b32 v84, v33, v8
	ds_bpermute_b32 v85, v33, v9
	global_load_b64 v[62:63], v[50:51], off
	v_add_f64 v[12:13], v[12:13], v[90:91]
	s_waitcnt lgkmcnt(2)
	v_fma_f64 v[14:15], v[68:69], v[82:83], v[14:15]
	s_waitcnt vmcnt(13)
	v_mul_f64 v[64:65], v[92:93], v[64:65]
	global_load_b64 v[68:69], v[66:67], off
	ds_bpermute_b32 v82, v35, v10
	ds_bpermute_b32 v83, v35, v11
	v_add_co_u32 v66, vcc_lo, v66, s30
	v_add_co_ci_u32_e32 v67, vcc_lo, s31, v67, vcc_lo
	v_add_co_u32 v50, vcc_lo, v50, s30
	v_add_co_ci_u32_e32 v51, vcc_lo, s31, v51, vcc_lo
	global_load_b64 v[90:91], v[50:51], off
	v_add_f64 v[12:13], v[12:13], v[92:93]
	s_waitcnt vmcnt(14) lgkmcnt(0)
	v_add_f64 v[82:83], v[86:87], -v[82:83]
	s_waitcnt vmcnt(13)
	v_mul_f64 v[78:79], v[52:53], v[78:79]
	ds_bpermute_b32 v86, v36, v10
	ds_bpermute_b32 v87, v36, v11
	v_fma_f64 v[14:15], v[64:65], v[84:85], v[14:15]
	global_load_b64 v[64:65], v[66:67], off
	ds_bpermute_b32 v84, v34, v8
	ds_bpermute_b32 v85, v34, v9
	v_add_co_u32 v66, vcc_lo, v66, s30
	v_add_co_ci_u32_e32 v67, vcc_lo, s31, v67, vcc_lo
	v_add_co_u32 v50, vcc_lo, v50, s30
	v_add_co_ci_u32_e32 v51, vcc_lo, s31, v51, vcc_lo
	global_load_b64 v[92:93], v[50:51], off
	v_add_f64 v[12:13], v[12:13], v[52:53]
	s_waitcnt vmcnt(14)
	v_mul_f64 v[82:83], v[54:55], v[82:83]
	s_waitcnt lgkmcnt(0)
	v_fma_f64 v[14:15], v[78:79], v[84:85], v[14:15]
	global_load_b64 v[78:79], v[66:67], off
	s_waitcnt vmcnt(14)
	v_add_f64 v[72:73], v[72:73], -v[86:87]
	ds_bpermute_b32 v84, v35, v8
	ds_bpermute_b32 v85, v35, v9
	v_add_co_u32 v66, vcc_lo, v66, s30
	v_add_co_ci_u32_e32 v67, vcc_lo, s31, v67, vcc_lo
	v_add_co_u32 v50, vcc_lo, v50, s30
	v_add_co_ci_u32_e32 v51, vcc_lo, s31, v51, vcc_lo
	ds_bpermute_b32 v86, v37, v10
	ds_bpermute_b32 v87, v37, v11
	global_load_b64 v[52:53], v[50:51], off
	v_add_co_u32 v50, vcc_lo, v50, s30
	v_add_co_ci_u32_e32 v51, vcc_lo, s31, v51, vcc_lo
	v_add_f64 v[12:13], v[12:13], v[54:55]
	s_waitcnt lgkmcnt(2)
	v_fma_f64 v[14:15], v[82:83], v[84:85], v[14:15]
	global_load_b64 v[82:83], v[66:67], off
	s_waitcnt vmcnt(15)
	v_mul_f64 v[72:73], v[88:89], v[72:73]
	v_add_co_u32 v66, vcc_lo, v66, s30
	ds_bpermute_b32 v84, v36, v8
	ds_bpermute_b32 v85, v36, v9
	v_add_co_ci_u32_e32 v67, vcc_lo, s31, v67, vcc_lo
	global_load_b64 v[54:55], v[66:67], off
	s_waitcnt vmcnt(15) lgkmcnt(2)
	v_add_f64 v[56:57], v[56:57], -v[86:87]
	global_load_b64 v[86:87], v[50:51], off
	v_add_co_u32 v50, vcc_lo, v50, s30
	v_add_co_ci_u32_e32 v51, vcc_lo, s31, v51, vcc_lo
	v_add_co_u32 v66, vcc_lo, v66, s30
	v_add_co_ci_u32_e32 v67, vcc_lo, s31, v67, vcc_lo
	v_add_f64 v[12:13], v[12:13], v[88:89]
	global_load_b64 v[88:89], v[66:67], off
	s_waitcnt lgkmcnt(0)
	v_fma_f64 v[14:15], v[72:73], v[84:85], v[14:15]
	ds_bpermute_b32 v72, v38, v10
	ds_bpermute_b32 v73, v38, v11
	;; [unrolled: 1-line block ×4, first 2 shown]
	s_waitcnt vmcnt(16)
	v_mul_f64 v[56:57], v[80:81], v[56:57]
	v_add_f64 v[12:13], v[12:13], v[80:81]
	ds_bpermute_b32 v80, v38, v8
	s_waitcnt vmcnt(15) lgkmcnt(3)
	v_add_f64 v[58:59], v[58:59], -v[72:73]
	global_load_b64 v[72:73], v[50:51], off
	v_add_co_u32 v50, vcc_lo, v50, s30
	v_add_co_ci_u32_e32 v51, vcc_lo, s31, v51, vcc_lo
	v_add_co_u32 v66, vcc_lo, v66, s30
	v_add_co_ci_u32_e32 v67, vcc_lo, s31, v67, vcc_lo
	ds_bpermute_b32 v81, v38, v9
	s_waitcnt lgkmcnt(2)
	v_fma_f64 v[14:15], v[56:57], v[84:85], v[14:15]
	ds_bpermute_b32 v56, v39, v10
	ds_bpermute_b32 v57, v39, v11
	global_load_b64 v[84:85], v[50:51], off
	v_add_co_u32 v50, vcc_lo, v50, s30
	v_add_co_ci_u32_e32 v51, vcc_lo, s31, v51, vcc_lo
	s_waitcnt vmcnt(15)
	v_add_f64 v[12:13], v[12:13], v[70:71]
	v_mul_f64 v[58:59], v[70:71], v[58:59]
	ds_bpermute_b32 v70, v39, v8
	ds_bpermute_b32 v71, v39, v9
	s_waitcnt lgkmcnt(2)
	v_add_f64 v[56:57], v[76:77], -v[56:57]
	global_load_b64 v[76:77], v[66:67], off
	v_add_co_u32 v66, vcc_lo, v66, s30
	v_add_co_ci_u32_e32 v67, vcc_lo, s31, v67, vcc_lo
	v_fma_f64 v[14:15], v[58:59], v[80:81], v[14:15]
	ds_bpermute_b32 v58, v40, v10
	ds_bpermute_b32 v59, v40, v11
	global_load_b64 v[50:51], v[50:51], off
	global_load_b64 v[80:81], v[66:67], off
	v_add_co_u32 v66, vcc_lo, v66, s30
	v_add_co_ci_u32_e32 v67, vcc_lo, s31, v67, vcc_lo
	v_add_co_u32 v0, vcc_lo, v0, s0
	v_add_co_ci_u32_e32 v49, vcc_lo, s1, v49, vcc_lo
	global_load_b64 v[66:67], v[66:67], off
	v_add_co_u32 v6, vcc_lo, v6, s28
	v_add_co_ci_u32_e32 v7, vcc_lo, s29, v7, vcc_lo
	v_add_co_u32 v2, vcc_lo, v2, s26
	v_add_co_ci_u32_e32 v3, vcc_lo, 0, v3, vcc_lo
	s_and_b32 vcc_lo, exec_lo, s3
	s_waitcnt vmcnt(18) lgkmcnt(0)
	v_add_f64 v[58:59], v[60:61], -v[58:59]
	s_waitcnt vmcnt(17)
	v_mul_f64 v[56:57], v[74:75], v[56:57]
	ds_bpermute_b32 v60, v41, v10
	ds_bpermute_b32 v61, v41, v11
	v_add_f64 v[12:13], v[12:13], v[74:75]
	s_waitcnt vmcnt(16) lgkmcnt(0)
	v_add_f64 v[60:61], v[62:63], -v[60:61]
	ds_bpermute_b32 v62, v40, v8
	ds_bpermute_b32 v63, v40, v9
	v_fma_f64 v[14:15], v[56:57], v[70:71], v[14:15]
	s_waitcnt vmcnt(15)
	v_mul_f64 v[58:59], v[68:69], v[58:59]
	ds_bpermute_b32 v56, v42, v10
	ds_bpermute_b32 v57, v42, v11
	v_add_f64 v[12:13], v[12:13], v[68:69]
	s_waitcnt vmcnt(14) lgkmcnt(0)
	v_add_f64 v[56:57], v[90:91], -v[56:57]
	v_fma_f64 v[14:15], v[58:59], v[62:63], v[14:15]
	s_waitcnt vmcnt(13)
	v_mul_f64 v[60:61], v[64:65], v[60:61]
	ds_bpermute_b32 v58, v43, v10
	ds_bpermute_b32 v59, v43, v11
	;; [unrolled: 1-line block ×4, first 2 shown]
	v_add_f64 v[12:13], v[12:13], v[64:65]
	s_waitcnt vmcnt(12) lgkmcnt(2)
	v_add_f64 v[58:59], v[92:93], -v[58:59]
	s_waitcnt vmcnt(11)
	v_mul_f64 v[56:57], v[78:79], v[56:57]
	s_waitcnt lgkmcnt(0)
	v_fma_f64 v[14:15], v[60:61], v[62:63], v[14:15]
	ds_bpermute_b32 v60, v44, v10
	ds_bpermute_b32 v61, v44, v11
	;; [unrolled: 1-line block ×4, first 2 shown]
	v_add_f64 v[12:13], v[12:13], v[78:79]
	s_waitcnt vmcnt(10) lgkmcnt(2)
	v_add_f64 v[52:53], v[52:53], -v[60:61]
	ds_bpermute_b32 v60, v43, v8
	ds_bpermute_b32 v61, v43, v9
	s_waitcnt vmcnt(9)
	v_mul_f64 v[58:59], v[82:83], v[58:59]
	s_waitcnt lgkmcnt(2)
	v_fma_f64 v[14:15], v[56:57], v[62:63], v[14:15]
	ds_bpermute_b32 v56, v45, v10
	ds_bpermute_b32 v57, v45, v11
	v_add_f64 v[12:13], v[12:13], v[82:83]
	s_waitcnt vmcnt(7) lgkmcnt(0)
	v_add_f64 v[56:57], v[86:87], -v[56:57]
	v_mul_f64 v[52:53], v[54:55], v[52:53]
	v_fma_f64 v[14:15], v[58:59], v[60:61], v[14:15]
	ds_bpermute_b32 v58, v46, v10
	ds_bpermute_b32 v59, v46, v11
	;; [unrolled: 1-line block ×4, first 2 shown]
	v_add_f64 v[12:13], v[12:13], v[54:55]
	ds_bpermute_b32 v54, v45, v8
	ds_bpermute_b32 v55, v45, v9
	s_waitcnt vmcnt(6)
	v_mul_f64 v[56:57], v[88:89], v[56:57]
	s_waitcnt vmcnt(5) lgkmcnt(4)
	v_add_f64 v[58:59], v[72:73], -v[58:59]
	s_waitcnt lgkmcnt(2)
	v_fma_f64 v[14:15], v[52:53], v[60:61], v[14:15]
	ds_bpermute_b32 v52, v47, v10
	ds_bpermute_b32 v53, v47, v11
	;; [unrolled: 1-line block ×4, first 2 shown]
	v_add_f64 v[12:13], v[12:13], v[88:89]
	s_waitcnt vmcnt(4) lgkmcnt(2)
	v_add_f64 v[52:53], v[84:85], -v[52:53]
	v_fma_f64 v[14:15], v[56:57], v[54:55], v[14:15]
	s_waitcnt vmcnt(3)
	v_mul_f64 v[58:59], v[76:77], v[58:59]
	ds_bpermute_b32 v54, v46, v8
	ds_bpermute_b32 v55, v46, v9
	v_add_f64 v[12:13], v[12:13], v[76:77]
	s_waitcnt vmcnt(2) lgkmcnt(2)
	v_add_f64 v[10:11], v[50:51], -v[10:11]
	s_waitcnt vmcnt(1)
	v_mul_f64 v[50:51], v[80:81], v[52:53]
	ds_bpermute_b32 v52, v47, v8
	ds_bpermute_b32 v53, v47, v9
	;; [unrolled: 1-line block ×4, first 2 shown]
	s_waitcnt lgkmcnt(4)
	v_fma_f64 v[14:15], v[58:59], v[54:55], v[14:15]
	v_add_f64 v[12:13], v[12:13], v[80:81]
	s_waitcnt vmcnt(0)
	v_mul_f64 v[10:11], v[66:67], v[10:11]
	s_waitcnt lgkmcnt(2)
	s_delay_alu instid0(VALU_DEP_3) | instskip(NEXT) | instid1(VALU_DEP_3)
	v_fma_f64 v[14:15], v[50:51], v[52:53], v[14:15]
	v_add_f64 v[12:13], v[12:13], v[66:67]
	s_waitcnt lgkmcnt(0)
	s_delay_alu instid0(VALU_DEP_2)
	v_fma_f64 v[14:15], v[10:11], v[8:9], v[14:15]
	s_cbranch_vccz .LBB37_8
.LBB37_6:                               ; =>This Inner Loop Header: Depth=1
	v_dual_mov_b32 v9, v5 :: v_dual_mov_b32 v8, v4
	v_dual_mov_b32 v11, v5 :: v_dual_mov_b32 v10, v4
	s_mov_b32 s3, exec_lo
	v_cmpx_gt_i64_e64 s[16:17], v[2:3]
	s_cbranch_execz .LBB37_5
; %bb.7:                                ;   in Loop: Header=BB37_6 Depth=1
	v_add_co_u32 v8, vcc_lo, s8, v6
	v_add_co_ci_u32_e32 v9, vcc_lo, s9, v7, vcc_lo
	v_add_co_u32 v50, vcc_lo, s10, v6
	v_add_co_ci_u32_e32 v51, vcc_lo, s11, v7, vcc_lo
	global_load_b64 v[10:11], v[8:9], off
	global_load_b64 v[8:9], v[50:51], off
	s_branch .LBB37_5
.LBB37_8:
	v_mov_b32_e32 v1, v16
.LBB37_9:
	s_load_b32 s0, s[24:25], 0xc
	v_mov_b32_e32 v2, 0
	s_mov_b32 s15, 0
	s_waitcnt lgkmcnt(0)
	s_lshr_b32 s0, s0, 16
	s_delay_alu instid0(VALU_DEP_1) | instid1(SALU_CYCLE_1)
	v_mad_u64_u32 v[3:4], null, s0, s2, v[1:2]
	s_lshl_b64 s[0:1], s[14:15], 5
	s_cmp_eq_u64 s[20:21], 0
	v_add_co_u32 v0, s0, s0, v17
	s_delay_alu instid0(VALU_DEP_1) | instskip(NEXT) | instid1(VALU_DEP_3)
	v_add_co_ci_u32_e64 v1, null, s1, 0, s0
	v_mul_lo_u32 v2, v4, s18
	s_delay_alu instid0(VALU_DEP_4) | instskip(NEXT) | instid1(VALU_DEP_3)
	v_mul_lo_u32 v4, v3, s19
	v_lshlrev_b64 v[0:1], 3, v[0:1]
	s_cbranch_scc1 .LBB37_11
; %bb.10:
	v_mad_u64_u32 v[5:6], null, v3, s18, 0
	s_delay_alu instid0(VALU_DEP_1) | instskip(NEXT) | instid1(VALU_DEP_1)
	v_add3_u32 v6, v6, v4, v2
	v_lshlrev_b64 v[5:6], 3, v[5:6]
	s_delay_alu instid0(VALU_DEP_1) | instskip(NEXT) | instid1(VALU_DEP_2)
	v_add_co_u32 v5, vcc_lo, s20, v5
	v_add_co_ci_u32_e32 v6, vcc_lo, s21, v6, vcc_lo
	s_delay_alu instid0(VALU_DEP_2) | instskip(NEXT) | instid1(VALU_DEP_2)
	v_add_co_u32 v5, vcc_lo, v5, v0
	v_add_co_ci_u32_e32 v6, vcc_lo, v6, v1, vcc_lo
	global_store_b64 v[5:6], v[14:15], off
.LBB37_11:
	s_cmp_eq_u64 s[22:23], 0
	s_cbranch_scc1 .LBB37_13
; %bb.12:
	v_mad_u64_u32 v[5:6], null, v3, s18, 0
	s_delay_alu instid0(VALU_DEP_1) | instskip(NEXT) | instid1(VALU_DEP_1)
	v_add3_u32 v6, v6, v4, v2
	v_lshlrev_b64 v[2:3], 3, v[5:6]
	s_delay_alu instid0(VALU_DEP_1) | instskip(NEXT) | instid1(VALU_DEP_2)
	v_add_co_u32 v2, vcc_lo, s22, v2
	v_add_co_ci_u32_e32 v3, vcc_lo, s23, v3, vcc_lo
	s_delay_alu instid0(VALU_DEP_2) | instskip(NEXT) | instid1(VALU_DEP_2)
	v_add_co_u32 v0, vcc_lo, v2, v0
	v_add_co_ci_u32_e32 v1, vcc_lo, v3, v1, vcc_lo
	global_store_b64 v[0:1], v[12:13], off
.LBB37_13:
	s_nop 0
	s_sendmsg sendmsg(MSG_DEALLOC_VGPRS)
	s_endpgm
	.section	.rodata,"a",@progbits
	.p2align	6, 0x0
	.amdhsa_kernel _ZN2at6native12_GLOBAL__N_135GammaBetaBackwardCUDAKernelTemplateIddLj32ELj1ELj32ELb1ELb1ELb0EEEvllPKT_S5_PKT0_S8_PS3_S9_
		.amdhsa_group_segment_fixed_size 0
		.amdhsa_private_segment_fixed_size 0
		.amdhsa_kernarg_size 320
		.amdhsa_user_sgpr_count 14
		.amdhsa_user_sgpr_dispatch_ptr 0
		.amdhsa_user_sgpr_queue_ptr 0
		.amdhsa_user_sgpr_kernarg_segment_ptr 1
		.amdhsa_user_sgpr_dispatch_id 0
		.amdhsa_user_sgpr_private_segment_size 0
		.amdhsa_wavefront_size32 1
		.amdhsa_uses_dynamic_stack 0
		.amdhsa_enable_private_segment 0
		.amdhsa_system_sgpr_workgroup_id_x 1
		.amdhsa_system_sgpr_workgroup_id_y 1
		.amdhsa_system_sgpr_workgroup_id_z 0
		.amdhsa_system_sgpr_workgroup_info 0
		.amdhsa_system_vgpr_workitem_id 1
		.amdhsa_next_free_vgpr 94
		.amdhsa_next_free_sgpr 32
		.amdhsa_reserve_vcc 1
		.amdhsa_float_round_mode_32 0
		.amdhsa_float_round_mode_16_64 0
		.amdhsa_float_denorm_mode_32 3
		.amdhsa_float_denorm_mode_16_64 3
		.amdhsa_dx10_clamp 1
		.amdhsa_ieee_mode 1
		.amdhsa_fp16_overflow 0
		.amdhsa_workgroup_processor_mode 1
		.amdhsa_memory_ordered 1
		.amdhsa_forward_progress 0
		.amdhsa_shared_vgpr_count 0
		.amdhsa_exception_fp_ieee_invalid_op 0
		.amdhsa_exception_fp_denorm_src 0
		.amdhsa_exception_fp_ieee_div_zero 0
		.amdhsa_exception_fp_ieee_overflow 0
		.amdhsa_exception_fp_ieee_underflow 0
		.amdhsa_exception_fp_ieee_inexact 0
		.amdhsa_exception_int_div_zero 0
	.end_amdhsa_kernel
	.section	.text._ZN2at6native12_GLOBAL__N_135GammaBetaBackwardCUDAKernelTemplateIddLj32ELj1ELj32ELb1ELb1ELb0EEEvllPKT_S5_PKT0_S8_PS3_S9_,"axG",@progbits,_ZN2at6native12_GLOBAL__N_135GammaBetaBackwardCUDAKernelTemplateIddLj32ELj1ELj32ELb1ELb1ELb0EEEvllPKT_S5_PKT0_S8_PS3_S9_,comdat
.Lfunc_end37:
	.size	_ZN2at6native12_GLOBAL__N_135GammaBetaBackwardCUDAKernelTemplateIddLj32ELj1ELj32ELb1ELb1ELb0EEEvllPKT_S5_PKT0_S8_PS3_S9_, .Lfunc_end37-_ZN2at6native12_GLOBAL__N_135GammaBetaBackwardCUDAKernelTemplateIddLj32ELj1ELj32ELb1ELb1ELb0EEEvllPKT_S5_PKT0_S8_PS3_S9_
                                        ; -- End function
	.section	.AMDGPU.csdata,"",@progbits
; Kernel info:
; codeLenInByte = 4620
; NumSgprs: 34
; NumVgprs: 94
; ScratchSize: 0
; MemoryBound: 0
; FloatMode: 240
; IeeeMode: 1
; LDSByteSize: 0 bytes/workgroup (compile time only)
; SGPRBlocks: 4
; VGPRBlocks: 11
; NumSGPRsForWavesPerEU: 34
; NumVGPRsForWavesPerEU: 94
; Occupancy: 16
; WaveLimiterHint : 0
; COMPUTE_PGM_RSRC2:SCRATCH_EN: 0
; COMPUTE_PGM_RSRC2:USER_SGPR: 14
; COMPUTE_PGM_RSRC2:TRAP_HANDLER: 0
; COMPUTE_PGM_RSRC2:TGID_X_EN: 1
; COMPUTE_PGM_RSRC2:TGID_Y_EN: 1
; COMPUTE_PGM_RSRC2:TGID_Z_EN: 0
; COMPUTE_PGM_RSRC2:TIDIG_COMP_CNT: 1
	.section	.text._ZN2at6native12_GLOBAL__N_135GammaBetaBackwardCUDAKernelTemplateIddLj32ELj1ELj32ELb1ELb0ELb0EEEvllPKT_S5_PKT0_S8_PS3_S9_,"axG",@progbits,_ZN2at6native12_GLOBAL__N_135GammaBetaBackwardCUDAKernelTemplateIddLj32ELj1ELj32ELb1ELb0ELb0EEEvllPKT_S5_PKT0_S8_PS3_S9_,comdat
	.globl	_ZN2at6native12_GLOBAL__N_135GammaBetaBackwardCUDAKernelTemplateIddLj32ELj1ELj32ELb1ELb0ELb0EEEvllPKT_S5_PKT0_S8_PS3_S9_ ; -- Begin function _ZN2at6native12_GLOBAL__N_135GammaBetaBackwardCUDAKernelTemplateIddLj32ELj1ELj32ELb1ELb0ELb0EEEvllPKT_S5_PKT0_S8_PS3_S9_
	.p2align	8
	.type	_ZN2at6native12_GLOBAL__N_135GammaBetaBackwardCUDAKernelTemplateIddLj32ELj1ELj32ELb1ELb0ELb0EEEvllPKT_S5_PKT0_S8_PS3_S9_,@function
_ZN2at6native12_GLOBAL__N_135GammaBetaBackwardCUDAKernelTemplateIddLj32ELj1ELj32ELb1ELb0ELb0EEEvllPKT_S5_PKT0_S8_PS3_S9_: ; @_ZN2at6native12_GLOBAL__N_135GammaBetaBackwardCUDAKernelTemplateIddLj32ELj1ELj32ELb1ELb0ELb0EEEvllPKT_S5_PKT0_S8_PS3_S9_
; %bb.0:
	s_clause 0x1
	s_load_b256 s[16:23], s[0:1], 0x0
	s_load_b128 s[8:11], s[0:1], 0x20
	s_mov_b32 s2, s15
	s_lshl_b32 s15, s14, 5
	s_mov_b32 s7, 0
	s_or_b32 s6, s15, 31
	s_waitcnt lgkmcnt(0)
	v_cmp_ge_i64_e64 s3, s[6:7], s[18:19]
	s_lshl_b32 s6, s2, 5
	s_delay_alu instid0(SALU_CYCLE_1) | instskip(NEXT) | instid1(VALU_DEP_2)
	v_cmp_lt_i64_e64 s28, s[6:7], s[16:17]
	s_and_b32 vcc_lo, exec_lo, s3
	s_delay_alu instid0(VALU_DEP_1) | instskip(NEXT) | instid1(VALU_DEP_1)
	v_cndmask_b32_e64 v1, 0, 1, s28
	v_cmp_ne_u32_e64 s3, 1, v1
	s_cbranch_vccz .LBB38_140
; %bb.1:
	v_mov_b32_e32 v1, 0
	v_mov_b32_e32 v2, 0
	s_delay_alu instid0(VALU_DEP_3)
	s_and_b32 vcc_lo, exec_lo, s3
	s_clause 0x1
	scratch_store_b64 off, v[1:2], off
	scratch_store_b64 off, v[1:2], off offset:8
	s_cbranch_vccnz .LBB38_142
; %bb.2:
	v_bfe_u32 v1, v0, 10, 10
	s_load_b32 s4, s[0:1], 0x44
	s_add_u32 s12, s0, 64
	s_addc_u32 s13, s1, 0
	s_mov_b64 s[26:27], s[6:7]
	v_dual_mov_b32 v5, 0 :: v_dual_lshlrev_b32 v140, 5, v1
	s_delay_alu instid0(VALU_DEP_1)
	v_dual_mov_b32 v142, v5 :: v_dual_and_b32 v3, 0x3ff, v0
	s_clause 0x2
	scratch_store_b32 off, v1, off offset:76
	scratch_store_b32 off, v3, off offset:80
	;; [unrolled: 1-line block ×3, first 2 shown]
	v_add_co_u32 v0, s3, v140, s6
	s_delay_alu instid0(VALU_DEP_1) | instskip(SKIP_1) | instid1(VALU_DEP_3)
	v_add_co_ci_u32_e64 v1, null, 0, 0, s3
	v_add_nc_u32_e32 v4, s15, v3
	v_add_co_u32 v6, vcc_lo, v0, 31
	s_delay_alu instid0(VALU_DEP_3) | instskip(SKIP_1) | instid1(VALU_DEP_3)
	v_add_co_ci_u32_e32 v2, vcc_lo, 0, v1, vcc_lo
	v_add_co_u32 v10, vcc_lo, v0, 30
	v_mul_lo_u32 v7, s19, v6
	s_delay_alu instid0(VALU_DEP_3)
	v_mul_lo_u32 v8, s18, v2
	v_mad_u64_u32 v[2:3], null, s18, v6, 0
	v_add_co_ci_u32_e32 v9, vcc_lo, 0, v1, vcc_lo
	s_waitcnt lgkmcnt(0)
	s_lshl_b32 s29, s4, 5
	v_cmp_gt_i64_e64 s3, s[18:19], v[4:5]
	s_mul_i32 s4, s19, s29
	v_mul_lo_u32 v11, s18, v9
	s_delay_alu instid0(VALU_DEP_4) | instskip(SKIP_3) | instid1(VALU_DEP_4)
	v_add3_u32 v3, v3, v8, v7
	v_lshlrev_b64 v[6:7], 3, v[4:5]
	v_mul_lo_u32 v4, s19, v10
	v_mad_u64_u32 v[8:9], null, s18, v10, 0
	v_lshlrev_b64 v[2:3], 3, v[2:3]
	s_mul_hi_u32 s5, s18, s29
	s_mul_i32 s24, s18, s29
	s_add_i32 s25, s5, s4
	s_delay_alu instid0(SALU_CYCLE_1) | instskip(NEXT) | instid1(VALU_DEP_1)
	s_lshl_b64 s[24:25], s[24:25], 3
	v_add_co_u32 v10, vcc_lo, s20, v2
	v_add_co_u32 v2, s4, s22, v2
	v_add3_u32 v9, v9, v11, v4
	scratch_store_b32 off, v10, off offset:16 ; 4-byte Folded Spill
	v_add_co_ci_u32_e32 v10, vcc_lo, s21, v3, vcc_lo
	scratch_store_b32 off, v2, off offset:24 ; 4-byte Folded Spill
	v_add_co_ci_u32_e64 v2, s4, s23, v3, s4
	v_add_co_u32 v4, vcc_lo, v0, 29
	s_clause 0x1
	scratch_store_b32 off, v10, off offset:20
	scratch_store_b32 off, v2, off offset:28
	v_lshlrev_b64 v[2:3], 3, v[8:9]
	v_add_co_ci_u32_e32 v8, vcc_lo, 0, v1, vcc_lo
	v_add_co_u32 v13, vcc_lo, v0, 28
	v_add_co_ci_u32_e32 v10, vcc_lo, 0, v1, vcc_lo
	v_mul_lo_u32 v12, s19, v4
	s_delay_alu instid0(VALU_DEP_4)
	v_mul_lo_u32 v14, s18, v8
	v_mad_u64_u32 v[8:9], null, s18, v4, 0
	v_mul_lo_u32 v4, s19, v13
	v_mul_lo_u32 v15, s18, v10
	v_mad_u64_u32 v[10:11], null, s18, v13, 0
	v_add_co_u32 v13, vcc_lo, s20, v2
	v_add3_u32 v9, v9, v14, v12
	scratch_store_b32 off, v13, off offset:32 ; 4-byte Folded Spill
	v_add_co_ci_u32_e32 v13, vcc_lo, s21, v3, vcc_lo
	v_add_co_u32 v2, vcc_lo, s22, v2
	v_add3_u32 v11, v11, v15, v4
	s_clause 0x1
	scratch_store_b32 off, v13, off offset:36
	scratch_store_b32 off, v2, off offset:40
	v_add_co_ci_u32_e32 v2, vcc_lo, s23, v3, vcc_lo
	v_add_co_u32 v4, vcc_lo, v0, 27
	v_add_co_ci_u32_e32 v12, vcc_lo, 0, v1, vcc_lo
	scratch_store_b32 off, v2, off offset:44 ; 4-byte Folded Spill
	v_lshlrev_b64 v[2:3], 3, v[8:9]
	v_mul_lo_u32 v13, s19, v4
	v_mul_lo_u32 v12, s18, v12
	s_delay_alu instid0(VALU_DEP_3)
	v_add_co_u32 v8, vcc_lo, s20, v2
	scratch_store_b32 off, v8, off offset:48 ; 4-byte Folded Spill
	v_add_co_ci_u32_e32 v8, vcc_lo, s21, v3, vcc_lo
	v_add_co_u32 v2, vcc_lo, s22, v2
	scratch_store_b32 off, v8, off offset:52 ; 4-byte Folded Spill
	v_lshlrev_b64 v[8:9], 3, v[10:11]
	scratch_store_b32 off, v2, off offset:56 ; 4-byte Folded Spill
	v_add_co_ci_u32_e32 v2, vcc_lo, s23, v3, vcc_lo
	v_mad_u64_u32 v[10:11], null, s18, v4, 0
	v_add_co_u32 v157, s4, s22, v8
	scratch_store_b32 off, v2, off offset:60 ; 4-byte Folded Spill
	v_add_co_u32 v2, vcc_lo, s20, v8
	v_add_co_ci_u32_e32 v156, vcc_lo, s21, v9, vcc_lo
	v_add_co_u32 v4, vcc_lo, v0, 26
	v_add3_u32 v11, v11, v12, v13
	v_add_co_ci_u32_e32 v8, vcc_lo, 0, v1, vcc_lo
	v_add_co_u32 v13, vcc_lo, v0, 25
	scratch_store_b32 off, v2, off offset:64 ; 4-byte Folded Spill
	v_add_co_ci_u32_e64 v158, s4, s23, v9, s4
	v_lshlrev_b64 v[2:3], 3, v[10:11]
	v_mul_lo_u32 v12, s19, v4
	v_add_co_ci_u32_e32 v10, vcc_lo, 0, v1, vcc_lo
	v_mul_lo_u32 v14, s18, v8
	v_mad_u64_u32 v[8:9], null, s18, v4, 0
	v_mul_lo_u32 v4, s19, v13
	s_delay_alu instid0(VALU_DEP_4)
	v_mul_lo_u32 v15, s18, v10
	v_mad_u64_u32 v[10:11], null, s18, v13, 0
	v_add_co_u32 v159, vcc_lo, s20, v2
	v_add3_u32 v9, v9, v14, v12
	v_add_co_ci_u32_e32 v160, vcc_lo, s21, v3, vcc_lo
	v_add_co_u32 v161, vcc_lo, s22, v2
	v_add_co_ci_u32_e32 v162, vcc_lo, s23, v3, vcc_lo
	s_delay_alu instid0(VALU_DEP_4) | instskip(SKIP_3) | instid1(VALU_DEP_4)
	v_lshlrev_b64 v[2:3], 3, v[8:9]
	v_add3_u32 v11, v11, v15, v4
	v_add_co_u32 v4, vcc_lo, v0, 24
	v_add_co_ci_u32_e32 v12, vcc_lo, 0, v1, vcc_lo
	v_add_co_u32 v163, vcc_lo, s20, v2
	s_delay_alu instid0(VALU_DEP_4) | instskip(NEXT) | instid1(VALU_DEP_4)
	v_lshlrev_b64 v[8:9], 3, v[10:11]
	v_mul_lo_u32 v13, s19, v4
	s_delay_alu instid0(VALU_DEP_4)
	v_mul_lo_u32 v12, s18, v12
	v_mad_u64_u32 v[10:11], null, s18, v4, 0
	v_add_co_ci_u32_e32 v164, vcc_lo, s21, v3, vcc_lo
	v_add_co_u32 v165, vcc_lo, s22, v2
	v_add_co_ci_u32_e32 v166, vcc_lo, s23, v3, vcc_lo
	v_add_co_u32 v167, vcc_lo, s20, v8
	v_add_co_ci_u32_e32 v168, vcc_lo, s21, v9, vcc_lo
	v_add3_u32 v11, v11, v12, v13
	v_add_co_u32 v4, vcc_lo, v0, 23
	v_add_co_u32 v169, s4, s22, v8
	v_add_co_ci_u32_e32 v8, vcc_lo, 0, v1, vcc_lo
	v_add_co_u32 v13, vcc_lo, v0, 22
	v_lshlrev_b64 v[2:3], 3, v[10:11]
	v_add_co_ci_u32_e32 v10, vcc_lo, 0, v1, vcc_lo
	v_add_co_ci_u32_e64 v170, s4, s23, v9, s4
	v_mul_lo_u32 v12, s19, v4
	v_mul_lo_u32 v14, s18, v8
	v_mad_u64_u32 v[8:9], null, s18, v4, 0
	v_mul_lo_u32 v4, s19, v13
	v_mul_lo_u32 v15, s18, v10
	v_mad_u64_u32 v[10:11], null, s18, v13, 0
	v_add_co_u32 v171, vcc_lo, s20, v2
	v_add_co_ci_u32_e32 v172, vcc_lo, s21, v3, vcc_lo
	v_add_co_u32 v173, vcc_lo, s22, v2
	v_add3_u32 v9, v9, v14, v12
	v_add_co_ci_u32_e32 v174, vcc_lo, s23, v3, vcc_lo
	v_add3_u32 v11, v11, v15, v4
	v_add_co_u32 v4, vcc_lo, v0, 21
	v_add_co_ci_u32_e32 v12, vcc_lo, 0, v1, vcc_lo
	v_lshlrev_b64 v[2:3], 3, v[8:9]
	s_delay_alu instid0(VALU_DEP_4) | instskip(NEXT) | instid1(VALU_DEP_4)
	v_lshlrev_b64 v[8:9], 3, v[10:11]
	v_mul_lo_u32 v13, s19, v4
	s_delay_alu instid0(VALU_DEP_4)
	v_mul_lo_u32 v12, s18, v12
	v_mad_u64_u32 v[10:11], null, s18, v4, 0
	v_add_co_u32 v175, vcc_lo, s20, v2
	v_add_co_ci_u32_e32 v176, vcc_lo, s21, v3, vcc_lo
	v_add_co_u32 v177, vcc_lo, s22, v2
	v_add_co_ci_u32_e32 v178, vcc_lo, s23, v3, vcc_lo
	v_add_co_u32 v179, vcc_lo, s20, v8
	v_add3_u32 v11, v11, v12, v13
	v_add_co_ci_u32_e32 v180, vcc_lo, s21, v9, vcc_lo
	v_add_co_u32 v2, vcc_lo, v0, 20
	v_add_co_u32 v3, s4, s22, v8
	s_delay_alu instid0(VALU_DEP_1) | instskip(SKIP_4) | instid1(VALU_DEP_3)
	v_add_co_ci_u32_e64 v4, s4, s23, v9, s4
	v_lshlrev_b64 v[8:9], 3, v[10:11]
	v_add_co_ci_u32_e32 v10, vcc_lo, 0, v1, vcc_lo
	v_add_co_u32 v15, vcc_lo, v0, 19
	v_mul_lo_u32 v14, s19, v2
	v_mul_lo_u32 v16, s18, v10
	v_mad_u64_u32 v[10:11], null, s18, v2, 0
	v_add_co_ci_u32_e32 v12, vcc_lo, 0, v1, vcc_lo
	v_mul_lo_u32 v2, s19, v15
	v_add_co_u32 v181, vcc_lo, s20, v8
	s_delay_alu instid0(VALU_DEP_3)
	v_mul_lo_u32 v17, s18, v12
	v_mad_u64_u32 v[12:13], null, s18, v15, 0
	v_add3_u32 v11, v11, v16, v14
	v_add_co_ci_u32_e32 v182, vcc_lo, s21, v9, vcc_lo
	v_add_co_u32 v183, vcc_lo, s22, v8
	v_add_co_ci_u32_e32 v184, vcc_lo, s23, v9, vcc_lo
	s_delay_alu instid0(VALU_DEP_4) | instskip(SKIP_3) | instid1(VALU_DEP_4)
	v_lshlrev_b64 v[8:9], 3, v[10:11]
	v_add3_u32 v13, v13, v17, v2
	v_add_co_u32 v2, vcc_lo, v0, 18
	v_add_co_ci_u32_e32 v14, vcc_lo, 0, v1, vcc_lo
	v_add_co_u32 v185, vcc_lo, s20, v8
	s_delay_alu instid0(VALU_DEP_4)
	v_lshlrev_b64 v[10:11], 3, v[12:13]
	v_add_co_ci_u32_e32 v186, vcc_lo, s21, v9, vcc_lo
	v_add_co_u32 v187, vcc_lo, s22, v8
	v_mul_lo_u32 v15, s19, v2
	v_mul_lo_u32 v14, s18, v14
	v_mad_u64_u32 v[12:13], null, s18, v2, 0
	v_add_co_ci_u32_e32 v188, vcc_lo, s23, v9, vcc_lo
	v_add_co_u32 v189, vcc_lo, s20, v10
	v_add_co_ci_u32_e32 v190, vcc_lo, s21, v11, vcc_lo
	v_add_co_u32 v2, vcc_lo, v0, 17
	v_add_co_u32 v191, s4, s22, v10
	v_add_co_ci_u32_e32 v10, vcc_lo, 0, v1, vcc_lo
	v_add3_u32 v13, v13, v14, v15
	v_add_co_u32 v15, vcc_lo, v0, 16
	v_add_co_ci_u32_e64 v192, s4, s23, v11, s4
	v_mul_lo_u32 v14, s19, v2
	v_mul_lo_u32 v16, s18, v10
	v_mad_u64_u32 v[10:11], null, s18, v2, 0
	v_lshlrev_b64 v[8:9], 3, v[12:13]
	v_add_co_ci_u32_e32 v12, vcc_lo, 0, v1, vcc_lo
	v_mul_lo_u32 v2, s19, v15
	s_delay_alu instid0(VALU_DEP_2)
	v_mul_lo_u32 v17, s18, v12
	v_mad_u64_u32 v[12:13], null, s18, v15, 0
	v_add_co_u32 v193, vcc_lo, s20, v8
	v_add3_u32 v11, v11, v16, v14
	v_add_co_ci_u32_e32 v194, vcc_lo, s21, v9, vcc_lo
	v_add_co_u32 v195, vcc_lo, s22, v8
	v_add_co_ci_u32_e32 v196, vcc_lo, s23, v9, vcc_lo
	s_delay_alu instid0(VALU_DEP_4) | instskip(SKIP_3) | instid1(VALU_DEP_4)
	v_lshlrev_b64 v[8:9], 3, v[10:11]
	v_add3_u32 v13, v13, v17, v2
	v_add_co_u32 v2, vcc_lo, v0, 15
	v_add_co_ci_u32_e32 v14, vcc_lo, 0, v1, vcc_lo
	v_add_co_u32 v197, vcc_lo, s20, v8
	s_delay_alu instid0(VALU_DEP_4)
	v_lshlrev_b64 v[10:11], 3, v[12:13]
	v_add_co_ci_u32_e32 v198, vcc_lo, s21, v9, vcc_lo
	v_add_co_u32 v199, vcc_lo, s22, v8
	v_mul_lo_u32 v15, s19, v2
	v_mul_lo_u32 v14, s18, v14
	v_mad_u64_u32 v[12:13], null, s18, v2, 0
	v_add_co_ci_u32_e32 v200, vcc_lo, s23, v9, vcc_lo
	v_add_co_u32 v201, vcc_lo, s20, v10
	v_add_co_ci_u32_e32 v202, vcc_lo, s21, v11, vcc_lo
	v_add_co_u32 v2, vcc_lo, v0, 14
	v_add_co_u32 v203, s4, s22, v10
	v_add_co_ci_u32_e32 v10, vcc_lo, 0, v1, vcc_lo
	v_add3_u32 v13, v13, v14, v15
	v_add_co_u32 v15, vcc_lo, v0, 13
	v_add_co_ci_u32_e64 v204, s4, s23, v11, s4
	v_mul_lo_u32 v14, s19, v2
	v_mul_lo_u32 v16, s18, v10
	v_mad_u64_u32 v[10:11], null, s18, v2, 0
	v_lshlrev_b64 v[8:9], 3, v[12:13]
	v_add_co_ci_u32_e32 v12, vcc_lo, 0, v1, vcc_lo
	v_mul_lo_u32 v2, s19, v15
	s_delay_alu instid0(VALU_DEP_2)
	v_mul_lo_u32 v17, s18, v12
	v_mad_u64_u32 v[12:13], null, s18, v15, 0
	v_add_co_u32 v205, vcc_lo, s20, v8
	;; [unrolled: 36-line block ×4, first 2 shown]
	v_add3_u32 v11, v11, v16, v14
	v_add_co_ci_u32_e32 v230, vcc_lo, s21, v9, vcc_lo
	v_add_co_u32 v231, vcc_lo, s22, v8
	v_add_co_ci_u32_e32 v232, vcc_lo, s23, v9, vcc_lo
	s_delay_alu instid0(VALU_DEP_4) | instskip(SKIP_3) | instid1(VALU_DEP_4)
	v_lshlrev_b64 v[8:9], 3, v[10:11]
	v_add3_u32 v13, v13, v17, v2
	v_add_co_u32 v2, vcc_lo, v0, 6
	v_add_co_ci_u32_e32 v14, vcc_lo, 0, v1, vcc_lo
	v_add_co_u32 v233, vcc_lo, s20, v8
	s_delay_alu instid0(VALU_DEP_4)
	v_lshlrev_b64 v[10:11], 3, v[12:13]
	v_add_co_ci_u32_e32 v234, vcc_lo, s21, v9, vcc_lo
	v_add_co_u32 v235, vcc_lo, s22, v8
	v_mul_lo_u32 v15, s19, v2
	v_mul_lo_u32 v14, s18, v14
	v_mad_u64_u32 v[12:13], null, s18, v2, 0
	v_add_co_ci_u32_e32 v236, vcc_lo, s23, v9, vcc_lo
	v_add_co_u32 v237, vcc_lo, s20, v10
	v_add_co_ci_u32_e32 v238, vcc_lo, s21, v11, vcc_lo
	v_add_co_u32 v2, vcc_lo, v0, 5
	v_add_co_u32 v239, s4, s22, v10
	v_add_co_ci_u32_e32 v10, vcc_lo, 0, v1, vcc_lo
	v_add3_u32 v13, v13, v14, v15
	v_add_co_u32 v15, vcc_lo, v0, 4
	v_add_co_ci_u32_e64 v240, s4, s23, v11, s4
	v_mul_lo_u32 v14, s19, v2
	v_mul_lo_u32 v16, s18, v10
	v_mad_u64_u32 v[10:11], null, s18, v2, 0
	v_lshlrev_b64 v[8:9], 3, v[12:13]
	v_add_co_ci_u32_e32 v12, vcc_lo, 0, v1, vcc_lo
	v_mul_lo_u32 v2, s19, v15
	s_mov_b64 s[4:5], 31
	s_delay_alu instid0(VALU_DEP_2)
	v_mul_lo_u32 v17, s18, v12
	v_mad_u64_u32 v[12:13], null, s18, v15, 0
	v_add_co_u32 v241, vcc_lo, s20, v8
	v_add3_u32 v11, v11, v16, v14
	v_add_co_ci_u32_e32 v242, vcc_lo, s21, v9, vcc_lo
	v_add_co_u32 v243, vcc_lo, s22, v8
	v_add_co_ci_u32_e32 v244, vcc_lo, s23, v9, vcc_lo
	s_delay_alu instid0(VALU_DEP_4) | instskip(SKIP_3) | instid1(VALU_DEP_4)
	v_lshlrev_b64 v[8:9], 3, v[10:11]
	v_add3_u32 v13, v13, v17, v2
	v_add_co_u32 v2, vcc_lo, v0, 3
	v_add_co_ci_u32_e32 v14, vcc_lo, 0, v1, vcc_lo
	v_add_co_u32 v245, vcc_lo, s20, v8
	s_delay_alu instid0(VALU_DEP_4)
	v_lshlrev_b64 v[10:11], 3, v[12:13]
	v_add_co_ci_u32_e32 v246, vcc_lo, s21, v9, vcc_lo
	v_mul_lo_u32 v15, s19, v2
	v_mul_lo_u32 v14, s18, v14
	v_mad_u64_u32 v[12:13], null, s18, v2, 0
	v_add_co_u32 v247, vcc_lo, s22, v8
	v_add_co_ci_u32_e32 v248, vcc_lo, s23, v9, vcc_lo
	v_add_co_u32 v249, vcc_lo, s20, v10
	v_add_co_ci_u32_e32 v250, vcc_lo, s21, v11, vcc_lo
	v_add_co_u32 v2, vcc_lo, v0, 2
	v_add3_u32 v13, v13, v14, v15
	v_add_co_ci_u32_e32 v14, vcc_lo, 0, v1, vcc_lo
	v_add_co_u32 v251, vcc_lo, s22, v10
	v_add_co_ci_u32_e32 v252, vcc_lo, s23, v11, vcc_lo
	s_delay_alu instid0(VALU_DEP_4)
	v_lshlrev_b64 v[8:9], 3, v[12:13]
	v_mul_lo_u32 v12, s19, v2
	v_mul_lo_u32 v13, s18, v14
	v_mad_u64_u32 v[10:11], null, s18, v2, 0
	v_mul_lo_u32 v14, s19, v0
	v_mul_lo_u32 v15, s18, v1
	v_mad_u64_u32 v[1:2], null, s18, v0, 0
	v_add_co_u32 v253, vcc_lo, s20, v8
	v_add3_u32 v11, v11, v13, v12
	v_add_co_ci_u32_e32 v254, vcc_lo, s21, v9, vcc_lo
	v_add_co_u32 v255, vcc_lo, s22, v8
	v_add3_u32 v2, v2, v15, v14
	v_add_co_ci_u32_e32 v0, vcc_lo, s23, v9, vcc_lo
	v_lshlrev_b64 v[8:9], 3, v[10:11]
	v_add_co_u32 v10, vcc_lo, v1, s18
	s_delay_alu instid0(VALU_DEP_4) | instskip(SKIP_1) | instid1(VALU_DEP_4)
	v_add_co_ci_u32_e32 v11, vcc_lo, s19, v2, vcc_lo
	v_lshlrev_b64 v[1:2], 3, v[1:2]
	v_add_co_u32 v141, vcc_lo, s20, v8
	s_delay_alu instid0(VALU_DEP_3) | instskip(SKIP_3) | instid1(VALU_DEP_4)
	v_lshlrev_b64 v[10:11], 3, v[10:11]
	v_add_co_ci_u32_e32 v143, vcc_lo, s21, v9, vcc_lo
	v_add_co_u32 v144, vcc_lo, s22, v8
	v_add_co_ci_u32_e32 v145, vcc_lo, s23, v9, vcc_lo
	v_add_co_u32 v146, vcc_lo, s20, v10
	;; [unrolled: 2-line block ×5, first 2 shown]
	v_mov_b32_e32 v8, 0
	v_mov_b32_e32 v9, 0
	v_add_co_ci_u32_e32 v153, vcc_lo, s23, v2, vcc_lo
	s_clause 0x1
	scratch_store_b64 off, v[8:9], off offset:8
	scratch_store_b64 off, v[8:9], off
	s_branch .LBB38_5
.LBB38_3:                               ;   in Loop: Header=BB38_5 Depth=1
	s_or_b32 exec_lo, exec_lo, s30
	scratch_load_b64 v[16:17], off, off offset:8 ; 8-byte Folded Reload
	s_waitcnt vmcnt(2)
	ds_bpermute_b32 v138, v5, v8
	ds_bpermute_b32 v139, v5, v9
	s_waitcnt vmcnt(1) lgkmcnt(0)
	v_add_f64 v[60:61], v[60:61], -v[138:139]
	ds_bpermute_b32 v138, v5, v10
	ds_bpermute_b32 v139, v5, v11
	v_mul_f64 v[60:61], v[12:13], v[60:61]
	s_waitcnt vmcnt(0) lgkmcnt(0)
	s_delay_alu instid0(VALU_DEP_1)
	v_fma_f64 v[60:61], v[60:61], v[138:139], v[16:17]
	ds_bpermute_b32 v138, v5, v8 offset:4
	ds_bpermute_b32 v139, v5, v9 offset:4
	;; [unrolled: 1-line block ×4, first 2 shown]
	s_waitcnt lgkmcnt(2)
	v_add_f64 v[56:57], v[56:57], -v[138:139]
	ds_bpermute_b32 v138, v5, v10 offset:4
	ds_bpermute_b32 v139, v5, v11 offset:4
	s_waitcnt lgkmcnt(2)
	v_add_f64 v[16:17], v[86:87], -v[16:17]
	v_mul_f64 v[56:57], v[154:155], v[56:57]
	s_delay_alu instid0(VALU_DEP_2) | instskip(SKIP_1) | instid1(VALU_DEP_2)
	v_mul_f64 v[16:17], v[50:51], v[16:17]
	s_waitcnt lgkmcnt(0)
	v_fma_f64 v[56:57], v[56:57], v[138:139], v[60:61]
	ds_bpermute_b32 v60, v5, v8 offset:8
	ds_bpermute_b32 v61, v5, v9 offset:8
	s_waitcnt lgkmcnt(0)
	v_add_f64 v[58:59], v[58:59], -v[60:61]
	ds_bpermute_b32 v60, v5, v10 offset:8
	ds_bpermute_b32 v61, v5, v11 offset:8
	v_mul_f64 v[58:59], v[14:15], v[58:59]
	s_waitcnt lgkmcnt(0)
	s_delay_alu instid0(VALU_DEP_1)
	v_fma_f64 v[56:57], v[58:59], v[60:61], v[56:57]
	ds_bpermute_b32 v58, v5, v8 offset:12
	ds_bpermute_b32 v59, v5, v9 offset:12
	ds_bpermute_b32 v60, v5, v10 offset:12
	ds_bpermute_b32 v61, v5, v11 offset:12
	s_waitcnt lgkmcnt(2)
	v_add_f64 v[58:59], v[62:63], -v[58:59]
	s_delay_alu instid0(VALU_DEP_1) | instskip(SKIP_1) | instid1(VALU_DEP_1)
	v_mul_f64 v[58:59], v[24:25], v[58:59]
	s_waitcnt lgkmcnt(0)
	v_fma_f64 v[56:57], v[58:59], v[60:61], v[56:57]
	ds_bpermute_b32 v58, v5, v8 offset:16
	ds_bpermute_b32 v59, v5, v9 offset:16
	ds_bpermute_b32 v60, v5, v10 offset:16
	ds_bpermute_b32 v61, v5, v11 offset:16
	s_waitcnt lgkmcnt(2)
	v_add_f64 v[58:59], v[64:65], -v[58:59]
	s_delay_alu instid0(VALU_DEP_1) | instskip(SKIP_1) | instid1(VALU_DEP_1)
	v_mul_f64 v[58:59], v[18:19], v[58:59]
	s_waitcnt lgkmcnt(0)
	;; [unrolled: 10-line block ×14, first 2 shown]
	v_fma_f64 v[56:57], v[58:59], v[60:61], v[56:57]
	scratch_load_b64 v[58:59], off, off     ; 8-byte Folded Reload
	s_waitcnt vmcnt(0)
	v_add_f64 v[12:13], v[58:59], v[12:13]
	s_delay_alu instid0(VALU_DEP_1) | instskip(NEXT) | instid1(VALU_DEP_1)
	v_add_f64 v[12:13], v[12:13], v[154:155]
	v_add_f64 v[12:13], v[12:13], v[14:15]
	ds_bpermute_b32 v14, v5, v8 offset:68
	ds_bpermute_b32 v15, v5, v9 offset:68
	s_waitcnt lgkmcnt(0)
	v_add_f64 v[14:15], v[66:67], -v[14:15]
	v_add_f64 v[12:13], v[12:13], v[24:25]
	ds_bpermute_b32 v24, v5, v10 offset:68
	ds_bpermute_b32 v25, v5, v11 offset:68
	v_mul_f64 v[14:15], v[52:53], v[14:15]
	v_add_f64 v[12:13], v[12:13], v[18:19]
	ds_bpermute_b32 v18, v5, v8 offset:76
	ds_bpermute_b32 v19, v5, v9 offset:76
	s_waitcnt lgkmcnt(0)
	v_add_f64 v[18:19], v[100:101], -v[18:19]
	v_fma_f64 v[14:15], v[14:15], v[24:25], v[56:57]
	ds_bpermute_b32 v24, v5, v8 offset:80
	ds_bpermute_b32 v25, v5, v9 offset:80
	v_add_f64 v[12:13], v[12:13], v[28:29]
	s_waitcnt lgkmcnt(0)
	v_add_f64 v[24:25], v[112:113], -v[24:25]
	v_mul_f64 v[18:19], v[70:71], v[18:19]
	s_delay_alu instid0(VALU_DEP_3)
	v_add_f64 v[12:13], v[12:13], v[26:27]
	ds_bpermute_b32 v26, v5, v10 offset:72
	ds_bpermute_b32 v27, v5, v11 offset:72
	v_mul_f64 v[24:25], v[54:55], v[24:25]
	s_waitcnt lgkmcnt(0)
	v_fma_f64 v[14:15], v[16:17], v[26:27], v[14:15]
	ds_bpermute_b32 v16, v5, v8 offset:84
	ds_bpermute_b32 v17, v5, v9 offset:84
	;; [unrolled: 1-line block ×4, first 2 shown]
	v_add_f64 v[12:13], v[12:13], v[32:33]
	s_waitcnt lgkmcnt(2)
	v_add_f64 v[16:17], v[114:115], -v[16:17]
	s_waitcnt lgkmcnt(0)
	v_fma_f64 v[14:15], v[18:19], v[26:27], v[14:15]
	ds_bpermute_b32 v18, v5, v8 offset:88
	ds_bpermute_b32 v19, v5, v9 offset:88
	ds_bpermute_b32 v26, v5, v10 offset:80
	ds_bpermute_b32 v27, v5, v11 offset:80
	v_add_f64 v[12:13], v[12:13], v[30:31]
	s_waitcnt lgkmcnt(2)
	v_add_f64 v[18:19], v[116:117], -v[18:19]
	v_mul_f64 v[16:17], v[82:83], v[16:17]
	s_waitcnt lgkmcnt(0)
	v_fma_f64 v[14:15], v[24:25], v[26:27], v[14:15]
	ds_bpermute_b32 v24, v5, v8 offset:92
	ds_bpermute_b32 v25, v5, v9 offset:92
	ds_bpermute_b32 v26, v5, v10 offset:84
	ds_bpermute_b32 v27, v5, v11 offset:84
	v_add_f64 v[12:13], v[12:13], v[36:37]
	s_waitcnt lgkmcnt(2)
	v_add_f64 v[24:25], v[120:121], -v[24:25]
	v_mul_f64 v[18:19], v[68:69], v[18:19]
	;; [unrolled: 10-line block ×3, first 2 shown]
	ds_bpermute_b32 v24, v5, v10 offset:92
	ds_bpermute_b32 v25, v5, v11 offset:92
	s_waitcnt lgkmcnt(2)
	v_fma_f64 v[14:15], v[18:19], v[26:27], v[14:15]
	ds_bpermute_b32 v18, v5, v8 offset:100
	ds_bpermute_b32 v19, v5, v9 offset:100
	v_add_f64 v[12:13], v[12:13], v[40:41]
	s_waitcnt lgkmcnt(0)
	v_add_f64 v[18:19], v[122:123], -v[18:19]
	v_mul_f64 v[1:2], v[80:81], v[1:2]
	v_fma_f64 v[14:15], v[16:17], v[24:25], v[14:15]
	ds_bpermute_b32 v16, v5, v8 offset:104
	ds_bpermute_b32 v17, v5, v9 offset:104
	ds_bpermute_b32 v24, v5, v10 offset:96
	ds_bpermute_b32 v25, v5, v11 offset:96
	v_add_f64 v[12:13], v[12:13], v[38:39]
	s_waitcnt lgkmcnt(2)
	v_add_f64 v[16:17], v[128:129], -v[16:17]
	v_mul_f64 v[18:19], v[110:111], v[18:19]
	s_waitcnt lgkmcnt(0)
	v_fma_f64 v[1:2], v[1:2], v[24:25], v[14:15]
	ds_bpermute_b32 v14, v5, v8 offset:108
	ds_bpermute_b32 v15, v5, v9 offset:108
	ds_bpermute_b32 v24, v5, v10 offset:100
	ds_bpermute_b32 v25, v5, v11 offset:100
	v_add_f64 v[12:13], v[12:13], v[44:45]
	s_waitcnt lgkmcnt(2)
	v_add_f64 v[14:15], v[130:131], -v[14:15]
	v_mul_f64 v[16:17], v[94:95], v[16:17]
	s_waitcnt lgkmcnt(0)
	;; [unrolled: 10-line block ×5, first 2 shown]
	v_fma_f64 v[1:2], v[18:19], v[24:25], v[1:2]
	ds_bpermute_b32 v18, v5, v10 offset:116
	ds_bpermute_b32 v19, v5, v11 offset:116
	v_add_f64 v[12:13], v[12:13], v[52:53]
	v_mul_f64 v[14:15], v[124:125], v[14:15]
	s_waitcnt lgkmcnt(0)
	v_fma_f64 v[1:2], v[16:17], v[18:19], v[1:2]
	ds_bpermute_b32 v16, v5, v10 offset:120
	ds_bpermute_b32 v17, v5, v11 offset:120
	v_add_f64 v[12:13], v[12:13], v[50:51]
	s_waitcnt lgkmcnt(0)
	v_fma_f64 v[14:15], v[14:15], v[16:17], v[1:2]
	ds_bpermute_b32 v1, v5, v10 offset:124
	ds_bpermute_b32 v2, v5, v11 offset:124
	;; [unrolled: 1-line block ×4, first 2 shown]
	v_add_f64 v[12:13], v[12:13], v[70:71]
	s_delay_alu instid0(VALU_DEP_1) | instskip(NEXT) | instid1(VALU_DEP_1)
	v_add_f64 v[12:13], v[12:13], v[54:55]
	v_add_f64 v[12:13], v[12:13], v[82:83]
	s_delay_alu instid0(VALU_DEP_1) | instskip(NEXT) | instid1(VALU_DEP_1)
	v_add_f64 v[12:13], v[12:13], v[68:69]
	;; [unrolled: 3-line block ×5, first 2 shown]
	v_add_f64 v[12:13], v[12:13], v[126:127]
	s_delay_alu instid0(VALU_DEP_1)
	v_add_f64 v[16:17], v[12:13], v[124:125]
.LBB38_4:                               ;   in Loop: Header=BB38_5 Depth=1
	s_waitcnt lgkmcnt(0)
	v_add_f64 v[8:9], v[22:23], -v[10:11]
	s_delay_alu instid0(VALU_DEP_2)
	v_add_f64 v[10:11], v[16:17], v[20:21]
	s_add_u32 s26, s26, s29
	s_addc_u32 s27, s27, 0
	s_add_u32 s4, s4, s29
	v_cmp_lt_i64_e64 s30, s[26:27], s[16:17]
	s_addc_u32 s5, s5, 0
	s_delay_alu instid0(VALU_DEP_3) | instskip(NEXT) | instid1(VALU_DEP_1)
	v_mul_f64 v[8:9], v[20:21], v[8:9]
	v_fma_f64 v[1:2], v[8:9], v[1:2], v[14:15]
	scratch_store_b64 off, v[10:11], off    ; 8-byte Folded Spill
	scratch_load_b32 v10, off, off offset:16 ; 4-byte Folded Reload
	scratch_store_b64 off, v[1:2], off offset:8 ; 8-byte Folded Spill
	s_waitcnt vmcnt(0)
	v_add_co_u32 v10, vcc_lo, v10, s24
	scratch_store_b32 off, v10, off offset:16 ; 4-byte Folded Spill
	scratch_load_b32 v10, off, off offset:20 ; 4-byte Folded Reload
	s_waitcnt vmcnt(0)
	v_add_co_ci_u32_e32 v10, vcc_lo, s25, v10, vcc_lo
	scratch_store_b32 off, v10, off offset:20 ; 4-byte Folded Spill
	scratch_load_b32 v10, off, off offset:24 ; 4-byte Folded Reload
	s_waitcnt vmcnt(0)
	v_add_co_u32 v10, vcc_lo, v10, s24
	scratch_store_b32 off, v10, off offset:24 ; 4-byte Folded Spill
	scratch_load_b32 v10, off, off offset:28 ; 4-byte Folded Reload
	s_waitcnt vmcnt(0)
	v_add_co_ci_u32_e32 v10, vcc_lo, s25, v10, vcc_lo
	scratch_store_b32 off, v10, off offset:28 ; 4-byte Folded Spill
	scratch_load_b32 v10, off, off offset:32 ; 4-byte Folded Reload
	;; [unrolled: 8-line block ×6, first 2 shown]
	s_waitcnt vmcnt(0)
	v_add_co_u32 v10, vcc_lo, v10, s24
	v_add_co_ci_u32_e32 v156, vcc_lo, s25, v156, vcc_lo
	v_add_co_u32 v157, vcc_lo, v157, s24
	v_add_co_ci_u32_e32 v158, vcc_lo, s25, v158, vcc_lo
	;; [unrolled: 2-line block ×59, first 2 shown]
	s_and_b32 vcc_lo, exec_lo, s30
	scratch_store_b32 off, v10, off offset:64 ; 4-byte Folded Spill
	s_cbranch_vccz .LBB38_141
.LBB38_5:                               ; =>This Inner Loop Header: Depth=1
	s_add_u32 s30, s6, s4
	s_addc_u32 s31, 0, s5
	v_add_co_u32 v8, vcc_lo, s6, v140
	v_cmp_ge_i64_e64 s30, s[30:31], s[16:17]
	v_add_co_ci_u32_e32 v9, vcc_lo, 0, v142, vcc_lo
	s_delay_alu instid0(VALU_DEP_2)
	s_and_b32 vcc_lo, exec_lo, s30
	s_cbranch_vccz .LBB38_73
; %bb.6:                                ;   in Loop: Header=BB38_5 Depth=1
	s_load_b32 s30, s[12:13], 0xc
	s_clause 0x1
	scratch_load_b32 v1, off, off offset:76
	scratch_load_b32 v2, off, off offset:80
	v_mov_b32_e32 v14, 0
	v_mov_b32_e32 v15, 0
	s_delay_alu instid0(VALU_DEP_2) | instskip(NEXT) | instid1(VALU_DEP_2)
	v_mov_b32_e32 v12, v14
	v_dual_mov_b32 v10, v14 :: v_dual_mov_b32 v11, v15
	v_mov_b32_e32 v13, v15
	s_waitcnt lgkmcnt(0)
	s_and_b32 s30, s30, 0xffff
	s_waitcnt vmcnt(0)
	v_mad_u32_u24 v1, v1, s30, v2
	s_mov_b32 s30, exec_lo
	s_delay_alu instid0(VALU_DEP_1) | instskip(NEXT) | instid1(VALU_DEP_1)
	v_and_b32_e32 v1, 31, v1
	v_add_co_u32 v1, vcc_lo, v8, v1
	v_add_co_ci_u32_e32 v2, vcc_lo, 0, v9, vcc_lo
	s_delay_alu instid0(VALU_DEP_1)
	v_cmpx_gt_i64_e64 s[16:17], v[1:2]
	s_cbranch_execz .LBB38_8
; %bb.7:                                ;   in Loop: Header=BB38_5 Depth=1
	v_lshlrev_b64 v[1:2], 3, v[1:2]
	s_delay_alu instid0(VALU_DEP_1) | instskip(NEXT) | instid1(VALU_DEP_2)
	v_add_co_u32 v10, vcc_lo, s8, v1
	v_add_co_ci_u32_e32 v11, vcc_lo, s9, v2, vcc_lo
	v_add_co_u32 v1, vcc_lo, s10, v1
	v_add_co_ci_u32_e32 v2, vcc_lo, s11, v2, vcc_lo
	global_load_b64 v[10:11], v[10:11], off
	global_load_b64 v[12:13], v[1:2], off
.LBB38_8:                               ;   in Loop: Header=BB38_5 Depth=1
	s_or_b32 exec_lo, exec_lo, s30
	v_cmp_gt_i64_e32 vcc_lo, s[16:17], v[8:9]
	v_dual_mov_b32 v51, v15 :: v_dual_mov_b32 v50, v14
	s_and_b32 s31, s3, vcc_lo
	s_delay_alu instid0(SALU_CYCLE_1)
	s_and_saveexec_b32 s30, s31
	s_cbranch_execz .LBB38_10
; %bb.9:                                ;   in Loop: Header=BB38_5 Depth=1
	v_add_co_u32 v1, vcc_lo, v150, v6
	v_add_co_ci_u32_e32 v2, vcc_lo, v151, v7, vcc_lo
	v_add_co_u32 v16, vcc_lo, v152, v6
	v_add_co_ci_u32_e32 v17, vcc_lo, v153, v7, vcc_lo
	global_load_b64 v[14:15], v[1:2], off
	global_load_b64 v[50:51], v[16:17], off
.LBB38_10:                              ;   in Loop: Header=BB38_5 Depth=1
	s_or_b32 exec_lo, exec_lo, s30
	v_add_co_u32 v1, vcc_lo, v8, 1
	v_add_co_ci_u32_e32 v2, vcc_lo, 0, v9, vcc_lo
	v_mov_b32_e32 v16, 0
	v_mov_b32_e32 v17, 0
	s_delay_alu instid0(VALU_DEP_3) | instskip(NEXT) | instid1(VALU_DEP_2)
	v_cmp_gt_i64_e32 vcc_lo, s[16:17], v[1:2]
	v_dual_mov_b32 v55, v17 :: v_dual_mov_b32 v54, v16
	v_dual_mov_b32 v53, v17 :: v_dual_mov_b32 v52, v16
	s_and_b32 s31, s3, vcc_lo
	s_delay_alu instid0(SALU_CYCLE_1)
	s_and_saveexec_b32 s30, s31
	s_cbranch_execz .LBB38_12
; %bb.11:                               ;   in Loop: Header=BB38_5 Depth=1
	v_add_co_u32 v1, vcc_lo, v146, v6
	v_add_co_ci_u32_e32 v2, vcc_lo, v147, v7, vcc_lo
	v_add_co_u32 v20, vcc_lo, v148, v6
	v_add_co_ci_u32_e32 v21, vcc_lo, v149, v7, vcc_lo
	global_load_b64 v[54:55], v[1:2], off
	global_load_b64 v[52:53], v[20:21], off
.LBB38_12:                              ;   in Loop: Header=BB38_5 Depth=1
	s_or_b32 exec_lo, exec_lo, s30
	v_add_co_u32 v1, vcc_lo, v8, 2
	v_add_co_ci_u32_e32 v2, vcc_lo, 0, v9, vcc_lo
	scratch_store_b64 off, v[16:17], off offset:68 ; 8-byte Folded Spill
	v_cmp_gt_i64_e32 vcc_lo, s[16:17], v[1:2]
	s_and_b32 s31, s3, vcc_lo
	s_delay_alu instid0(SALU_CYCLE_1)
	s_and_saveexec_b32 s30, s31
	s_cbranch_execz .LBB38_14
; %bb.13:                               ;   in Loop: Header=BB38_5 Depth=1
	v_add_co_u32 v1, vcc_lo, v141, v6
	v_add_co_ci_u32_e32 v2, vcc_lo, v143, v7, vcc_lo
	v_add_co_u32 v20, vcc_lo, v144, v6
	v_add_co_ci_u32_e32 v21, vcc_lo, v145, v7, vcc_lo
	global_load_b64 v[16:17], v[1:2], off
	global_load_b64 v[1:2], v[20:21], off
	s_waitcnt vmcnt(0)
	scratch_store_b64 off, v[1:2], off offset:68 ; 8-byte Folded Spill
.LBB38_14:                              ;   in Loop: Header=BB38_5 Depth=1
	s_or_b32 exec_lo, exec_lo, s30
	v_add_co_u32 v1, vcc_lo, v8, 3
	v_add_co_ci_u32_e32 v2, vcc_lo, 0, v9, vcc_lo
	v_mov_b32_e32 v24, 0
	v_mov_b32_e32 v25, 0
	s_delay_alu instid0(VALU_DEP_3) | instskip(NEXT) | instid1(VALU_DEP_2)
	v_cmp_gt_i64_e32 vcc_lo, s[16:17], v[1:2]
	v_dual_mov_b32 v27, v25 :: v_dual_mov_b32 v26, v24
	v_dual_mov_b32 v155, v25 :: v_dual_mov_b32 v154, v24
	s_and_b32 s31, s3, vcc_lo
	s_delay_alu instid0(SALU_CYCLE_1)
	s_and_saveexec_b32 s30, s31
	s_cbranch_execz .LBB38_16
; %bb.15:                               ;   in Loop: Header=BB38_5 Depth=1
	v_add_co_u32 v1, vcc_lo, v253, v6
	v_add_co_ci_u32_e32 v2, vcc_lo, v254, v7, vcc_lo
	v_add_co_u32 v20, vcc_lo, v255, v6
	v_add_co_ci_u32_e32 v21, vcc_lo, v0, v7, vcc_lo
	global_load_b64 v[26:27], v[1:2], off
	global_load_b64 v[154:155], v[20:21], off
.LBB38_16:                              ;   in Loop: Header=BB38_5 Depth=1
	s_or_b32 exec_lo, exec_lo, s30
	v_add_co_u32 v1, vcc_lo, v8, 4
	v_add_co_ci_u32_e32 v2, vcc_lo, 0, v9, vcc_lo
	v_dual_mov_b32 v57, v25 :: v_dual_mov_b32 v56, v24
	s_delay_alu instid0(VALU_DEP_2) | instskip(SKIP_1) | instid1(SALU_CYCLE_1)
	v_cmp_gt_i64_e32 vcc_lo, s[16:17], v[1:2]
	s_and_b32 s31, s3, vcc_lo
	s_and_saveexec_b32 s30, s31
	s_cbranch_execz .LBB38_18
; %bb.17:                               ;   in Loop: Header=BB38_5 Depth=1
	v_add_co_u32 v1, vcc_lo, v249, v6
	v_add_co_ci_u32_e32 v2, vcc_lo, v250, v7, vcc_lo
	v_add_co_u32 v20, vcc_lo, v251, v6
	v_add_co_ci_u32_e32 v21, vcc_lo, v252, v7, vcc_lo
	global_load_b64 v[24:25], v[1:2], off
	global_load_b64 v[56:57], v[20:21], off
.LBB38_18:                              ;   in Loop: Header=BB38_5 Depth=1
	s_or_b32 exec_lo, exec_lo, s30
	v_add_co_u32 v1, vcc_lo, v8, 5
	v_add_co_ci_u32_e32 v2, vcc_lo, 0, v9, vcc_lo
	v_mov_b32_e32 v28, 0
	v_mov_b32_e32 v29, 0
	s_delay_alu instid0(VALU_DEP_3) | instskip(NEXT) | instid1(VALU_DEP_2)
	v_cmp_gt_i64_e32 vcc_lo, s[16:17], v[1:2]
	v_dual_mov_b32 v31, v29 :: v_dual_mov_b32 v30, v28
	v_dual_mov_b32 v63, v29 :: v_dual_mov_b32 v62, v28
	s_and_b32 s31, s3, vcc_lo
	s_delay_alu instid0(SALU_CYCLE_1)
	s_and_saveexec_b32 s30, s31
	s_cbranch_execz .LBB38_20
; %bb.19:                               ;   in Loop: Header=BB38_5 Depth=1
	v_add_co_u32 v1, vcc_lo, v245, v6
	v_add_co_ci_u32_e32 v2, vcc_lo, v246, v7, vcc_lo
	v_add_co_u32 v20, vcc_lo, v247, v6
	v_add_co_ci_u32_e32 v21, vcc_lo, v248, v7, vcc_lo
	global_load_b64 v[30:31], v[1:2], off
	global_load_b64 v[62:63], v[20:21], off
.LBB38_20:                              ;   in Loop: Header=BB38_5 Depth=1
	s_or_b32 exec_lo, exec_lo, s30
	v_add_co_u32 v1, vcc_lo, v8, 6
	v_add_co_ci_u32_e32 v2, vcc_lo, 0, v9, vcc_lo
	v_dual_mov_b32 v65, v29 :: v_dual_mov_b32 v64, v28
	s_delay_alu instid0(VALU_DEP_2) | instskip(SKIP_1) | instid1(SALU_CYCLE_1)
	v_cmp_gt_i64_e32 vcc_lo, s[16:17], v[1:2]
	s_and_b32 s31, s3, vcc_lo
	s_and_saveexec_b32 s30, s31
	s_cbranch_execz .LBB38_22
; %bb.21:                               ;   in Loop: Header=BB38_5 Depth=1
	v_add_co_u32 v1, vcc_lo, v241, v6
	v_add_co_ci_u32_e32 v2, vcc_lo, v242, v7, vcc_lo
	v_add_co_u32 v20, vcc_lo, v243, v6
	v_add_co_ci_u32_e32 v21, vcc_lo, v244, v7, vcc_lo
	global_load_b64 v[28:29], v[1:2], off
	global_load_b64 v[64:65], v[20:21], off
.LBB38_22:                              ;   in Loop: Header=BB38_5 Depth=1
	;; [unrolled: 38-line block ×12, first 2 shown]
	s_or_b32 exec_lo, exec_lo, s30
	v_add_co_u32 v1, vcc_lo, v8, 27
	v_add_co_ci_u32_e32 v2, vcc_lo, 0, v9, vcc_lo
	v_mov_b32_e32 v120, 0
	v_mov_b32_e32 v121, 0
	s_delay_alu instid0(VALU_DEP_3) | instskip(NEXT) | instid1(VALU_DEP_2)
	v_cmp_gt_i64_e32 vcc_lo, s[16:17], v[1:2]
	v_dual_mov_b32 v125, v121 :: v_dual_mov_b32 v124, v120
	v_dual_mov_b32 v133, v121 :: v_dual_mov_b32 v132, v120
	s_and_b32 s31, s3, vcc_lo
	s_delay_alu instid0(SALU_CYCLE_1)
	s_and_saveexec_b32 s30, s31
	s_cbranch_execz .LBB38_64
; %bb.63:                               ;   in Loop: Header=BB38_5 Depth=1
	v_add_co_u32 v1, vcc_lo, v159, v6
	v_add_co_ci_u32_e32 v2, vcc_lo, v160, v7, vcc_lo
	v_add_co_u32 v20, vcc_lo, v161, v6
	v_add_co_ci_u32_e32 v21, vcc_lo, v162, v7, vcc_lo
	global_load_b64 v[124:125], v[1:2], off
	global_load_b64 v[132:133], v[20:21], off
.LBB38_64:                              ;   in Loop: Header=BB38_5 Depth=1
	s_or_b32 exec_lo, exec_lo, s30
	v_add_co_u32 v1, vcc_lo, v8, 28
	v_add_co_ci_u32_e32 v2, vcc_lo, 0, v9, vcc_lo
	s_delay_alu instid0(VALU_DEP_1) | instskip(SKIP_2) | instid1(SALU_CYCLE_1)
	v_cmp_gt_i64_e32 vcc_lo, s[16:17], v[1:2]
	v_dual_mov_b32 v1, v120 :: v_dual_mov_b32 v2, v121
	s_and_b32 s31, s3, vcc_lo
	s_and_saveexec_b32 s30, s31
	s_cbranch_execz .LBB38_66
; %bb.65:                               ;   in Loop: Header=BB38_5 Depth=1
	scratch_load_b32 v1, off, off offset:64 ; 4-byte Folded Reload
	s_waitcnt vmcnt(0)
	v_add_co_u32 v1, vcc_lo, v1, v6
	v_add_co_ci_u32_e32 v2, vcc_lo, v156, v7, vcc_lo
	v_add_co_u32 v20, vcc_lo, v157, v6
	v_add_co_ci_u32_e32 v21, vcc_lo, v158, v7, vcc_lo
	global_load_b64 v[120:121], v[1:2], off
	global_load_b64 v[1:2], v[20:21], off
.LBB38_66:                              ;   in Loop: Header=BB38_5 Depth=1
	s_or_b32 exec_lo, exec_lo, s30
	v_add_co_u32 v20, vcc_lo, v8, 29
	v_add_co_ci_u32_e32 v21, vcc_lo, 0, v9, vcc_lo
	v_mov_b32_e32 v130, 0
	v_mov_b32_e32 v131, 0
	s_delay_alu instid0(VALU_DEP_3) | instskip(NEXT) | instid1(VALU_DEP_2)
	v_cmp_gt_i64_e32 vcc_lo, s[16:17], v[20:21]
	v_dual_mov_b32 v135, v131 :: v_dual_mov_b32 v134, v130
	v_dual_mov_b32 v137, v131 :: v_dual_mov_b32 v136, v130
	s_and_b32 s31, s3, vcc_lo
	s_delay_alu instid0(SALU_CYCLE_1)
	s_and_saveexec_b32 s30, s31
	s_cbranch_execz .LBB38_68
; %bb.67:                               ;   in Loop: Header=BB38_5 Depth=1
	scratch_load_b32 v18, off, off offset:48 ; 4-byte Folded Reload
	s_waitcnt vmcnt(0)
	v_add_co_u32 v20, vcc_lo, v18, v6
	scratch_load_b32 v18, off, off offset:52 ; 4-byte Folded Reload
	s_waitcnt vmcnt(0)
	v_add_co_ci_u32_e32 v21, vcc_lo, v18, v7, vcc_lo
	scratch_load_b32 v18, off, off offset:56 ; 4-byte Folded Reload
	s_waitcnt vmcnt(0)
	v_add_co_u32 v22, vcc_lo, v18, v6
	scratch_load_b32 v18, off, off offset:60 ; 4-byte Folded Reload
	s_waitcnt vmcnt(0)
	v_add_co_ci_u32_e32 v23, vcc_lo, v18, v7, vcc_lo
	global_load_b64 v[134:135], v[20:21], off
	global_load_b64 v[136:137], v[22:23], off
.LBB38_68:                              ;   in Loop: Header=BB38_5 Depth=1
	s_or_b32 exec_lo, exec_lo, s30
	v_add_co_u32 v20, vcc_lo, v8, 30
	v_add_co_ci_u32_e32 v21, vcc_lo, 0, v9, vcc_lo
	v_dual_mov_b32 v139, v131 :: v_dual_mov_b32 v138, v130
	s_delay_alu instid0(VALU_DEP_2) | instskip(SKIP_1) | instid1(SALU_CYCLE_1)
	v_cmp_gt_i64_e32 vcc_lo, s[16:17], v[20:21]
	s_and_b32 s31, s3, vcc_lo
	s_and_saveexec_b32 s30, s31
	s_cbranch_execz .LBB38_70
; %bb.69:                               ;   in Loop: Header=BB38_5 Depth=1
	scratch_load_b32 v18, off, off offset:32 ; 4-byte Folded Reload
	s_waitcnt vmcnt(0)
	v_add_co_u32 v20, vcc_lo, v18, v6
	scratch_load_b32 v18, off, off offset:36 ; 4-byte Folded Reload
	s_waitcnt vmcnt(0)
	v_add_co_ci_u32_e32 v21, vcc_lo, v18, v7, vcc_lo
	scratch_load_b32 v18, off, off offset:40 ; 4-byte Folded Reload
	s_waitcnt vmcnt(0)
	v_add_co_u32 v22, vcc_lo, v18, v6
	scratch_load_b32 v18, off, off offset:44 ; 4-byte Folded Reload
	s_waitcnt vmcnt(0)
	v_add_co_ci_u32_e32 v23, vcc_lo, v18, v7, vcc_lo
	global_load_b64 v[130:131], v[20:21], off
	global_load_b64 v[138:139], v[22:23], off
.LBB38_70:                              ;   in Loop: Header=BB38_5 Depth=1
	s_or_b32 exec_lo, exec_lo, s30
	v_add_co_u32 v22, vcc_lo, v8, 31
	v_add_co_ci_u32_e32 v23, vcc_lo, 0, v9, vcc_lo
	v_mov_b32_e32 v20, 0
	v_mov_b32_e32 v21, 0
	s_delay_alu instid0(VALU_DEP_3) | instskip(NEXT) | instid1(VALU_DEP_2)
	v_cmp_gt_i64_e32 vcc_lo, s[16:17], v[22:23]
	v_dual_mov_b32 v23, v21 :: v_dual_mov_b32 v22, v20
	s_and_b32 s31, s3, vcc_lo
	s_delay_alu instid0(SALU_CYCLE_1)
	s_and_saveexec_b32 s30, s31
	s_cbranch_execz .LBB38_72
; %bb.71:                               ;   in Loop: Header=BB38_5 Depth=1
	scratch_load_b32 v18, off, off offset:16 ; 4-byte Folded Reload
	s_waitcnt vmcnt(0)
	v_add_co_u32 v20, vcc_lo, v18, v6
	scratch_load_b32 v18, off, off offset:20 ; 4-byte Folded Reload
	s_waitcnt vmcnt(0)
	v_add_co_ci_u32_e32 v21, vcc_lo, v18, v7, vcc_lo
	scratch_load_b32 v18, off, off offset:24 ; 4-byte Folded Reload
	s_waitcnt vmcnt(0)
	v_add_co_u32 v22, vcc_lo, v18, v6
	scratch_load_b32 v18, off, off offset:28 ; 4-byte Folded Reload
	s_waitcnt vmcnt(0)
	v_add_co_ci_u32_e32 v23, vcc_lo, v18, v7, vcc_lo
	global_load_b64 v[20:21], v[20:21], off
	global_load_b64 v[22:23], v[22:23], off
.LBB38_72:                              ;   in Loop: Header=BB38_5 Depth=1
	s_or_b32 exec_lo, exec_lo, s30
	scratch_load_b64 v[18:19], off, off offset:8 ; 8-byte Folded Reload
	s_waitcnt vmcnt(2)
	ds_bpermute_b32 v48, v5, v10
	ds_bpermute_b32 v49, v5, v11
	s_waitcnt vmcnt(1) lgkmcnt(0)
	v_add_f64 v[48:49], v[50:51], -v[48:49]
	ds_bpermute_b32 v50, v5, v10 offset:4
	ds_bpermute_b32 v51, v5, v11 offset:4
	s_waitcnt lgkmcnt(0)
	v_add_f64 v[50:51], v[52:53], -v[50:51]
	ds_bpermute_b32 v52, v5, v12
	ds_bpermute_b32 v53, v5, v13
	v_mul_f64 v[48:49], v[14:15], v[48:49]
	v_mul_f64 v[50:51], v[54:55], v[50:51]
	s_waitcnt vmcnt(0) lgkmcnt(0)
	s_delay_alu instid0(VALU_DEP_2)
	v_fma_f64 v[48:49], v[48:49], v[52:53], v[18:19]
	scratch_load_b64 v[18:19], off, off offset:68 ; 8-byte Folded Reload
	ds_bpermute_b32 v52, v5, v12 offset:4
	ds_bpermute_b32 v53, v5, v13 offset:4
	s_waitcnt lgkmcnt(0)
	v_fma_f64 v[48:49], v[50:51], v[52:53], v[48:49]
	ds_bpermute_b32 v50, v5, v10 offset:8
	ds_bpermute_b32 v51, v5, v11 offset:8
	;; [unrolled: 1-line block ×4, first 2 shown]
	s_waitcnt vmcnt(0) lgkmcnt(2)
	v_add_f64 v[50:51], v[18:19], -v[50:51]
	ds_bpermute_b32 v18, v5, v10 offset:76
	ds_bpermute_b32 v19, v5, v11 offset:76
	s_waitcnt lgkmcnt(0)
	v_add_f64 v[18:19], v[96:97], -v[18:19]
	v_mul_f64 v[50:51], v[16:17], v[50:51]
	s_delay_alu instid0(VALU_DEP_2) | instskip(NEXT) | instid1(VALU_DEP_2)
	v_mul_f64 v[18:19], v[84:85], v[18:19]
	v_fma_f64 v[48:49], v[50:51], v[52:53], v[48:49]
	ds_bpermute_b32 v50, v5, v10 offset:12
	ds_bpermute_b32 v51, v5, v11 offset:12
	ds_bpermute_b32 v52, v5, v12 offset:12
	ds_bpermute_b32 v53, v5, v13 offset:12
	s_waitcnt lgkmcnt(2)
	v_add_f64 v[50:51], v[154:155], -v[50:51]
	s_delay_alu instid0(VALU_DEP_1) | instskip(SKIP_1) | instid1(VALU_DEP_1)
	v_mul_f64 v[50:51], v[26:27], v[50:51]
	s_waitcnt lgkmcnt(0)
	v_fma_f64 v[48:49], v[50:51], v[52:53], v[48:49]
	ds_bpermute_b32 v50, v5, v10 offset:16
	ds_bpermute_b32 v51, v5, v11 offset:16
	ds_bpermute_b32 v52, v5, v12 offset:16
	ds_bpermute_b32 v53, v5, v13 offset:16
	s_waitcnt lgkmcnt(2)
	v_add_f64 v[50:51], v[56:57], -v[50:51]
	s_delay_alu instid0(VALU_DEP_1) | instskip(SKIP_1) | instid1(VALU_DEP_1)
	v_mul_f64 v[50:51], v[24:25], v[50:51]
	s_waitcnt lgkmcnt(0)
	;; [unrolled: 10-line block ×15, first 2 shown]
	v_fma_f64 v[48:49], v[50:51], v[52:53], v[48:49]
	scratch_load_b64 v[50:51], off, off     ; 8-byte Folded Reload
	s_waitcnt vmcnt(0)
	v_add_f64 v[14:15], v[50:51], v[14:15]
	s_delay_alu instid0(VALU_DEP_1) | instskip(NEXT) | instid1(VALU_DEP_1)
	v_add_f64 v[14:15], v[14:15], v[54:55]
	v_add_f64 v[14:15], v[14:15], v[16:17]
	ds_bpermute_b32 v16, v5, v10 offset:72
	ds_bpermute_b32 v17, v5, v11 offset:72
	s_waitcnt lgkmcnt(0)
	v_add_f64 v[16:17], v[88:89], -v[16:17]
	v_add_f64 v[14:15], v[14:15], v[26:27]
	ds_bpermute_b32 v26, v5, v12 offset:72
	ds_bpermute_b32 v27, v5, v13 offset:72
	v_mul_f64 v[16:17], v[70:71], v[16:17]
	v_add_f64 v[14:15], v[14:15], v[24:25]
	ds_bpermute_b32 v24, v5, v10 offset:80
	ds_bpermute_b32 v25, v5, v11 offset:80
	s_waitcnt lgkmcnt(0)
	v_add_f64 v[24:25], v[106:107], -v[24:25]
	v_fma_f64 v[16:17], v[16:17], v[26:27], v[48:49]
	ds_bpermute_b32 v26, v5, v10 offset:84
	ds_bpermute_b32 v27, v5, v11 offset:84
	v_add_f64 v[14:15], v[14:15], v[30:31]
	s_waitcnt lgkmcnt(0)
	v_add_f64 v[26:27], v[112:113], -v[26:27]
	v_mul_f64 v[24:25], v[80:81], v[24:25]
	s_delay_alu instid0(VALU_DEP_3)
	v_add_f64 v[14:15], v[14:15], v[28:29]
	ds_bpermute_b32 v28, v5, v12 offset:76
	ds_bpermute_b32 v29, v5, v13 offset:76
	v_mul_f64 v[26:27], v[98:99], v[26:27]
	s_waitcnt lgkmcnt(0)
	v_fma_f64 v[16:17], v[18:19], v[28:29], v[16:17]
	ds_bpermute_b32 v18, v5, v10 offset:88
	ds_bpermute_b32 v19, v5, v11 offset:88
	;; [unrolled: 1-line block ×4, first 2 shown]
	v_add_f64 v[14:15], v[14:15], v[34:35]
	s_waitcnt lgkmcnt(2)
	v_add_f64 v[18:19], v[114:115], -v[18:19]
	s_waitcnt lgkmcnt(0)
	v_fma_f64 v[16:17], v[24:25], v[28:29], v[16:17]
	ds_bpermute_b32 v24, v5, v10 offset:92
	ds_bpermute_b32 v25, v5, v11 offset:92
	ds_bpermute_b32 v28, v5, v12 offset:84
	ds_bpermute_b32 v29, v5, v13 offset:84
	v_add_f64 v[14:15], v[14:15], v[32:33]
	s_waitcnt lgkmcnt(2)
	v_add_f64 v[24:25], v[118:119], -v[24:25]
	v_mul_f64 v[18:19], v[92:93], v[18:19]
	s_waitcnt lgkmcnt(0)
	v_fma_f64 v[16:17], v[26:27], v[28:29], v[16:17]
	ds_bpermute_b32 v26, v5, v10 offset:96
	ds_bpermute_b32 v27, v5, v11 offset:96
	ds_bpermute_b32 v28, v5, v12 offset:88
	ds_bpermute_b32 v29, v5, v13 offset:88
	v_add_f64 v[14:15], v[14:15], v[38:39]
	s_waitcnt lgkmcnt(2)
	v_add_f64 v[26:27], v[122:123], -v[26:27]
	v_mul_f64 v[24:25], v[108:109], v[24:25]
	;; [unrolled: 10-line block ×6, first 2 shown]
	ds_bpermute_b32 v26, v5, v12 offset:108
	ds_bpermute_b32 v27, v5, v13 offset:108
	s_waitcnt lgkmcnt(2)
	v_fma_f64 v[16:17], v[24:25], v[28:29], v[16:17]
	ds_bpermute_b32 v24, v5, v10 offset:116
	ds_bpermute_b32 v25, v5, v11 offset:116
	v_add_f64 v[14:15], v[14:15], v[44:45]
	s_waitcnt lgkmcnt(0)
	v_add_f64 v[24:25], v[136:137], -v[24:25]
	v_mul_f64 v[1:2], v[120:121], v[1:2]
	v_fma_f64 v[16:17], v[18:19], v[26:27], v[16:17]
	ds_bpermute_b32 v18, v5, v10 offset:120
	ds_bpermute_b32 v19, v5, v11 offset:120
	;; [unrolled: 1-line block ×6, first 2 shown]
	v_add_f64 v[14:15], v[14:15], v[60:61]
	s_waitcnt lgkmcnt(4)
	v_add_f64 v[18:19], v[138:139], -v[18:19]
	v_mul_f64 v[24:25], v[134:135], v[24:25]
	s_waitcnt lgkmcnt(2)
	v_fma_f64 v[1:2], v[1:2], v[26:27], v[16:17]
	ds_bpermute_b32 v16, v5, v12 offset:116
	ds_bpermute_b32 v17, v5, v13 offset:116
	v_add_f64 v[14:15], v[14:15], v[58:59]
	v_mul_f64 v[18:19], v[130:131], v[18:19]
	s_waitcnt lgkmcnt(0)
	v_fma_f64 v[1:2], v[24:25], v[16:17], v[1:2]
	s_delay_alu instid0(VALU_DEP_3) | instskip(NEXT) | instid1(VALU_DEP_1)
	v_add_f64 v[14:15], v[14:15], v[74:75]
	v_add_f64 v[14:15], v[14:15], v[70:71]
	s_delay_alu instid0(VALU_DEP_1) | instskip(NEXT) | instid1(VALU_DEP_1)
	v_add_f64 v[14:15], v[14:15], v[84:85]
	v_add_f64 v[14:15], v[14:15], v[80:81]
	s_delay_alu instid0(VALU_DEP_1) | instskip(NEXT) | instid1(VALU_DEP_1)
	;; [unrolled: 3-line block ×5, first 2 shown]
	v_add_f64 v[14:15], v[14:15], v[124:125]
	v_add_f64 v[14:15], v[14:15], v[120:121]
	s_delay_alu instid0(VALU_DEP_1)
	v_add_f64 v[16:17], v[14:15], v[134:135]
	ds_bpermute_b32 v14, v5, v12 offset:120
	ds_bpermute_b32 v15, v5, v13 offset:120
	s_waitcnt lgkmcnt(0)
	v_fma_f64 v[14:15], v[18:19], v[14:15], v[1:2]
	ds_bpermute_b32 v1, v5, v12 offset:124
	ds_bpermute_b32 v2, v5, v13 offset:124
	v_add_f64 v[16:17], v[16:17], v[130:131]
	s_branch .LBB38_4
.LBB38_73:                              ;   in Loop: Header=BB38_5 Depth=1
                                        ; implicit-def: $vgpr1_vgpr2
                                        ; implicit-def: $vgpr20_vgpr21
                                        ; implicit-def: $vgpr22_vgpr23
                                        ; implicit-def: $vgpr10
                                        ; implicit-def: $vgpr16_vgpr17
                                        ; implicit-def: $vgpr14_vgpr15
	s_cbranch_execz .LBB38_4
; %bb.74:                               ;   in Loop: Header=BB38_5 Depth=1
	s_load_b32 s30, s[12:13], 0x0
	v_mov_b32_e32 v12, 0
	v_mov_b32_e32 v13, 0
	s_waitcnt lgkmcnt(0)
	s_cmp_lt_u32 s14, s30
	s_cselect_b32 s30, 12, 18
	s_delay_alu instid0(SALU_CYCLE_1)
	s_add_u32 s30, s12, s30
	s_addc_u32 s31, s13, 0
	global_load_u16 v1, v5, s[30:31]
	s_clause 0x1
	scratch_load_b32 v2, off, off offset:76
	scratch_load_b32 v10, off, off offset:80
	s_mov_b32 s30, exec_lo
	s_waitcnt vmcnt(0)
	v_mad_u32_u24 v1, v2, v1, v10
	v_dual_mov_b32 v10, v12 :: v_dual_mov_b32 v11, v13
	s_delay_alu instid0(VALU_DEP_2) | instskip(NEXT) | instid1(VALU_DEP_1)
	v_and_b32_e32 v1, 31, v1
	v_add_co_u32 v1, vcc_lo, v8, v1
	v_add_co_ci_u32_e32 v2, vcc_lo, 0, v9, vcc_lo
	v_dual_mov_b32 v8, v12 :: v_dual_mov_b32 v9, v13
	s_delay_alu instid0(VALU_DEP_2)
	v_cmpx_gt_i64_e64 s[16:17], v[1:2]
	s_cbranch_execz .LBB38_76
; %bb.75:                               ;   in Loop: Header=BB38_5 Depth=1
	v_lshlrev_b64 v[1:2], 3, v[1:2]
	s_delay_alu instid0(VALU_DEP_1) | instskip(NEXT) | instid1(VALU_DEP_2)
	v_add_co_u32 v8, vcc_lo, s8, v1
	v_add_co_ci_u32_e32 v9, vcc_lo, s9, v2, vcc_lo
	v_add_co_u32 v1, vcc_lo, s10, v1
	v_add_co_ci_u32_e32 v2, vcc_lo, s11, v2, vcc_lo
	global_load_b64 v[8:9], v[8:9], off
	global_load_b64 v[10:11], v[1:2], off
.LBB38_76:                              ;   in Loop: Header=BB38_5 Depth=1
	s_or_b32 exec_lo, exec_lo, s30
	v_dual_mov_b32 v61, v13 :: v_dual_mov_b32 v60, v12
	s_and_saveexec_b32 s30, s3
	s_cbranch_execz .LBB38_78
; %bb.77:                               ;   in Loop: Header=BB38_5 Depth=1
	v_add_co_u32 v1, vcc_lo, v150, v6
	v_add_co_ci_u32_e32 v2, vcc_lo, v151, v7, vcc_lo
	v_add_co_u32 v14, vcc_lo, v152, v6
	v_add_co_ci_u32_e32 v15, vcc_lo, v153, v7, vcc_lo
	global_load_b64 v[12:13], v[1:2], off
	global_load_b64 v[60:61], v[14:15], off
.LBB38_78:                              ;   in Loop: Header=BB38_5 Depth=1
	s_or_b32 exec_lo, exec_lo, s30
	v_mov_b32_e32 v14, 0
	v_mov_b32_e32 v15, 0
	s_delay_alu instid0(VALU_DEP_1)
	v_dual_mov_b32 v155, v15 :: v_dual_mov_b32 v154, v14
	v_dual_mov_b32 v57, v15 :: v_dual_mov_b32 v56, v14
	s_and_saveexec_b32 s30, s3
	s_cbranch_execz .LBB38_80
; %bb.79:                               ;   in Loop: Header=BB38_5 Depth=1
	v_add_co_u32 v1, vcc_lo, v146, v6
	v_add_co_ci_u32_e32 v2, vcc_lo, v147, v7, vcc_lo
	v_add_co_u32 v18, vcc_lo, v148, v6
	v_add_co_ci_u32_e32 v19, vcc_lo, v149, v7, vcc_lo
	global_load_b64 v[154:155], v[1:2], off
	global_load_b64 v[56:57], v[18:19], off
.LBB38_80:                              ;   in Loop: Header=BB38_5 Depth=1
	s_or_b32 exec_lo, exec_lo, s30
	v_dual_mov_b32 v59, v15 :: v_dual_mov_b32 v58, v14
	s_and_saveexec_b32 s30, s3
	s_cbranch_execz .LBB38_82
; %bb.81:                               ;   in Loop: Header=BB38_5 Depth=1
	v_add_co_u32 v1, vcc_lo, v141, v6
	v_add_co_ci_u32_e32 v2, vcc_lo, v143, v7, vcc_lo
	v_add_co_u32 v18, vcc_lo, v144, v6
	v_add_co_ci_u32_e32 v19, vcc_lo, v145, v7, vcc_lo
	global_load_b64 v[14:15], v[1:2], off
	global_load_b64 v[58:59], v[18:19], off
.LBB38_82:                              ;   in Loop: Header=BB38_5 Depth=1
	s_or_b32 exec_lo, exec_lo, s30
	v_mov_b32_e32 v18, 0
	v_mov_b32_e32 v19, 0
	s_delay_alu instid0(VALU_DEP_1)
	v_dual_mov_b32 v25, v19 :: v_dual_mov_b32 v24, v18
	v_dual_mov_b32 v63, v19 :: v_dual_mov_b32 v62, v18
	s_and_saveexec_b32 s30, s3
	s_cbranch_execz .LBB38_84
; %bb.83:                               ;   in Loop: Header=BB38_5 Depth=1
	v_add_co_u32 v1, vcc_lo, v253, v6
	v_add_co_ci_u32_e32 v2, vcc_lo, v254, v7, vcc_lo
	v_add_co_u32 v20, vcc_lo, v255, v6
	v_add_co_ci_u32_e32 v21, vcc_lo, v0, v7, vcc_lo
	global_load_b64 v[24:25], v[1:2], off
	global_load_b64 v[62:63], v[20:21], off
.LBB38_84:                              ;   in Loop: Header=BB38_5 Depth=1
	s_or_b32 exec_lo, exec_lo, s30
	v_dual_mov_b32 v65, v19 :: v_dual_mov_b32 v64, v18
	s_and_saveexec_b32 s30, s3
	s_cbranch_execz .LBB38_86
; %bb.85:                               ;   in Loop: Header=BB38_5 Depth=1
	v_add_co_u32 v1, vcc_lo, v249, v6
	v_add_co_ci_u32_e32 v2, vcc_lo, v250, v7, vcc_lo
	v_add_co_u32 v20, vcc_lo, v251, v6
	v_add_co_ci_u32_e32 v21, vcc_lo, v252, v7, vcc_lo
	global_load_b64 v[18:19], v[1:2], off
	global_load_b64 v[64:65], v[20:21], off
.LBB38_86:                              ;   in Loop: Header=BB38_5 Depth=1
	s_or_b32 exec_lo, exec_lo, s30
	v_mov_b32_e32 v26, 0
	v_mov_b32_e32 v27, 0
	s_delay_alu instid0(VALU_DEP_1)
	v_dual_mov_b32 v29, v27 :: v_dual_mov_b32 v28, v26
	v_dual_mov_b32 v73, v27 :: v_dual_mov_b32 v72, v26
	s_and_saveexec_b32 s30, s3
	s_cbranch_execz .LBB38_88
; %bb.87:                               ;   in Loop: Header=BB38_5 Depth=1
	v_add_co_u32 v1, vcc_lo, v245, v6
	v_add_co_ci_u32_e32 v2, vcc_lo, v246, v7, vcc_lo
	v_add_co_u32 v20, vcc_lo, v247, v6
	v_add_co_ci_u32_e32 v21, vcc_lo, v248, v7, vcc_lo
	global_load_b64 v[28:29], v[1:2], off
	global_load_b64 v[72:73], v[20:21], off
.LBB38_88:                              ;   in Loop: Header=BB38_5 Depth=1
	s_or_b32 exec_lo, exec_lo, s30
	v_dual_mov_b32 v75, v27 :: v_dual_mov_b32 v74, v26
	s_and_saveexec_b32 s30, s3
	s_cbranch_execz .LBB38_90
; %bb.89:                               ;   in Loop: Header=BB38_5 Depth=1
	v_add_co_u32 v1, vcc_lo, v241, v6
	v_add_co_ci_u32_e32 v2, vcc_lo, v242, v7, vcc_lo
	v_add_co_u32 v20, vcc_lo, v243, v6
	v_add_co_ci_u32_e32 v21, vcc_lo, v244, v7, vcc_lo
	global_load_b64 v[26:27], v[1:2], off
	global_load_b64 v[74:75], v[20:21], off
.LBB38_90:                              ;   in Loop: Header=BB38_5 Depth=1
	s_or_b32 exec_lo, exec_lo, s30
	v_mov_b32_e32 v30, 0
	v_mov_b32_e32 v31, 0
	s_delay_alu instid0(VALU_DEP_1)
	v_dual_mov_b32 v33, v31 :: v_dual_mov_b32 v32, v30
	v_dual_mov_b32 v77, v31 :: v_dual_mov_b32 v76, v30
	s_and_saveexec_b32 s30, s3
	s_cbranch_execz .LBB38_92
; %bb.91:                               ;   in Loop: Header=BB38_5 Depth=1
	v_add_co_u32 v1, vcc_lo, v237, v6
	v_add_co_ci_u32_e32 v2, vcc_lo, v238, v7, vcc_lo
	v_add_co_u32 v20, vcc_lo, v239, v6
	v_add_co_ci_u32_e32 v21, vcc_lo, v240, v7, vcc_lo
	global_load_b64 v[32:33], v[1:2], off
	global_load_b64 v[76:77], v[20:21], off
.LBB38_92:                              ;   in Loop: Header=BB38_5 Depth=1
	s_or_b32 exec_lo, exec_lo, s30
	v_dual_mov_b32 v79, v31 :: v_dual_mov_b32 v78, v30
	s_and_saveexec_b32 s30, s3
	s_cbranch_execz .LBB38_94
; %bb.93:                               ;   in Loop: Header=BB38_5 Depth=1
	v_add_co_u32 v1, vcc_lo, v233, v6
	v_add_co_ci_u32_e32 v2, vcc_lo, v234, v7, vcc_lo
	v_add_co_u32 v20, vcc_lo, v235, v6
	v_add_co_ci_u32_e32 v21, vcc_lo, v236, v7, vcc_lo
	global_load_b64 v[30:31], v[1:2], off
	global_load_b64 v[78:79], v[20:21], off
.LBB38_94:                              ;   in Loop: Header=BB38_5 Depth=1
	s_or_b32 exec_lo, exec_lo, s30
	v_mov_b32_e32 v34, 0
	v_mov_b32_e32 v35, 0
	s_delay_alu instid0(VALU_DEP_1)
	v_dual_mov_b32 v37, v35 :: v_dual_mov_b32 v36, v34
	v_dual_mov_b32 v85, v35 :: v_dual_mov_b32 v84, v34
	s_and_saveexec_b32 s30, s3
	s_cbranch_execz .LBB38_96
; %bb.95:                               ;   in Loop: Header=BB38_5 Depth=1
	v_add_co_u32 v1, vcc_lo, v229, v6
	v_add_co_ci_u32_e32 v2, vcc_lo, v230, v7, vcc_lo
	v_add_co_u32 v20, vcc_lo, v231, v6
	v_add_co_ci_u32_e32 v21, vcc_lo, v232, v7, vcc_lo
	global_load_b64 v[36:37], v[1:2], off
	global_load_b64 v[84:85], v[20:21], off
.LBB38_96:                              ;   in Loop: Header=BB38_5 Depth=1
	s_or_b32 exec_lo, exec_lo, s30
	v_dual_mov_b32 v89, v35 :: v_dual_mov_b32 v88, v34
	s_and_saveexec_b32 s30, s3
	s_cbranch_execz .LBB38_98
; %bb.97:                               ;   in Loop: Header=BB38_5 Depth=1
	v_add_co_u32 v1, vcc_lo, v225, v6
	v_add_co_ci_u32_e32 v2, vcc_lo, v226, v7, vcc_lo
	v_add_co_u32 v20, vcc_lo, v227, v6
	v_add_co_ci_u32_e32 v21, vcc_lo, v228, v7, vcc_lo
	global_load_b64 v[34:35], v[1:2], off
	global_load_b64 v[88:89], v[20:21], off
.LBB38_98:                              ;   in Loop: Header=BB38_5 Depth=1
	s_or_b32 exec_lo, exec_lo, s30
	v_mov_b32_e32 v38, 0
	v_mov_b32_e32 v39, 0
	s_delay_alu instid0(VALU_DEP_1)
	v_dual_mov_b32 v41, v39 :: v_dual_mov_b32 v40, v38
	v_dual_mov_b32 v91, v39 :: v_dual_mov_b32 v90, v38
	s_and_saveexec_b32 s30, s3
	s_cbranch_execz .LBB38_100
; %bb.99:                               ;   in Loop: Header=BB38_5 Depth=1
	v_add_co_u32 v1, vcc_lo, v221, v6
	v_add_co_ci_u32_e32 v2, vcc_lo, v222, v7, vcc_lo
	v_add_co_u32 v20, vcc_lo, v223, v6
	v_add_co_ci_u32_e32 v21, vcc_lo, v224, v7, vcc_lo
	global_load_b64 v[40:41], v[1:2], off
	global_load_b64 v[90:91], v[20:21], off
.LBB38_100:                             ;   in Loop: Header=BB38_5 Depth=1
	s_or_b32 exec_lo, exec_lo, s30
	v_dual_mov_b32 v93, v39 :: v_dual_mov_b32 v92, v38
	s_and_saveexec_b32 s30, s3
	s_cbranch_execz .LBB38_102
; %bb.101:                              ;   in Loop: Header=BB38_5 Depth=1
	v_add_co_u32 v1, vcc_lo, v217, v6
	v_add_co_ci_u32_e32 v2, vcc_lo, v218, v7, vcc_lo
	v_add_co_u32 v20, vcc_lo, v219, v6
	v_add_co_ci_u32_e32 v21, vcc_lo, v220, v7, vcc_lo
	global_load_b64 v[38:39], v[1:2], off
	global_load_b64 v[92:93], v[20:21], off
.LBB38_102:                             ;   in Loop: Header=BB38_5 Depth=1
	s_or_b32 exec_lo, exec_lo, s30
	v_mov_b32_e32 v42, 0
	v_mov_b32_e32 v43, 0
	s_delay_alu instid0(VALU_DEP_1)
	v_dual_mov_b32 v45, v43 :: v_dual_mov_b32 v44, v42
	v_dual_mov_b32 v99, v43 :: v_dual_mov_b32 v98, v42
	s_and_saveexec_b32 s30, s3
	s_cbranch_execz .LBB38_104
; %bb.103:                              ;   in Loop: Header=BB38_5 Depth=1
	v_add_co_u32 v1, vcc_lo, v213, v6
	v_add_co_ci_u32_e32 v2, vcc_lo, v214, v7, vcc_lo
	v_add_co_u32 v20, vcc_lo, v215, v6
	v_add_co_ci_u32_e32 v21, vcc_lo, v216, v7, vcc_lo
	global_load_b64 v[44:45], v[1:2], off
	global_load_b64 v[98:99], v[20:21], off
.LBB38_104:                             ;   in Loop: Header=BB38_5 Depth=1
	s_or_b32 exec_lo, exec_lo, s30
	v_dual_mov_b32 v103, v43 :: v_dual_mov_b32 v102, v42
	s_and_saveexec_b32 s30, s3
	s_cbranch_execz .LBB38_106
; %bb.105:                              ;   in Loop: Header=BB38_5 Depth=1
	v_add_co_u32 v1, vcc_lo, v209, v6
	v_add_co_ci_u32_e32 v2, vcc_lo, v210, v7, vcc_lo
	v_add_co_u32 v20, vcc_lo, v211, v6
	v_add_co_ci_u32_e32 v21, vcc_lo, v212, v7, vcc_lo
	global_load_b64 v[42:43], v[1:2], off
	global_load_b64 v[102:103], v[20:21], off
.LBB38_106:                             ;   in Loop: Header=BB38_5 Depth=1
	s_or_b32 exec_lo, exec_lo, s30
	v_mov_b32_e32 v46, 0
	v_mov_b32_e32 v47, 0
	s_delay_alu instid0(VALU_DEP_1)
	v_dual_mov_b32 v49, v47 :: v_dual_mov_b32 v48, v46
	v_dual_mov_b32 v105, v47 :: v_dual_mov_b32 v104, v46
	s_and_saveexec_b32 s30, s3
	s_cbranch_execz .LBB38_108
; %bb.107:                              ;   in Loop: Header=BB38_5 Depth=1
	v_add_co_u32 v1, vcc_lo, v205, v6
	v_add_co_ci_u32_e32 v2, vcc_lo, v206, v7, vcc_lo
	v_add_co_u32 v20, vcc_lo, v207, v6
	v_add_co_ci_u32_e32 v21, vcc_lo, v208, v7, vcc_lo
	global_load_b64 v[48:49], v[1:2], off
	global_load_b64 v[104:105], v[20:21], off
.LBB38_108:                             ;   in Loop: Header=BB38_5 Depth=1
	;; [unrolled: 28-line block ×8, first 2 shown]
	s_or_b32 exec_lo, exec_lo, s30
	v_dual_mov_b32 v133, v107 :: v_dual_mov_b32 v132, v106
	s_and_saveexec_b32 s30, s3
	s_cbranch_execz .LBB38_134
; %bb.133:                              ;   in Loop: Header=BB38_5 Depth=1
	scratch_load_b32 v20, off, off offset:64 ; 4-byte Folded Reload
	s_waitcnt vmcnt(0)
	v_add_co_u32 v20, vcc_lo, v20, v6
	v_add_co_ci_u32_e32 v21, vcc_lo, v156, v7, vcc_lo
	v_add_co_u32 v22, vcc_lo, v157, v6
	v_add_co_ci_u32_e32 v23, vcc_lo, v158, v7, vcc_lo
	global_load_b64 v[106:107], v[20:21], off
	global_load_b64 v[132:133], v[22:23], off
.LBB38_134:                             ;   in Loop: Header=BB38_5 Depth=1
	s_or_b32 exec_lo, exec_lo, s30
	v_mov_b32_e32 v124, 0
	v_mov_b32_e32 v125, 0
	s_delay_alu instid0(VALU_DEP_1)
	v_dual_mov_b32 v127, v125 :: v_dual_mov_b32 v126, v124
	v_dual_mov_b32 v135, v125 :: v_dual_mov_b32 v134, v124
	s_and_saveexec_b32 s30, s3
	s_cbranch_execz .LBB38_136
; %bb.135:                              ;   in Loop: Header=BB38_5 Depth=1
	scratch_load_b32 v16, off, off offset:48 ; 4-byte Folded Reload
	s_waitcnt vmcnt(0)
	v_add_co_u32 v20, vcc_lo, v16, v6
	scratch_load_b32 v16, off, off offset:52 ; 4-byte Folded Reload
	s_waitcnt vmcnt(0)
	v_add_co_ci_u32_e32 v21, vcc_lo, v16, v7, vcc_lo
	scratch_load_b32 v16, off, off offset:56 ; 4-byte Folded Reload
	s_waitcnt vmcnt(0)
	v_add_co_u32 v22, vcc_lo, v16, v6
	scratch_load_b32 v16, off, off offset:60 ; 4-byte Folded Reload
	s_waitcnt vmcnt(0)
	v_add_co_ci_u32_e32 v23, vcc_lo, v16, v7, vcc_lo
	global_load_b64 v[126:127], v[20:21], off
	global_load_b64 v[134:135], v[22:23], off
.LBB38_136:                             ;   in Loop: Header=BB38_5 Depth=1
	s_or_b32 exec_lo, exec_lo, s30
	v_dual_mov_b32 v137, v125 :: v_dual_mov_b32 v136, v124
	s_and_saveexec_b32 s30, s3
	s_cbranch_execz .LBB38_138
; %bb.137:                              ;   in Loop: Header=BB38_5 Depth=1
	scratch_load_b32 v16, off, off offset:32 ; 4-byte Folded Reload
	s_waitcnt vmcnt(0)
	v_add_co_u32 v20, vcc_lo, v16, v6
	scratch_load_b32 v16, off, off offset:36 ; 4-byte Folded Reload
	s_waitcnt vmcnt(0)
	v_add_co_ci_u32_e32 v21, vcc_lo, v16, v7, vcc_lo
	scratch_load_b32 v16, off, off offset:40 ; 4-byte Folded Reload
	s_waitcnt vmcnt(0)
	v_add_co_u32 v22, vcc_lo, v16, v6
	scratch_load_b32 v16, off, off offset:44 ; 4-byte Folded Reload
	s_waitcnt vmcnt(0)
	v_add_co_ci_u32_e32 v23, vcc_lo, v16, v7, vcc_lo
	global_load_b64 v[124:125], v[20:21], off
	global_load_b64 v[136:137], v[22:23], off
.LBB38_138:                             ;   in Loop: Header=BB38_5 Depth=1
	s_or_b32 exec_lo, exec_lo, s30
	v_mov_b32_e32 v20, 0
	v_mov_b32_e32 v21, 0
	s_delay_alu instid0(VALU_DEP_1)
	v_dual_mov_b32 v23, v21 :: v_dual_mov_b32 v22, v20
	s_and_saveexec_b32 s30, s3
	s_cbranch_execz .LBB38_3
; %bb.139:                              ;   in Loop: Header=BB38_5 Depth=1
	scratch_load_b32 v16, off, off offset:16 ; 4-byte Folded Reload
	s_waitcnt vmcnt(0)
	v_add_co_u32 v20, vcc_lo, v16, v6
	scratch_load_b32 v16, off, off offset:20 ; 4-byte Folded Reload
	s_waitcnt vmcnt(0)
	v_add_co_ci_u32_e32 v21, vcc_lo, v16, v7, vcc_lo
	scratch_load_b32 v16, off, off offset:24 ; 4-byte Folded Reload
	s_waitcnt vmcnt(0)
	v_add_co_u32 v22, vcc_lo, v16, v6
	scratch_load_b32 v16, off, off offset:28 ; 4-byte Folded Reload
	s_waitcnt vmcnt(0)
	v_add_co_ci_u32_e32 v23, vcc_lo, v16, v7, vcc_lo
	global_load_b64 v[20:21], v[20:21], off
	global_load_b64 v[22:23], v[22:23], off
	s_branch .LBB38_3
.LBB38_140:
                                        ; implicit-def: $vgpr1_vgpr2
                                        ; kill: killed $vgpr1_vgpr2
                                        ; implicit-def: $vgpr1_vgpr2
                                        ; kill: killed $vgpr1_vgpr2
	s_branch .LBB38_143
.LBB38_141:
	scratch_load_b32 v0, off, off offset:600 ; 4-byte Folded Reload
.LBB38_142:
	s_cbranch_execnz .LBB38_219
.LBB38_143:
	v_mov_b32_e32 v1, 0
	v_mov_b32_e32 v2, 0
	s_and_not1_b32 vcc_lo, exec_lo, s28
	s_clause 0x1
	scratch_store_b64 off, v[1:2], off
	scratch_store_b64 off, v[1:2], off offset:8
	s_cbranch_vccnz .LBB38_219
; %bb.144:
	s_waitcnt vmcnt(0)
	v_bfe_u32 v195, v0, 10, 10
	s_add_u32 s4, s0, 64
	s_addc_u32 s5, s1, 0
	s_lshl_b64 s[12:13], s[6:7], 3
	scratch_store_b32 off, v0, off offset:600 ; 4-byte Folded Spill
	v_lshlrev_b32_e32 v1, 8, v195
	v_lshlrev_b32_e32 v196, 5, v195
	v_and_b32_e32 v0, 0x3ff, v0
	s_delay_alu instid0(VALU_DEP_3) | instskip(NEXT) | instid1(VALU_DEP_1)
	v_add_co_u32 v3, s3, v1, s12
	v_add_co_ci_u32_e64 v4, null, 0, s13, s3
	s_delay_alu instid0(VALU_DEP_4) | instskip(NEXT) | instid1(VALU_DEP_3)
	v_add_co_u32 v189, s3, v196, s6
	v_add_co_u32 v15, vcc_lo, v3, 8
	s_delay_alu instid0(VALU_DEP_3) | instskip(SKIP_3) | instid1(VALU_DEP_4)
	v_add_co_ci_u32_e32 v2, vcc_lo, 0, v4, vcc_lo
	v_add_co_u32 v19, vcc_lo, v3, 16
	v_add_co_ci_u32_e32 v1, vcc_lo, 0, v4, vcc_lo
	v_add_co_u32 v23, vcc_lo, v3, 24
	v_mul_lo_u32 v22, s18, v2
	v_add_co_ci_u32_e32 v2, vcc_lo, 0, v4, vcc_lo
	v_add_co_ci_u32_e64 v133, null, 0, 0, s3
	v_add_co_u32 v28, vcc_lo, v3, 32
	v_add_co_ci_u32_e32 v13, vcc_lo, 0, v4, vcc_lo
	v_mul_lo_u32 v24, s18, v1
	v_mul_lo_u32 v26, s18, v2
	;; [unrolled: 1-line block ×4, first 2 shown]
	v_mad_u64_u32 v[1:2], null, s18, v189, 0
	v_add_co_u32 v29, vcc_lo, v3, 40
	v_mad_u64_u32 v[5:6], null, s18, v15, s[20:21]
	v_mul_lo_u32 v21, s19, v15
	v_add_co_ci_u32_e32 v17, vcc_lo, 0, v4, vcc_lo
	v_mul_lo_u32 v30, s18, v13
	v_mad_u64_u32 v[13:14], null, s18, v15, s[22:23]
	v_mad_u64_u32 v[7:8], null, s18, v19, s[20:21]
	v_mul_lo_u32 v25, s19, v19
	v_mad_u64_u32 v[9:10], null, s18, v23, s[20:21]
	v_mul_lo_u32 v27, s19, v23
	v_mul_lo_u32 v32, s18, v17
	v_add3_u32 v2, v2, v20, v18
	v_mad_u64_u32 v[17:18], null, s18, v19, s[22:23]
	v_mad_u64_u32 v[19:20], null, s18, v23, s[22:23]
	v_add3_u32 v6, v21, v6, v22
	v_mad_u64_u32 v[11:12], null, s18, v28, s[20:21]
	v_mul_lo_u32 v31, s19, v28
	v_add3_u32 v14, v21, v14, v22
	v_mad_u64_u32 v[21:22], null, s18, v28, s[22:23]
	v_add_co_u32 v34, vcc_lo, v3, 48
	v_add3_u32 v8, v25, v8, v24
	v_add3_u32 v10, v27, v10, v26
	v_mad_u64_u32 v[15:16], null, s18, v29, s[20:21]
	v_mul_lo_u32 v33, s19, v29
	v_add_co_ci_u32_e32 v35, vcc_lo, 0, v4, vcc_lo
	v_add3_u32 v18, v25, v18, v24
	v_add3_u32 v20, v27, v20, v26
	v_mad_u64_u32 v[25:26], null, s18, v29, s[22:23]
	v_mad_u64_u32 v[23:24], null, s18, v34, s[20:21]
	v_mul_lo_u32 v36, s19, v34
	v_mad_u64_u32 v[27:28], null, s18, v34, s[22:23]
	v_add_co_u32 v34, vcc_lo, v3, 56
	v_add3_u32 v12, v31, v12, v30
	v_add3_u32 v22, v31, v22, v30
	v_add_co_ci_u32_e32 v31, vcc_lo, 0, v4, vcc_lo
	v_add3_u32 v16, v33, v16, v32
	v_add3_u32 v26, v33, v26, v32
	v_mad_u64_u32 v[29:30], null, s18, v34, s[20:21]
	s_delay_alu instid0(VALU_DEP_4)
	v_mul_lo_u32 v33, s18, v31
	v_mul_lo_u32 v37, s19, v34
	v_mad_u64_u32 v[31:32], null, s18, v34, s[22:23]
	v_add_co_u32 v38, vcc_lo, v3, 64
	v_mul_lo_u32 v35, s18, v35
	v_add_co_ci_u32_e32 v34, vcc_lo, 0, v4, vcc_lo
	v_add_co_u32 v43, vcc_lo, 0x48, v3
	v_add3_u32 v30, v37, v30, v33
	v_add3_u32 v32, v37, v32, v33
	v_add_co_ci_u32_e32 v37, vcc_lo, 0, v4, vcc_lo
	v_add3_u32 v24, v36, v24, v35
	v_add3_u32 v28, v36, v28, v35
	v_mul_lo_u32 v41, s18, v34
	v_mul_lo_u32 v42, s19, v38
	v_mad_u64_u32 v[33:34], null, s18, v38, s[20:21]
	v_mad_u64_u32 v[35:36], null, s18, v38, s[22:23]
	v_mul_lo_u32 v44, s18, v37
	v_mul_lo_u32 v45, s19, v43
	v_mad_u64_u32 v[37:38], null, s18, v43, s[20:21]
	v_mad_u64_u32 v[39:40], null, s18, v43, s[22:23]
	v_add_co_u32 v46, vcc_lo, 0x50, v3
	v_add_co_ci_u32_e32 v43, vcc_lo, 0, v4, vcc_lo
	v_add_co_u32 v51, vcc_lo, 0x58, v3
	v_add3_u32 v38, v45, v38, v44
	v_add3_u32 v40, v45, v40, v44
	v_add_co_ci_u32_e32 v45, vcc_lo, 0, v4, vcc_lo
	v_add3_u32 v34, v42, v34, v41
	v_add3_u32 v36, v42, v36, v41
	v_mul_lo_u32 v49, s18, v43
	v_mul_lo_u32 v50, s19, v46
	v_mad_u64_u32 v[41:42], null, s18, v46, s[20:21]
	v_mad_u64_u32 v[43:44], null, s18, v46, s[22:23]
	v_mul_lo_u32 v52, s18, v45
	v_mul_lo_u32 v53, s19, v51
	v_mad_u64_u32 v[45:46], null, s18, v51, s[20:21]
	v_mad_u64_u32 v[47:48], null, s18, v51, s[22:23]
	v_add_co_u32 v54, vcc_lo, 0x60, v3
	;; [unrolled: 16-line block ×3, first 2 shown]
	v_add_co_ci_u32_e32 v59, vcc_lo, 0, v4, vcc_lo
	v_add3_u32 v50, v58, v50, v57
	v_add3_u32 v52, v58, v52, v57
	;; [unrolled: 1-line block ×4, first 2 shown]
	v_mul_lo_u32 v61, s18, v59
	v_mul_lo_u32 v63, s19, v62
	v_mad_u64_u32 v[57:58], null, s18, v62, s[20:21]
	v_mad_u64_u32 v[59:60], null, s18, v62, s[22:23]
	v_add_co_u32 v65, vcc_lo, 0x78, v3
	s_load_b32 s3, s[0:1], 0x44
	s_delay_alu instid0(VALU_DEP_3) | instskip(NEXT) | instid1(VALU_DEP_2)
	v_add3_u32 v58, v63, v58, v61
	v_mul_lo_u32 v67, s19, v65
	s_delay_alu instid0(VALU_DEP_4) | instskip(SKIP_3) | instid1(VALU_DEP_3)
	v_add3_u32 v60, v63, v60, v61
	v_add_co_ci_u32_e32 v61, vcc_lo, 0, v4, vcc_lo
	v_mad_u64_u32 v[63:64], null, s18, v65, s[22:23]
	v_add_co_u32 v69, vcc_lo, 0x80, v3
	v_mul_lo_u32 v66, s18, v61
	v_mad_u64_u32 v[61:62], null, s18, v65, s[20:21]
	v_add_co_ci_u32_e32 v65, vcc_lo, 0, v4, vcc_lo
	s_delay_alu instid0(VALU_DEP_4)
	v_mul_lo_u32 v71, s19, v69
	v_add_co_u32 v73, vcc_lo, 0x88, v3
	v_add3_u32 v64, v67, v64, v66
	v_add3_u32 v62, v67, v62, v66
	v_mul_lo_u32 v70, s18, v65
	v_mad_u64_u32 v[65:66], null, s18, v69, s[20:21]
	v_mad_u64_u32 v[67:68], null, s18, v69, s[22:23]
	v_add_co_ci_u32_e32 v69, vcc_lo, 0, v4, vcc_lo
	v_mul_lo_u32 v75, s19, v73
	v_add_co_u32 v77, vcc_lo, 0x90, v3
	v_add3_u32 v66, v71, v66, v70
	v_add3_u32 v68, v71, v68, v70
	v_mul_lo_u32 v74, s18, v69
	v_mad_u64_u32 v[69:70], null, s18, v73, s[20:21]
	v_mad_u64_u32 v[71:72], null, s18, v73, s[22:23]
	v_add_co_ci_u32_e32 v73, vcc_lo, 0, v4, vcc_lo
	;; [unrolled: 8-line block ×15, first 2 shown]
	v_mul_lo_u32 v129, s19, v3
	s_waitcnt lgkmcnt(0)
	s_lshl_b32 s3, s3, 5
	s_delay_alu instid0(VALU_DEP_4)
	v_add3_u32 v122, v127, v122, v126
	v_mul_lo_u32 v4, s18, v4
	v_add3_u32 v124, v127, v124, v126
	v_mad_u64_u32 v[125:126], null, s18, v3, s[20:21]
	v_mad_u64_u32 v[127:128], null, s18, v3, s[22:23]
	s_mul_i32 s12, s19, s3
	s_mul_hi_u32 s13, s18, s3
	s_delay_alu instid0(SALU_CYCLE_1) | instskip(NEXT) | instid1(VALU_DEP_2)
	s_add_i32 s13, s13, s12
	v_add3_u32 v126, v129, v126, v4
	s_mul_i32 s12, s18, s3
	s_delay_alu instid0(VALU_DEP_2) | instskip(SKIP_3) | instid1(VALU_DEP_2)
	v_add3_u32 v128, v129, v128, v4
	v_add_co_u32 v129, vcc_lo, v189, 31
	v_add_co_ci_u32_e32 v3, vcc_lo, 0, v133, vcc_lo
	s_lshl_b64 s[12:13], s[12:13], 3
	v_mul_lo_u32 v131, s19, v129
	s_delay_alu instid0(VALU_DEP_2) | instskip(SKIP_1) | instid1(VALU_DEP_1)
	v_mul_lo_u32 v130, s18, v3
	v_mad_u64_u32 v[3:4], null, s18, v129, 0
	v_add3_u32 v4, v4, v130, v131
	v_add_co_u32 v131, vcc_lo, v189, 30
	v_add_co_ci_u32_e32 v129, vcc_lo, 0, v133, vcc_lo
	s_delay_alu instid0(VALU_DEP_2) | instskip(NEXT) | instid1(VALU_DEP_2)
	v_mul_lo_u32 v134, s19, v131
	v_mul_lo_u32 v132, s18, v129
	v_mad_u64_u32 v[129:130], null, s18, v131, 0
	s_delay_alu instid0(VALU_DEP_1) | instskip(SKIP_2) | instid1(VALU_DEP_2)
	v_add3_u32 v130, v130, v132, v134
	v_add_co_u32 v134, vcc_lo, v189, 29
	v_add_co_ci_u32_e32 v131, vcc_lo, 0, v133, vcc_lo
	v_mul_lo_u32 v136, s19, v134
	s_delay_alu instid0(VALU_DEP_2) | instskip(SKIP_1) | instid1(VALU_DEP_1)
	v_mul_lo_u32 v135, s18, v131
	v_mad_u64_u32 v[131:132], null, s18, v134, 0
	v_add3_u32 v132, v132, v135, v136
	v_add_co_u32 v136, vcc_lo, v189, 28
	v_add_co_ci_u32_e32 v134, vcc_lo, 0, v133, vcc_lo
	s_delay_alu instid0(VALU_DEP_2) | instskip(NEXT) | instid1(VALU_DEP_2)
	v_mul_lo_u32 v138, s19, v136
	v_mul_lo_u32 v137, s18, v134
	v_mad_u64_u32 v[134:135], null, s18, v136, 0
	s_delay_alu instid0(VALU_DEP_1) | instskip(SKIP_2) | instid1(VALU_DEP_2)
	v_add3_u32 v135, v135, v137, v138
	v_add_co_u32 v138, vcc_lo, v189, 27
	v_add_co_ci_u32_e32 v136, vcc_lo, 0, v133, vcc_lo
	;; [unrolled: 15-line block ×12, first 2 shown]
	v_mul_lo_u32 v180, s19, v178
	s_delay_alu instid0(VALU_DEP_2) | instskip(SKIP_2) | instid1(VALU_DEP_1)
	v_mul_lo_u32 v179, s18, v176
	v_mad_u64_u32 v[176:177], null, s18, v178, 0
	v_add_co_u32 v178, vcc_lo, v189, 6
	v_mad_u64_u32 v[181:182], null, s18, v178, 0
	s_delay_alu instid0(VALU_DEP_3) | instskip(SKIP_3) | instid1(VALU_DEP_3)
	v_add3_u32 v177, v177, v179, v180
	v_add_co_ci_u32_e32 v179, vcc_lo, 0, v133, vcc_lo
	v_mul_lo_u32 v180, s19, v178
	v_add_co_u32 v178, vcc_lo, v189, 5
	v_mul_lo_u32 v179, s18, v179
	s_delay_alu instid0(VALU_DEP_2) | instskip(NEXT) | instid1(VALU_DEP_2)
	v_mad_u64_u32 v[183:184], null, s18, v178, 0
	v_add3_u32 v182, v182, v179, v180
	v_add_co_ci_u32_e32 v179, vcc_lo, 0, v133, vcc_lo
	v_mul_lo_u32 v180, s19, v178
	v_add_co_u32 v178, vcc_lo, v189, 4
	s_delay_alu instid0(VALU_DEP_3) | instskip(NEXT) | instid1(VALU_DEP_2)
	v_mul_lo_u32 v179, s18, v179
	v_mad_u64_u32 v[185:186], null, s18, v178, 0
	s_delay_alu instid0(VALU_DEP_2) | instskip(SKIP_3) | instid1(VALU_DEP_3)
	v_add3_u32 v184, v184, v179, v180
	v_add_co_ci_u32_e32 v179, vcc_lo, 0, v133, vcc_lo
	v_mul_lo_u32 v180, s19, v178
	v_add_co_u32 v178, vcc_lo, v189, 3
	v_mul_lo_u32 v179, s18, v179
	s_delay_alu instid0(VALU_DEP_2) | instskip(NEXT) | instid1(VALU_DEP_2)
	v_mad_u64_u32 v[187:188], null, s18, v178, 0
	v_add3_u32 v186, v186, v179, v180
	v_add_co_ci_u32_e32 v179, vcc_lo, 0, v133, vcc_lo
	v_mul_lo_u32 v180, s19, v178
	s_delay_alu instid0(VALU_DEP_2) | instskip(NEXT) | instid1(VALU_DEP_1)
	v_mul_lo_u32 v179, s18, v179
	v_add3_u32 v188, v188, v179, v180
	v_add_co_u32 v179, vcc_lo, v189, 2
	v_add_co_ci_u32_e32 v133, vcc_lo, 0, v133, vcc_lo
	v_add_co_u32 v193, vcc_lo, v1, s18
	v_add_co_ci_u32_e32 v194, vcc_lo, s19, v2, vcc_lo
	v_lshlrev_b64 v[1:2], 3, v[1:2]
	v_mul_lo_u32 v178, s19, v179
	v_mad_u64_u32 v[189:190], null, s18, v179, 0
	v_mul_lo_u32 v133, s18, v133
	s_delay_alu instid0(VALU_DEP_4)
	v_add_co_u32 v198, vcc_lo, s20, v1
	v_add_co_ci_u32_e32 v255, vcc_lo, s21, v2, vcc_lo
	v_add_co_u32 v179, vcc_lo, s22, v1
	v_add_co_ci_u32_e32 v180, vcc_lo, s23, v2, vcc_lo
	v_lshlrev_b64 v[1:2], 3, v[3:4]
	v_add3_u32 v190, v190, v133, v178
	s_delay_alu instid0(VALU_DEP_2)
	v_add_co_u32 v3, vcc_lo, s20, v1
	scratch_store_b32 off, v3, off offset:16 ; 4-byte Folded Spill
	v_add_co_ci_u32_e32 v3, vcc_lo, s21, v2, vcc_lo
	v_add_co_u32 v1, vcc_lo, s22, v1
	s_clause 0x1
	scratch_store_b32 off, v3, off offset:20
	scratch_store_b32 off, v1, off offset:24
	v_add_co_ci_u32_e32 v1, vcc_lo, s23, v2, vcc_lo
	scratch_store_b32 off, v1, off offset:28 ; 4-byte Folded Spill
	v_lshlrev_b64 v[1:2], 3, v[129:130]
	v_dual_mov_b32 v130, 0 :: v_dual_add_nc_u32 v129, s15, v0
	s_delay_alu instid0(VALU_DEP_1) | instskip(NEXT) | instid1(VALU_DEP_3)
	v_mov_b32_e32 v228, v130
	v_add_co_u32 v3, vcc_lo, s20, v1
	scratch_store_b32 off, v3, off offset:32 ; 4-byte Folded Spill
	v_add_co_ci_u32_e32 v3, vcc_lo, s21, v2, vcc_lo
	v_add_co_u32 v1, vcc_lo, s22, v1
	s_clause 0x1
	scratch_store_b32 off, v3, off offset:36
	scratch_store_b32 off, v1, off offset:40
	v_add_co_ci_u32_e32 v1, vcc_lo, s23, v2, vcc_lo
	scratch_store_b32 off, v1, off offset:44 ; 4-byte Folded Spill
	v_lshlrev_b64 v[1:2], 3, v[131:132]
	v_lshlrev_b64 v[131:132], 3, v[129:130]
	v_mov_b32_e32 v129, v195
	scratch_store_b32 off, v0, off offset:436 ; 4-byte Folded Spill
	v_add_co_u32 v3, vcc_lo, s20, v1
	scratch_store_b32 off, v3, off offset:48 ; 4-byte Folded Spill
	v_add_co_ci_u32_e32 v3, vcc_lo, s21, v2, vcc_lo
	v_add_co_u32 v1, vcc_lo, s22, v1
	s_clause 0x1
	scratch_store_b32 off, v3, off offset:52
	scratch_store_b32 off, v1, off offset:56
	v_add_co_ci_u32_e32 v1, vcc_lo, s23, v2, vcc_lo
	scratch_store_b32 off, v1, off offset:60 ; 4-byte Folded Spill
	v_lshlrev_b64 v[1:2], 3, v[134:135]
	s_delay_alu instid0(VALU_DEP_1)
	v_add_co_u32 v3, vcc_lo, s20, v1
	scratch_store_b32 off, v3, off offset:64 ; 4-byte Folded Spill
	v_add_co_ci_u32_e32 v3, vcc_lo, s21, v2, vcc_lo
	v_add_co_u32 v1, vcc_lo, s22, v1
	s_clause 0x1
	scratch_store_b32 off, v3, off offset:68
	scratch_store_b32 off, v1, off offset:76
	v_add_co_ci_u32_e32 v1, vcc_lo, s23, v2, vcc_lo
	scratch_store_b32 off, v1, off offset:80 ; 4-byte Folded Spill
	v_lshlrev_b64 v[1:2], 3, v[136:137]
	s_delay_alu instid0(VALU_DEP_1)
	;; [unrolled: 11-line block ×22, first 2 shown]
	v_add_co_u32 v3, vcc_lo, s20, v1
	scratch_store_b32 off, v3, off offset:404 ; 4-byte Folded Spill
	v_add_co_ci_u32_e32 v3, vcc_lo, s21, v2, vcc_lo
	v_add_co_u32 v1, vcc_lo, s22, v1
	s_clause 0x1
	scratch_store_b32 off, v3, off offset:408
	scratch_store_b32 off, v1, off offset:412
	v_add_co_ci_u32_e32 v1, vcc_lo, s23, v2, vcc_lo
	scratch_store_b32 off, v1, off offset:416 ; 4-byte Folded Spill
	v_lshlrev_b64 v[1:2], 3, v[181:182]
	s_delay_alu instid0(VALU_DEP_1) | instskip(NEXT) | instid1(VALU_DEP_2)
	v_add_co_u32 v209, vcc_lo, s20, v1
	v_add_co_ci_u32_e32 v225, vcc_lo, s21, v2, vcc_lo
	v_add_co_u32 v226, vcc_lo, s22, v1
	v_add_co_ci_u32_e32 v210, vcc_lo, s23, v2, vcc_lo
	v_lshlrev_b64 v[1:2], 3, v[183:184]
	s_delay_alu instid0(VALU_DEP_1) | instskip(NEXT) | instid1(VALU_DEP_2)
	v_add_co_u32 v213, vcc_lo, s20, v1
	v_add_co_ci_u32_e32 v214, vcc_lo, s21, v2, vcc_lo
	v_add_co_u32 v221, vcc_lo, s22, v1
	v_add_co_ci_u32_e32 v222, vcc_lo, s23, v2, vcc_lo
	;; [unrolled: 6-line block ×5, first 2 shown]
	v_lshlrev_b64 v[1:2], 3, v[193:194]
	s_delay_alu instid0(VALU_DEP_1) | instskip(NEXT) | instid1(VALU_DEP_2)
	v_add_co_u32 v193, vcc_lo, s20, v1
	v_add_co_ci_u32_e32 v194, vcc_lo, s21, v2, vcc_lo
	v_add_co_u32 v197, vcc_lo, s22, v1
	v_mov_b32_e32 v0, 0
	v_mov_b32_e32 v1, 0
	v_add_co_ci_u32_e32 v227, vcc_lo, s23, v2, vcc_lo
	s_clause 0x1
	scratch_store_b64 off, v[0:1], off offset:8
	scratch_store_b64 off, v[0:1], off
	v_mov_b32_e32 v0, v196
	s_mov_b64 s[20:21], 31
	s_mov_b64 s[22:23], s[6:7]
	s_branch .LBB38_147
.LBB38_145:                             ;   in Loop: Header=BB38_147 Depth=1
	s_or_b32 exec_lo, exec_lo, s7
	v_add_co_u32 v1, vcc_lo, v179, v131
	v_add_co_ci_u32_e32 v2, vcc_lo, v180, v132, vcc_lo
	s_waitcnt vmcnt(1)
	ds_bpermute_b32 v3, v130, v133
	ds_bpermute_b32 v4, v130, v134
	scratch_load_b64 v[139:140], off, off offset:8 ; 8-byte Folded Reload
	global_load_b64 v[1:2], v[1:2], off
	s_waitcnt vmcnt(2)
	ds_bpermute_b32 v141, v130, v135 offset:4
	ds_bpermute_b32 v142, v130, v136 offset:4
	;; [unrolled: 1-line block ×60, first 2 shown]
	s_waitcnt vmcnt(0) lgkmcnt(60)
	v_add_f64 v[1:2], v[1:2], -v[3:4]
	v_add_co_u32 v3, vcc_lo, v198, v131
	v_add_co_ci_u32_e32 v4, vcc_lo, v255, v132, vcc_lo
	global_load_b64 v[137:138], v[3:4], off
	ds_bpermute_b32 v3, v130, v135
	ds_bpermute_b32 v4, v130, v136
	s_waitcnt vmcnt(0)
	v_mul_f64 v[1:2], v[137:138], v[1:2]
	s_waitcnt lgkmcnt(0)
	s_delay_alu instid0(VALU_DEP_1)
	v_fma_f64 v[1:2], v[1:2], v[3:4], v[139:140]
	v_add_co_u32 v3, vcc_lo, v13, v131
	v_add_co_ci_u32_e32 v4, vcc_lo, v14, v132, vcc_lo
	ds_bpermute_b32 v139, v130, v133 offset:4
	ds_bpermute_b32 v140, v130, v134 offset:4
	global_load_b64 v[3:4], v[3:4], off
	s_waitcnt vmcnt(0) lgkmcnt(0)
	v_add_f64 v[139:140], v[3:4], -v[139:140]
	v_add_co_u32 v3, vcc_lo, v5, v131
	v_add_co_ci_u32_e32 v4, vcc_lo, v6, v132, vcc_lo
	global_load_b64 v[3:4], v[3:4], off
	s_waitcnt vmcnt(0)
	v_mul_f64 v[139:140], v[3:4], v[139:140]
	s_delay_alu instid0(VALU_DEP_1)
	v_fma_f64 v[1:2], v[139:140], v[141:142], v[1:2]
	v_add_co_u32 v139, vcc_lo, v17, v131
	v_add_co_ci_u32_e32 v140, vcc_lo, v18, v132, vcc_lo
	ds_bpermute_b32 v141, v130, v133 offset:8
	ds_bpermute_b32 v142, v130, v134 offset:8
	global_load_b64 v[139:140], v[139:140], off
	s_waitcnt vmcnt(0) lgkmcnt(0)
	v_add_f64 v[141:142], v[139:140], -v[141:142]
	v_add_co_u32 v139, vcc_lo, v7, v131
	v_add_co_ci_u32_e32 v140, vcc_lo, v8, v132, vcc_lo
	global_load_b64 v[139:140], v[139:140], off
	s_waitcnt vmcnt(0)
	v_mul_f64 v[141:142], v[139:140], v[141:142]
	;; [unrolled: 14-line block ×30, first 2 shown]
	s_delay_alu instid0(VALU_DEP_1) | instskip(SKIP_3) | instid1(VALU_DEP_1)
	v_fma_f64 v[161:162], v[163:164], v[233:234], v[161:162]
	scratch_load_b64 v[163:164], off, off   ; 8-byte Folded Reload
	s_waitcnt vmcnt(0)
	v_add_f64 v[137:138], v[163:164], v[137:138]
	v_add_f64 v[3:4], v[137:138], v[3:4]
	ds_bpermute_b32 v137, v130, v135 offset:124
	ds_bpermute_b32 v138, v130, v136 offset:124
	;; [unrolled: 1-line block ×4, first 2 shown]
	v_add_f64 v[3:4], v[3:4], v[139:140]
	s_delay_alu instid0(VALU_DEP_1) | instskip(NEXT) | instid1(VALU_DEP_1)
	v_add_f64 v[3:4], v[3:4], v[141:142]
	v_add_f64 v[3:4], v[3:4], v[143:144]
	s_delay_alu instid0(VALU_DEP_1) | instskip(NEXT) | instid1(VALU_DEP_1)
	v_add_f64 v[3:4], v[3:4], v[145:146]
	v_add_f64 v[3:4], v[3:4], v[147:148]
	s_delay_alu instid0(VALU_DEP_1) | instskip(NEXT) | instid1(VALU_DEP_1)
	v_add_f64 v[1:2], v[3:4], v[1:2]
	v_add_f64 v[1:2], v[1:2], v[149:150]
	s_delay_alu instid0(VALU_DEP_1) | instskip(NEXT) | instid1(VALU_DEP_1)
	v_add_f64 v[1:2], v[1:2], v[151:152]
	v_add_f64 v[1:2], v[1:2], v[153:154]
	s_delay_alu instid0(VALU_DEP_1) | instskip(NEXT) | instid1(VALU_DEP_1)
	v_add_f64 v[1:2], v[1:2], v[155:156]
	v_add_f64 v[1:2], v[1:2], v[157:158]
	s_delay_alu instid0(VALU_DEP_1) | instskip(NEXT) | instid1(VALU_DEP_1)
	v_add_f64 v[1:2], v[1:2], v[159:160]
	v_add_f64 v[1:2], v[1:2], v[165:166]
	s_delay_alu instid0(VALU_DEP_1) | instskip(NEXT) | instid1(VALU_DEP_1)
	v_add_f64 v[1:2], v[1:2], v[167:168]
	v_add_f64 v[1:2], v[1:2], v[169:170]
	s_delay_alu instid0(VALU_DEP_1) | instskip(NEXT) | instid1(VALU_DEP_1)
	v_add_f64 v[1:2], v[1:2], v[171:172]
	v_add_f64 v[1:2], v[1:2], v[173:174]
	s_delay_alu instid0(VALU_DEP_1) | instskip(NEXT) | instid1(VALU_DEP_1)
	v_add_f64 v[1:2], v[1:2], v[175:176]
	v_add_f64 v[1:2], v[1:2], v[177:178]
	s_delay_alu instid0(VALU_DEP_1) | instskip(NEXT) | instid1(VALU_DEP_1)
	v_add_f64 v[1:2], v[1:2], v[181:182]
	v_add_f64 v[1:2], v[1:2], v[189:190]
	s_delay_alu instid0(VALU_DEP_1) | instskip(NEXT) | instid1(VALU_DEP_1)
	v_add_f64 v[1:2], v[1:2], v[195:196]
	v_add_f64 v[1:2], v[1:2], v[199:200]
	s_delay_alu instid0(VALU_DEP_1) | instskip(NEXT) | instid1(VALU_DEP_1)
	v_add_f64 v[1:2], v[1:2], v[205:206]
	v_add_f64 v[1:2], v[1:2], v[211:212]
	s_delay_alu instid0(VALU_DEP_1) | instskip(NEXT) | instid1(VALU_DEP_1)
	v_add_f64 v[1:2], v[1:2], v[219:220]
	v_add_f64 v[1:2], v[1:2], v[223:224]
	s_delay_alu instid0(VALU_DEP_1) | instskip(NEXT) | instid1(VALU_DEP_1)
	v_add_f64 v[1:2], v[1:2], v[229:230]
	v_add_f64 v[139:140], v[1:2], v[231:232]
	v_add_co_u32 v1, vcc_lo, v125, v131
	v_add_co_ci_u32_e32 v2, vcc_lo, v126, v132, vcc_lo
	v_add_co_u32 v3, vcc_lo, v127, v131
	v_add_co_ci_u32_e32 v4, vcc_lo, v128, v132, vcc_lo
	global_load_b64 v[251:252], v[1:2], off
	global_load_b64 v[1:2], v[3:4], off
.LBB38_146:                             ;   in Loop: Header=BB38_147 Depth=1
	s_waitcnt vmcnt(0) lgkmcnt(0)
	v_add_f64 v[1:2], v[1:2], -v[135:136]
	v_mov_b32_e32 v3, v0
	v_add_co_u32 v5, vcc_lo, v5, s12
	v_add_co_ci_u32_e32 v6, vcc_lo, s13, v6, vcc_lo
	v_add_co_u32 v7, vcc_lo, v7, s12
	v_add_co_ci_u32_e32 v8, vcc_lo, s13, v8, vcc_lo
	;; [unrolled: 2-line block ×9, first 2 shown]
	v_mul_f64 v[1:2], v[251:252], v[1:2]
	v_add_co_u32 v41, vcc_lo, v41, s12
	v_add_co_ci_u32_e32 v42, vcc_lo, s13, v42, vcc_lo
	v_add_co_u32 v45, vcc_lo, v45, s12
	v_add_co_ci_u32_e32 v46, vcc_lo, s13, v46, vcc_lo
	v_add_co_u32 v49, vcc_lo, v49, s12
	v_add_co_ci_u32_e32 v50, vcc_lo, s13, v50, vcc_lo
	v_add_co_u32 v53, vcc_lo, v53, s12
	v_add_co_ci_u32_e32 v54, vcc_lo, s13, v54, vcc_lo
	v_add_co_u32 v57, vcc_lo, v57, s12
	v_add_co_ci_u32_e32 v58, vcc_lo, s13, v58, vcc_lo
	v_add_co_u32 v61, vcc_lo, v61, s12
	v_add_co_ci_u32_e32 v62, vcc_lo, s13, v62, vcc_lo
	v_add_co_u32 v65, vcc_lo, v65, s12
	v_add_co_ci_u32_e32 v66, vcc_lo, s13, v66, vcc_lo
	v_add_co_u32 v69, vcc_lo, v69, s12
	v_add_co_ci_u32_e32 v70, vcc_lo, s13, v70, vcc_lo
	v_add_co_u32 v73, vcc_lo, v73, s12
	v_add_co_ci_u32_e32 v74, vcc_lo, s13, v74, vcc_lo
	v_add_co_u32 v77, vcc_lo, v77, s12
	v_fma_f64 v[0:1], v[1:2], v[137:138], v[161:162]
	v_add_co_ci_u32_e32 v78, vcc_lo, s13, v78, vcc_lo
	v_add_co_u32 v81, vcc_lo, v81, s12
	v_add_co_ci_u32_e32 v82, vcc_lo, s13, v82, vcc_lo
	v_add_co_u32 v85, vcc_lo, v85, s12
	;; [unrolled: 2-line block ×9, first 2 shown]
	v_add_co_ci_u32_e32 v114, vcc_lo, s13, v114, vcc_lo
	scratch_store_b64 off, v[0:1], off offset:8 ; 8-byte Folded Spill
	v_add_f64 v[0:1], v[139:140], v[251:252]
	v_add_co_u32 v117, vcc_lo, v117, s12
	v_add_co_ci_u32_e32 v118, vcc_lo, s13, v118, vcc_lo
	v_add_co_u32 v121, vcc_lo, v121, s12
	v_add_co_ci_u32_e32 v122, vcc_lo, s13, v122, vcc_lo
	;; [unrolled: 2-line block ×9, first 2 shown]
	v_add_co_u32 v27, vcc_lo, v27, s12
	scratch_store_b64 off, v[0:1], off      ; 8-byte Folded Spill
	scratch_load_b32 v1, off, off offset:16 ; 4-byte Folded Reload
	v_add_co_ci_u32_e32 v28, vcc_lo, s13, v28, vcc_lo
	v_add_co_u32 v31, vcc_lo, v31, s12
	v_add_co_ci_u32_e32 v32, vcc_lo, s13, v32, vcc_lo
	v_add_co_u32 v35, vcc_lo, v35, s12
	;; [unrolled: 2-line block ×25, first 2 shown]
	v_mov_b32_e32 v0, v3
	v_add_co_ci_u32_e32 v128, vcc_lo, s13, v128, vcc_lo
	v_add_co_u32 v179, vcc_lo, v179, s12
	v_add_co_ci_u32_e32 v180, vcc_lo, s13, v180, vcc_lo
	s_delay_alu instid0(VALU_DEP_4)
	v_add_co_u32 v0, vcc_lo, v0, s3
	v_add_co_ci_u32_e32 v228, vcc_lo, 0, v228, vcc_lo
	s_add_u32 s22, s22, s3
	s_addc_u32 s23, s23, 0
	s_add_u32 s20, s20, s3
	v_cmp_ge_i64_e64 s7, s[22:23], s[16:17]
	s_addc_u32 s21, s21, 0
	s_waitcnt vmcnt(0)
	v_add_co_u32 v1, vcc_lo, v1, s12
	scratch_store_b32 off, v1, off offset:16 ; 4-byte Folded Spill
	scratch_load_b32 v1, off, off offset:20 ; 4-byte Folded Reload
	s_waitcnt vmcnt(0)
	v_add_co_ci_u32_e32 v1, vcc_lo, s13, v1, vcc_lo
	scratch_store_b32 off, v1, off offset:20 ; 4-byte Folded Spill
	scratch_load_b32 v1, off, off offset:24 ; 4-byte Folded Reload
	s_waitcnt vmcnt(0)
	v_add_co_u32 v1, vcc_lo, v1, s12
	scratch_store_b32 off, v1, off offset:24 ; 4-byte Folded Spill
	scratch_load_b32 v1, off, off offset:28 ; 4-byte Folded Reload
	s_waitcnt vmcnt(0)
	v_add_co_ci_u32_e32 v1, vcc_lo, s13, v1, vcc_lo
	scratch_store_b32 off, v1, off offset:28 ; 4-byte Folded Spill
	scratch_load_b32 v1, off, off offset:32 ; 4-byte Folded Reload
	;; [unrolled: 8-line block ×49, first 2 shown]
	s_waitcnt vmcnt(0)
	v_add_co_u32 v1, vcc_lo, v1, s12
	scratch_store_b32 off, v1, off offset:412 ; 4-byte Folded Spill
	scratch_load_b32 v1, off, off offset:416 ; 4-byte Folded Reload
	s_waitcnt vmcnt(0)
	v_add_co_ci_u32_e32 v1, vcc_lo, s13, v1, vcc_lo
	v_add_co_u32 v209, vcc_lo, v209, s12
	v_add_co_ci_u32_e32 v225, vcc_lo, s13, v225, vcc_lo
	v_add_co_u32 v226, vcc_lo, v226, s12
	;; [unrolled: 2-line block ×12, first 2 shown]
	v_add_co_ci_u32_e32 v227, vcc_lo, s13, v227, vcc_lo
	s_and_b32 vcc_lo, exec_lo, s7
	scratch_store_b32 off, v1, off offset:416 ; 4-byte Folded Spill
	s_cbranch_vccnz .LBB38_218
.LBB38_147:                             ; =>This Inner Loop Header: Depth=1
	s_add_u32 s24, s6, s20
	s_addc_u32 s25, 0, s21
	v_add_co_u32 v133, vcc_lo, s6, v0
	v_cmp_ge_i64_e64 s7, s[24:25], s[16:17]
	v_add_co_ci_u32_e32 v134, vcc_lo, 0, v228, vcc_lo
	s_delay_alu instid0(VALU_DEP_2)
	s_and_b32 vcc_lo, exec_lo, s7
	s_cbranch_vccz .LBB38_215
; %bb.148:                              ;   in Loop: Header=BB38_147 Depth=1
	scratch_load_b32 v1, off, off offset:436 ; 4-byte Folded Reload
	s_load_b32 s7, s[4:5], 0xc
	v_mov_b32_e32 v139, 0
	v_mov_b32_e32 v140, 0
	s_delay_alu instid0(VALU_DEP_2) | instskip(NEXT) | instid1(VALU_DEP_2)
	v_mov_b32_e32 v137, v139
	v_dual_mov_b32 v135, v139 :: v_dual_mov_b32 v136, v140
	v_mov_b32_e32 v138, v140
	s_waitcnt lgkmcnt(0)
	s_and_b32 s7, s7, 0xffff
	s_waitcnt vmcnt(0)
	v_mad_u32_u24 v1, v129, s7, v1
	s_mov_b32 s7, exec_lo
	s_delay_alu instid0(VALU_DEP_1) | instskip(NEXT) | instid1(VALU_DEP_1)
	v_and_b32_e32 v1, 31, v1
	v_add_co_u32 v1, vcc_lo, v133, v1
	v_add_co_ci_u32_e32 v2, vcc_lo, 0, v134, vcc_lo
	s_delay_alu instid0(VALU_DEP_1)
	v_cmpx_gt_i64_e64 s[16:17], v[1:2]
	s_cbranch_execz .LBB38_150
; %bb.149:                              ;   in Loop: Header=BB38_147 Depth=1
	v_lshlrev_b64 v[1:2], 3, v[1:2]
	s_delay_alu instid0(VALU_DEP_1) | instskip(NEXT) | instid1(VALU_DEP_2)
	v_add_co_u32 v3, vcc_lo, s8, v1
	v_add_co_ci_u32_e32 v4, vcc_lo, s9, v2, vcc_lo
	v_add_co_u32 v1, vcc_lo, s10, v1
	v_add_co_ci_u32_e32 v2, vcc_lo, s11, v2, vcc_lo
	global_load_b64 v[135:136], v[3:4], off
	global_load_b64 v[137:138], v[1:2], off
.LBB38_150:                             ;   in Loop: Header=BB38_147 Depth=1
	s_or_b32 exec_lo, exec_lo, s7
	s_delay_alu instid0(SALU_CYCLE_1)
	s_mov_b32 s7, exec_lo
	scratch_store_b64 off, v[139:140], off offset:428 ; 8-byte Folded Spill
	v_cmpx_gt_i64_e64 s[16:17], v[133:134]
	s_cbranch_execz .LBB38_152
; %bb.151:                              ;   in Loop: Header=BB38_147 Depth=1
	v_add_co_u32 v1, vcc_lo, v198, v131
	v_add_co_ci_u32_e32 v2, vcc_lo, v255, v132, vcc_lo
	v_add_co_u32 v3, vcc_lo, v179, v131
	v_add_co_ci_u32_e32 v4, vcc_lo, v180, v132, vcc_lo
	global_load_b64 v[139:140], v[1:2], off
	global_load_b64 v[1:2], v[3:4], off
	s_waitcnt vmcnt(0)
	scratch_store_b64 off, v[1:2], off offset:428 ; 8-byte Folded Spill
.LBB38_152:                             ;   in Loop: Header=BB38_147 Depth=1
	s_or_b32 exec_lo, exec_lo, s7
	v_add_co_u32 v1, vcc_lo, v133, 1
	v_mov_b32_e32 v141, 0
	v_add_co_ci_u32_e32 v2, vcc_lo, 0, v134, vcc_lo
	v_mov_b32_e32 v142, 0
	s_delay_alu instid0(VALU_DEP_2) | instskip(NEXT) | instid1(VALU_DEP_2)
	v_cmp_gt_i64_e32 vcc_lo, s[16:17], v[1:2]
	v_dual_mov_b32 v1, v141 :: v_dual_mov_b32 v2, v142
	v_dual_mov_b32 v202, v142 :: v_dual_mov_b32 v201, v141
	s_and_saveexec_b32 s7, vcc_lo
	s_cbranch_execz .LBB38_154
; %bb.153:                              ;   in Loop: Header=BB38_147 Depth=1
	v_add_co_u32 v1, vcc_lo, v193, v131
	v_add_co_ci_u32_e32 v2, vcc_lo, v194, v132, vcc_lo
	v_add_co_u32 v3, vcc_lo, v197, v131
	v_add_co_ci_u32_e32 v4, vcc_lo, v227, v132, vcc_lo
	global_load_b64 v[201:202], v[1:2], off
	global_load_b64 v[1:2], v[3:4], off
.LBB38_154:                             ;   in Loop: Header=BB38_147 Depth=1
	s_or_b32 exec_lo, exec_lo, s7
	s_waitcnt vmcnt(0)
	scratch_store_b64 off, v[1:2], off offset:448 ; 8-byte Folded Spill
	v_add_co_u32 v1, vcc_lo, v133, 2
	v_add_co_ci_u32_e32 v2, vcc_lo, 0, v134, vcc_lo
	s_delay_alu instid0(VALU_DEP_1)
	v_cmp_gt_i64_e32 vcc_lo, s[16:17], v[1:2]
	v_dual_mov_b32 v1, v141 :: v_dual_mov_b32 v2, v142
	s_and_saveexec_b32 s7, vcc_lo
	s_cbranch_execz .LBB38_156
; %bb.155:                              ;   in Loop: Header=BB38_147 Depth=1
	v_add_co_u32 v1, vcc_lo, v187, v131
	v_add_co_ci_u32_e32 v2, vcc_lo, v188, v132, vcc_lo
	v_add_co_u32 v3, vcc_lo, v191, v131
	v_add_co_ci_u32_e32 v4, vcc_lo, v192, v132, vcc_lo
	global_load_b64 v[141:142], v[1:2], off
	global_load_b64 v[1:2], v[3:4], off
.LBB38_156:                             ;   in Loop: Header=BB38_147 Depth=1
	s_or_b32 exec_lo, exec_lo, s7
	s_waitcnt vmcnt(0)
	scratch_store_b64 off, v[1:2], off offset:440 ; 8-byte Folded Spill
	v_add_co_u32 v1, vcc_lo, v133, 3
	v_mov_b32_e32 v145, 0
	v_add_co_ci_u32_e32 v2, vcc_lo, 0, v134, vcc_lo
	v_mov_b32_e32 v146, 0
	s_delay_alu instid0(VALU_DEP_2) | instskip(NEXT) | instid1(VALU_DEP_2)
	v_cmp_gt_i64_e32 vcc_lo, s[16:17], v[1:2]
	v_dual_mov_b32 v1, v145 :: v_dual_mov_b32 v2, v146
	v_dual_mov_b32 v204, v146 :: v_dual_mov_b32 v203, v145
	s_and_saveexec_b32 s7, vcc_lo
	s_cbranch_execz .LBB38_158
; %bb.157:                              ;   in Loop: Header=BB38_147 Depth=1
	v_add_co_u32 v1, vcc_lo, v183, v131
	v_add_co_ci_u32_e32 v2, vcc_lo, v184, v132, vcc_lo
	v_add_co_u32 v3, vcc_lo, v185, v131
	v_add_co_ci_u32_e32 v4, vcc_lo, v186, v132, vcc_lo
	global_load_b64 v[203:204], v[1:2], off
	global_load_b64 v[1:2], v[3:4], off
.LBB38_158:                             ;   in Loop: Header=BB38_147 Depth=1
	s_or_b32 exec_lo, exec_lo, s7
	s_waitcnt vmcnt(0)
	scratch_store_b64 off, v[1:2], off offset:456 ; 8-byte Folded Spill
	v_add_co_u32 v1, vcc_lo, v133, 4
	v_add_co_ci_u32_e32 v2, vcc_lo, 0, v134, vcc_lo
	s_delay_alu instid0(VALU_DEP_1)
	v_cmp_gt_i64_e32 vcc_lo, s[16:17], v[1:2]
	v_dual_mov_b32 v1, v145 :: v_dual_mov_b32 v2, v146
	s_and_saveexec_b32 s7, vcc_lo
	s_cbranch_execz .LBB38_160
; %bb.159:                              ;   in Loop: Header=BB38_147 Depth=1
	v_add_co_u32 v1, vcc_lo, v215, v131
	v_add_co_ci_u32_e32 v2, vcc_lo, v216, v132, vcc_lo
	v_add_co_u32 v3, vcc_lo, v217, v131
	v_add_co_ci_u32_e32 v4, vcc_lo, v218, v132, vcc_lo
	global_load_b64 v[145:146], v[1:2], off
	global_load_b64 v[1:2], v[3:4], off
.LBB38_160:                             ;   in Loop: Header=BB38_147 Depth=1
	s_or_b32 exec_lo, exec_lo, s7
	s_waitcnt vmcnt(0)
	scratch_store_b64 off, v[1:2], off offset:464 ; 8-byte Folded Spill
	v_add_co_u32 v1, vcc_lo, v133, 5
	v_mov_b32_e32 v149, 0
	v_add_co_ci_u32_e32 v2, vcc_lo, 0, v134, vcc_lo
	v_mov_b32_e32 v150, 0
	s_delay_alu instid0(VALU_DEP_2) | instskip(NEXT) | instid1(VALU_DEP_2)
	v_cmp_gt_i64_e32 vcc_lo, s[16:17], v[1:2]
	v_dual_mov_b32 v1, v149 :: v_dual_mov_b32 v2, v150
	v_dual_mov_b32 v208, v150 :: v_dual_mov_b32 v207, v149
	s_and_saveexec_b32 s7, vcc_lo
	s_cbranch_execz .LBB38_162
; %bb.161:                              ;   in Loop: Header=BB38_147 Depth=1
	v_add_co_u32 v1, vcc_lo, v213, v131
	v_add_co_ci_u32_e32 v2, vcc_lo, v214, v132, vcc_lo
	v_add_co_u32 v3, vcc_lo, v221, v131
	v_add_co_ci_u32_e32 v4, vcc_lo, v222, v132, vcc_lo
	global_load_b64 v[207:208], v[1:2], off
	global_load_b64 v[1:2], v[3:4], off
.LBB38_162:                             ;   in Loop: Header=BB38_147 Depth=1
	s_or_b32 exec_lo, exec_lo, s7
	s_waitcnt vmcnt(0)
	scratch_store_b64 off, v[1:2], off offset:472 ; 8-byte Folded Spill
	v_add_co_u32 v1, vcc_lo, v133, 6
	v_add_co_ci_u32_e32 v2, vcc_lo, 0, v134, vcc_lo
	s_delay_alu instid0(VALU_DEP_1)
	v_cmp_gt_i64_e32 vcc_lo, s[16:17], v[1:2]
	v_dual_mov_b32 v1, v149 :: v_dual_mov_b32 v2, v150
	s_and_saveexec_b32 s7, vcc_lo
	s_cbranch_execz .LBB38_164
; %bb.163:                              ;   in Loop: Header=BB38_147 Depth=1
	v_add_co_u32 v1, vcc_lo, v209, v131
	v_add_co_ci_u32_e32 v2, vcc_lo, v225, v132, vcc_lo
	v_add_co_u32 v3, vcc_lo, v226, v131
	v_add_co_ci_u32_e32 v4, vcc_lo, v210, v132, vcc_lo
	global_load_b64 v[149:150], v[1:2], off
	global_load_b64 v[1:2], v[3:4], off
.LBB38_164:                             ;   in Loop: Header=BB38_147 Depth=1
	s_or_b32 exec_lo, exec_lo, s7
	v_mov_b32_e32 v153, 0
	v_mov_b32_e32 v154, 0
	s_waitcnt vmcnt(0)
	scratch_store_b64 off, v[1:2], off offset:480 ; 8-byte Folded Spill
	v_add_co_u32 v1, vcc_lo, v133, 7
	v_add_co_ci_u32_e32 v2, vcc_lo, 0, v134, vcc_lo
	scratch_store_b64 off, v[153:154], off offset:420 ; 8-byte Folded Spill
	v_cmp_gt_i64_e32 vcc_lo, s[16:17], v[1:2]
	v_dual_mov_b32 v1, v153 :: v_dual_mov_b32 v2, v154
	s_and_saveexec_b32 s7, vcc_lo
	s_cbranch_execz .LBB38_166
; %bb.165:                              ;   in Loop: Header=BB38_147 Depth=1
	s_clause 0x3
	scratch_load_b32 v1, off, off offset:404
	scratch_load_b32 v2, off, off offset:408
	;; [unrolled: 1-line block ×4, first 2 shown]
	s_waitcnt vmcnt(3)
	v_add_co_u32 v1, vcc_lo, v1, v131
	s_waitcnt vmcnt(2)
	v_add_co_ci_u32_e32 v2, vcc_lo, v2, v132, vcc_lo
	s_waitcnt vmcnt(1)
	v_add_co_u32 v3, vcc_lo, v3, v131
	s_waitcnt vmcnt(0)
	v_add_co_ci_u32_e32 v4, vcc_lo, v4, v132, vcc_lo
	global_load_b64 v[1:2], v[1:2], off
	s_waitcnt vmcnt(0)
	scratch_store_b64 off, v[1:2], off offset:420 ; 8-byte Folded Spill
	global_load_b64 v[1:2], v[3:4], off
.LBB38_166:                             ;   in Loop: Header=BB38_147 Depth=1
	s_or_b32 exec_lo, exec_lo, s7
	s_waitcnt vmcnt(0)
	scratch_store_b64 off, v[1:2], off offset:488 ; 8-byte Folded Spill
	v_add_co_u32 v1, vcc_lo, v133, 8
	v_add_co_ci_u32_e32 v2, vcc_lo, 0, v134, vcc_lo
	s_delay_alu instid0(VALU_DEP_1)
	v_cmp_gt_i64_e32 vcc_lo, s[16:17], v[1:2]
	v_dual_mov_b32 v1, v153 :: v_dual_mov_b32 v2, v154
	s_and_saveexec_b32 s7, vcc_lo
	s_cbranch_execz .LBB38_168
; %bb.167:                              ;   in Loop: Header=BB38_147 Depth=1
	s_clause 0x3
	scratch_load_b32 v1, off, off offset:388
	scratch_load_b32 v2, off, off offset:392
	scratch_load_b32 v3, off, off offset:396
	scratch_load_b32 v4, off, off offset:400
	s_waitcnt vmcnt(3)
	v_add_co_u32 v1, vcc_lo, v1, v131
	s_waitcnt vmcnt(2)
	v_add_co_ci_u32_e32 v2, vcc_lo, v2, v132, vcc_lo
	s_waitcnt vmcnt(1)
	v_add_co_u32 v3, vcc_lo, v3, v131
	s_waitcnt vmcnt(0)
	v_add_co_ci_u32_e32 v4, vcc_lo, v4, v132, vcc_lo
	global_load_b64 v[153:154], v[1:2], off
	global_load_b64 v[1:2], v[3:4], off
.LBB38_168:                             ;   in Loop: Header=BB38_147 Depth=1
	s_or_b32 exec_lo, exec_lo, s7
	s_waitcnt vmcnt(0)
	scratch_store_b64 off, v[1:2], off offset:496 ; 8-byte Folded Spill
	v_add_co_u32 v1, vcc_lo, v133, 9
	v_mov_b32_e32 v157, 0
	v_add_co_ci_u32_e32 v2, vcc_lo, 0, v134, vcc_lo
	v_mov_b32_e32 v158, 0
	s_delay_alu instid0(VALU_DEP_2) | instskip(NEXT) | instid1(VALU_DEP_2)
	v_cmp_gt_i64_e32 vcc_lo, s[16:17], v[1:2]
	v_dual_mov_b32 v1, v157 :: v_dual_mov_b32 v2, v158
	v_dual_mov_b32 v160, v158 :: v_dual_mov_b32 v159, v157
	s_and_saveexec_b32 s7, vcc_lo
	s_cbranch_execz .LBB38_170
; %bb.169:                              ;   in Loop: Header=BB38_147 Depth=1
	s_clause 0x3
	scratch_load_b32 v1, off, off offset:372
	scratch_load_b32 v2, off, off offset:376
	scratch_load_b32 v3, off, off offset:380
	scratch_load_b32 v4, off, off offset:384
	s_waitcnt vmcnt(3)
	v_add_co_u32 v1, vcc_lo, v1, v131
	s_waitcnt vmcnt(2)
	v_add_co_ci_u32_e32 v2, vcc_lo, v2, v132, vcc_lo
	s_waitcnt vmcnt(1)
	v_add_co_u32 v3, vcc_lo, v3, v131
	s_waitcnt vmcnt(0)
	v_add_co_ci_u32_e32 v4, vcc_lo, v4, v132, vcc_lo
	global_load_b64 v[159:160], v[1:2], off
	global_load_b64 v[1:2], v[3:4], off
.LBB38_170:                             ;   in Loop: Header=BB38_147 Depth=1
	s_or_b32 exec_lo, exec_lo, s7
	s_waitcnt vmcnt(0)
	scratch_store_b64 off, v[1:2], off offset:504 ; 8-byte Folded Spill
	v_add_co_u32 v1, vcc_lo, v133, 10
	v_add_co_ci_u32_e32 v2, vcc_lo, 0, v134, vcc_lo
	s_delay_alu instid0(VALU_DEP_1)
	v_cmp_gt_i64_e32 vcc_lo, s[16:17], v[1:2]
	v_dual_mov_b32 v1, v157 :: v_dual_mov_b32 v2, v158
	s_and_saveexec_b32 s7, vcc_lo
	s_cbranch_execz .LBB38_172
; %bb.171:                              ;   in Loop: Header=BB38_147 Depth=1
	s_clause 0x3
	scratch_load_b32 v1, off, off offset:356
	scratch_load_b32 v2, off, off offset:360
	scratch_load_b32 v3, off, off offset:364
	scratch_load_b32 v4, off, off offset:368
	s_waitcnt vmcnt(3)
	v_add_co_u32 v1, vcc_lo, v1, v131
	s_waitcnt vmcnt(2)
	v_add_co_ci_u32_e32 v2, vcc_lo, v2, v132, vcc_lo
	s_waitcnt vmcnt(1)
	v_add_co_u32 v3, vcc_lo, v3, v131
	s_waitcnt vmcnt(0)
	v_add_co_ci_u32_e32 v4, vcc_lo, v4, v132, vcc_lo
	global_load_b64 v[157:158], v[1:2], off
	global_load_b64 v[1:2], v[3:4], off
.LBB38_172:                             ;   in Loop: Header=BB38_147 Depth=1
	s_or_b32 exec_lo, exec_lo, s7
	s_waitcnt vmcnt(0)
	scratch_store_b64 off, v[1:2], off offset:512 ; 8-byte Folded Spill
	v_add_co_u32 v1, vcc_lo, v133, 11
	v_mov_b32_e32 v161, 0
	v_add_co_ci_u32_e32 v2, vcc_lo, 0, v134, vcc_lo
	v_mov_b32_e32 v162, 0
	s_delay_alu instid0(VALU_DEP_2) | instskip(NEXT) | instid1(VALU_DEP_2)
	v_cmp_gt_i64_e32 vcc_lo, s[16:17], v[1:2]
	v_dual_mov_b32 v1, v161 :: v_dual_mov_b32 v2, v162
	v_dual_mov_b32 v164, v162 :: v_dual_mov_b32 v163, v161
	s_and_saveexec_b32 s7, vcc_lo
	s_cbranch_execz .LBB38_174
; %bb.173:                              ;   in Loop: Header=BB38_147 Depth=1
	s_clause 0x3
	scratch_load_b32 v1, off, off offset:340
	scratch_load_b32 v2, off, off offset:344
	scratch_load_b32 v3, off, off offset:348
	scratch_load_b32 v4, off, off offset:352
	s_waitcnt vmcnt(3)
	v_add_co_u32 v1, vcc_lo, v1, v131
	s_waitcnt vmcnt(2)
	v_add_co_ci_u32_e32 v2, vcc_lo, v2, v132, vcc_lo
	s_waitcnt vmcnt(1)
	v_add_co_u32 v3, vcc_lo, v3, v131
	s_waitcnt vmcnt(0)
	v_add_co_ci_u32_e32 v4, vcc_lo, v4, v132, vcc_lo
	global_load_b64 v[163:164], v[1:2], off
	global_load_b64 v[1:2], v[3:4], off
.LBB38_174:                             ;   in Loop: Header=BB38_147 Depth=1
	;; [unrolled: 57-line block ×6, first 2 shown]
	s_or_b32 exec_lo, exec_lo, s7
	s_waitcnt vmcnt(0)
	scratch_store_b64 off, v[1:2], off offset:568 ; 8-byte Folded Spill
	v_add_co_u32 v1, vcc_lo, v133, 20
	v_add_co_ci_u32_e32 v2, vcc_lo, 0, v134, vcc_lo
	s_delay_alu instid0(VALU_DEP_1)
	v_cmp_gt_i64_e32 vcc_lo, s[16:17], v[1:2]
	v_dual_mov_b32 v1, v199 :: v_dual_mov_b32 v2, v200
	s_and_saveexec_b32 s7, vcc_lo
	s_cbranch_execz .LBB38_192
; %bb.191:                              ;   in Loop: Header=BB38_147 Depth=1
	s_clause 0x3
	scratch_load_b32 v1, off, off offset:196
	scratch_load_b32 v2, off, off offset:200
	;; [unrolled: 1-line block ×4, first 2 shown]
	s_waitcnt vmcnt(3)
	v_add_co_u32 v1, vcc_lo, v1, v131
	s_waitcnt vmcnt(2)
	v_add_co_ci_u32_e32 v2, vcc_lo, v2, v132, vcc_lo
	s_waitcnt vmcnt(1)
	v_add_co_u32 v3, vcc_lo, v3, v131
	s_waitcnt vmcnt(0)
	v_add_co_ci_u32_e32 v4, vcc_lo, v4, v132, vcc_lo
	global_load_b64 v[199:200], v[1:2], off
	global_load_b64 v[1:2], v[3:4], off
.LBB38_192:                             ;   in Loop: Header=BB38_147 Depth=1
	s_or_b32 exec_lo, exec_lo, s7
	v_mov_b32_e32 v211, 0
	v_mov_b32_e32 v212, 0
	s_waitcnt vmcnt(0)
	scratch_store_b64 off, v[1:2], off offset:592 ; 8-byte Folded Spill
	v_add_co_u32 v1, vcc_lo, v133, 21
	v_add_co_ci_u32_e32 v2, vcc_lo, 0, v134, vcc_lo
	v_dual_mov_b32 v220, v212 :: v_dual_mov_b32 v219, v211
	v_dual_mov_b32 v234, v212 :: v_dual_mov_b32 v233, v211
	s_mov_b32 s7, exec_lo
	s_delay_alu instid0(VALU_DEP_3)
	v_cmpx_gt_i64_e64 s[16:17], v[1:2]
	s_cbranch_execz .LBB38_194
; %bb.193:                              ;   in Loop: Header=BB38_147 Depth=1
	s_clause 0x2
	scratch_load_b32 v1, off, off offset:180
	scratch_load_b32 v2, off, off offset:184
	scratch_load_b32 v3, off, off offset:188
	s_waitcnt vmcnt(2)
	v_add_co_u32 v1, vcc_lo, v1, v131
	s_waitcnt vmcnt(1)
	v_add_co_ci_u32_e32 v2, vcc_lo, v2, v132, vcc_lo
	s_waitcnt vmcnt(0)
	v_add_co_u32 v143, vcc_lo, v3, v131
	scratch_load_b32 v3, off, off offset:192 ; 4-byte Folded Reload
	s_waitcnt vmcnt(0)
	v_add_co_ci_u32_e32 v144, vcc_lo, v3, v132, vcc_lo
	global_load_b64 v[219:220], v[1:2], off
	global_load_b64 v[233:234], v[143:144], off
.LBB38_194:                             ;   in Loop: Header=BB38_147 Depth=1
	s_or_b32 exec_lo, exec_lo, s7
	v_add_co_u32 v1, vcc_lo, v133, 22
	v_add_co_ci_u32_e32 v2, vcc_lo, 0, v134, vcc_lo
	v_dual_mov_b32 v236, v212 :: v_dual_mov_b32 v235, v211
	s_mov_b32 s7, exec_lo
	s_delay_alu instid0(VALU_DEP_2)
	v_cmpx_gt_i64_e64 s[16:17], v[1:2]
	s_cbranch_execz .LBB38_196
; %bb.195:                              ;   in Loop: Header=BB38_147 Depth=1
	s_clause 0x2
	scratch_load_b32 v1, off, off offset:164
	scratch_load_b32 v2, off, off offset:168
	scratch_load_b32 v3, off, off offset:172
	s_waitcnt vmcnt(2)
	v_add_co_u32 v1, vcc_lo, v1, v131
	s_waitcnt vmcnt(1)
	v_add_co_ci_u32_e32 v2, vcc_lo, v2, v132, vcc_lo
	s_waitcnt vmcnt(0)
	v_add_co_u32 v143, vcc_lo, v3, v131
	scratch_load_b32 v3, off, off offset:176 ; 4-byte Folded Reload
	s_waitcnt vmcnt(0)
	v_add_co_ci_u32_e32 v144, vcc_lo, v3, v132, vcc_lo
	global_load_b64 v[211:212], v[1:2], off
	global_load_b64 v[235:236], v[143:144], off
.LBB38_196:                             ;   in Loop: Header=BB38_147 Depth=1
	s_or_b32 exec_lo, exec_lo, s7
	v_mov_b32_e32 v223, 0
	v_mov_b32_e32 v224, 0
	v_add_co_u32 v1, vcc_lo, v133, 23
	v_add_co_ci_u32_e32 v2, vcc_lo, 0, v134, vcc_lo
	s_delay_alu instid0(VALU_DEP_3) | instskip(SKIP_2) | instid1(VALU_DEP_3)
	v_dual_mov_b32 v230, v224 :: v_dual_mov_b32 v229, v223
	v_dual_mov_b32 v242, v224 :: v_dual_mov_b32 v241, v223
	s_mov_b32 s7, exec_lo
	v_cmpx_gt_i64_e64 s[16:17], v[1:2]
	s_cbranch_execz .LBB38_198
; %bb.197:                              ;   in Loop: Header=BB38_147 Depth=1
	s_clause 0x2
	scratch_load_b32 v1, off, off offset:148
	scratch_load_b32 v2, off, off offset:152
	scratch_load_b32 v3, off, off offset:156
	s_waitcnt vmcnt(2)
	v_add_co_u32 v1, vcc_lo, v1, v131
	s_waitcnt vmcnt(1)
	v_add_co_ci_u32_e32 v2, vcc_lo, v2, v132, vcc_lo
	s_waitcnt vmcnt(0)
	v_add_co_u32 v143, vcc_lo, v3, v131
	scratch_load_b32 v3, off, off offset:160 ; 4-byte Folded Reload
	s_waitcnt vmcnt(0)
	v_add_co_ci_u32_e32 v144, vcc_lo, v3, v132, vcc_lo
	global_load_b64 v[229:230], v[1:2], off
	global_load_b64 v[241:242], v[143:144], off
.LBB38_198:                             ;   in Loop: Header=BB38_147 Depth=1
	s_or_b32 exec_lo, exec_lo, s7
	v_add_co_u32 v1, vcc_lo, v133, 24
	v_add_co_ci_u32_e32 v2, vcc_lo, 0, v134, vcc_lo
	v_dual_mov_b32 v244, v224 :: v_dual_mov_b32 v243, v223
	s_mov_b32 s7, exec_lo
	s_delay_alu instid0(VALU_DEP_2)
	v_cmpx_gt_i64_e64 s[16:17], v[1:2]
	s_cbranch_execz .LBB38_200
; %bb.199:                              ;   in Loop: Header=BB38_147 Depth=1
	s_clause 0x2
	scratch_load_b32 v1, off, off offset:132
	scratch_load_b32 v2, off, off offset:136
	scratch_load_b32 v3, off, off offset:140
	s_waitcnt vmcnt(2)
	v_add_co_u32 v1, vcc_lo, v1, v131
	s_waitcnt vmcnt(1)
	v_add_co_ci_u32_e32 v2, vcc_lo, v2, v132, vcc_lo
	s_waitcnt vmcnt(0)
	v_add_co_u32 v143, vcc_lo, v3, v131
	scratch_load_b32 v3, off, off offset:144 ; 4-byte Folded Reload
	s_waitcnt vmcnt(0)
	v_add_co_ci_u32_e32 v144, vcc_lo, v3, v132, vcc_lo
	global_load_b64 v[223:224], v[1:2], off
	global_load_b64 v[243:244], v[143:144], off
.LBB38_200:                             ;   in Loop: Header=BB38_147 Depth=1
	s_or_b32 exec_lo, exec_lo, s7
	v_mov_b32_e32 v231, 0
	v_mov_b32_e32 v232, 0
	v_add_co_u32 v1, vcc_lo, v133, 25
	v_add_co_ci_u32_e32 v2, vcc_lo, 0, v134, vcc_lo
	s_delay_alu instid0(VALU_DEP_3) | instskip(SKIP_2) | instid1(VALU_DEP_3)
	v_dual_mov_b32 v238, v232 :: v_dual_mov_b32 v237, v231
	v_dual_mov_b32 v248, v232 :: v_dual_mov_b32 v247, v231
	s_mov_b32 s7, exec_lo
	;; [unrolled: 53-line block ×4, first 2 shown]
	v_cmpx_gt_i64_e64 s[16:17], v[1:2]
	s_cbranch_execz .LBB38_210
; %bb.209:                              ;   in Loop: Header=BB38_147 Depth=1
	s_clause 0x2
	scratch_load_b32 v1, off, off offset:48
	scratch_load_b32 v2, off, off offset:52
	;; [unrolled: 1-line block ×3, first 2 shown]
	s_waitcnt vmcnt(2)
	v_add_co_u32 v1, vcc_lo, v1, v131
	s_waitcnt vmcnt(1)
	v_add_co_ci_u32_e32 v2, vcc_lo, v2, v132, vcc_lo
	s_waitcnt vmcnt(0)
	v_add_co_u32 v173, vcc_lo, v3, v131
	scratch_load_b32 v3, off, off offset:60 ; 4-byte Folded Reload
	s_waitcnt vmcnt(0)
	v_add_co_ci_u32_e32 v174, vcc_lo, v3, v132, vcc_lo
	global_load_b64 v[143:144], v[1:2], off
	global_load_b64 v[173:174], v[173:174], off
.LBB38_210:                             ;   in Loop: Header=BB38_147 Depth=1
	s_or_b32 exec_lo, exec_lo, s7
	v_add_co_u32 v1, vcc_lo, v133, 30
	v_add_co_ci_u32_e32 v2, vcc_lo, 0, v134, vcc_lo
	v_dual_mov_b32 v175, v253 :: v_dual_mov_b32 v176, v254
	s_mov_b32 s7, exec_lo
	s_delay_alu instid0(VALU_DEP_2)
	v_cmpx_gt_i64_e64 s[16:17], v[1:2]
	s_cbranch_execz .LBB38_212
; %bb.211:                              ;   in Loop: Header=BB38_147 Depth=1
	s_clause 0x2
	scratch_load_b32 v1, off, off offset:32
	scratch_load_b32 v2, off, off offset:36
	;; [unrolled: 1-line block ×3, first 2 shown]
	s_waitcnt vmcnt(2)
	v_add_co_u32 v1, vcc_lo, v1, v131
	s_waitcnt vmcnt(1)
	v_add_co_ci_u32_e32 v2, vcc_lo, v2, v132, vcc_lo
	s_waitcnt vmcnt(0)
	v_add_co_u32 v175, vcc_lo, v3, v131
	scratch_load_b32 v3, off, off offset:44 ; 4-byte Folded Reload
	s_waitcnt vmcnt(0)
	v_add_co_ci_u32_e32 v176, vcc_lo, v3, v132, vcc_lo
	global_load_b64 v[253:254], v[1:2], off
	global_load_b64 v[175:176], v[175:176], off
.LBB38_212:                             ;   in Loop: Header=BB38_147 Depth=1
	s_or_b32 exec_lo, exec_lo, s7
	v_add_co_u32 v1, vcc_lo, v133, 31
	v_add_co_ci_u32_e32 v2, vcc_lo, 0, v134, vcc_lo
	v_mov_b32_e32 v251, 0
	v_mov_b32_e32 v252, 0
	s_delay_alu instid0(VALU_DEP_3) | instskip(NEXT) | instid1(VALU_DEP_2)
	v_cmp_gt_i64_e32 vcc_lo, s[16:17], v[1:2]
	v_dual_mov_b32 v1, v251 :: v_dual_mov_b32 v2, v252
	s_and_saveexec_b32 s7, vcc_lo
	s_cbranch_execz .LBB38_214
; %bb.213:                              ;   in Loop: Header=BB38_147 Depth=1
	s_clause 0x2
	scratch_load_b32 v1, off, off offset:16
	scratch_load_b32 v2, off, off offset:20
	;; [unrolled: 1-line block ×3, first 2 shown]
	s_waitcnt vmcnt(2)
	v_add_co_u32 v1, vcc_lo, v1, v131
	s_waitcnt vmcnt(1)
	v_add_co_ci_u32_e32 v2, vcc_lo, v2, v132, vcc_lo
	s_waitcnt vmcnt(0)
	v_add_co_u32 v147, vcc_lo, v3, v131
	scratch_load_b32 v3, off, off offset:28 ; 4-byte Folded Reload
	s_waitcnt vmcnt(0)
	v_add_co_ci_u32_e32 v148, vcc_lo, v3, v132, vcc_lo
	global_load_b64 v[251:252], v[1:2], off
	global_load_b64 v[1:2], v[147:148], off
.LBB38_214:                             ;   in Loop: Header=BB38_147 Depth=1
	s_or_b32 exec_lo, exec_lo, s7
	scratch_load_b64 v[3:4], off, off offset:428 ; 8-byte Folded Reload
	ds_bpermute_b32 v147, v130, v135
	ds_bpermute_b32 v148, v130, v136
	ds_bpermute_b32 v155, v130, v135 offset:4
	ds_bpermute_b32 v156, v130, v136 offset:4
	ds_bpermute_b32 v151, v130, v137
	ds_bpermute_b32 v152, v130, v138
	s_waitcnt vmcnt(0) lgkmcnt(4)
	v_add_f64 v[147:148], v[3:4], -v[147:148]
	scratch_load_b64 v[3:4], off, off offset:448 ; 8-byte Folded Reload
	v_mul_f64 v[147:148], v[139:140], v[147:148]
	s_waitcnt vmcnt(0) lgkmcnt(2)
	v_add_f64 v[155:156], v[3:4], -v[155:156]
	scratch_load_b64 v[3:4], off, off offset:8 ; 8-byte Folded Reload
	s_waitcnt vmcnt(0) lgkmcnt(0)
	v_fma_f64 v[147:148], v[147:148], v[151:152], v[3:4]
	scratch_load_b64 v[3:4], off, off offset:440 ; 8-byte Folded Reload
	v_mul_f64 v[151:152], v[201:202], v[155:156]
	ds_bpermute_b32 v155, v130, v137 offset:4
	ds_bpermute_b32 v156, v130, v138 offset:4
	s_waitcnt lgkmcnt(0)
	v_fma_f64 v[147:148], v[151:152], v[155:156], v[147:148]
	ds_bpermute_b32 v151, v130, v135 offset:8
	ds_bpermute_b32 v152, v130, v136 offset:8
	ds_bpermute_b32 v155, v130, v137 offset:8
	ds_bpermute_b32 v156, v130, v138 offset:8
	s_waitcnt vmcnt(0) lgkmcnt(2)
	v_add_f64 v[151:152], v[3:4], -v[151:152]
	scratch_load_b64 v[3:4], off, off offset:456 ; 8-byte Folded Reload
	v_mul_f64 v[151:152], v[141:142], v[151:152]
	s_waitcnt lgkmcnt(0)
	s_delay_alu instid0(VALU_DEP_1)
	v_fma_f64 v[147:148], v[151:152], v[155:156], v[147:148]
	ds_bpermute_b32 v151, v130, v135 offset:12
	ds_bpermute_b32 v152, v130, v136 offset:12
	ds_bpermute_b32 v155, v130, v137 offset:12
	ds_bpermute_b32 v156, v130, v138 offset:12
	s_waitcnt vmcnt(0) lgkmcnt(2)
	v_add_f64 v[151:152], v[3:4], -v[151:152]
	scratch_load_b64 v[3:4], off, off offset:464 ; 8-byte Folded Reload
	v_mul_f64 v[151:152], v[203:204], v[151:152]
	s_waitcnt lgkmcnt(0)
	s_delay_alu instid0(VALU_DEP_1)
	;; [unrolled: 11-line block ×5, first 2 shown]
	v_fma_f64 v[147:148], v[151:152], v[155:156], v[147:148]
	ds_bpermute_b32 v151, v130, v135 offset:28
	ds_bpermute_b32 v152, v130, v136 offset:28
	;; [unrolled: 1-line block ×4, first 2 shown]
	s_waitcnt vmcnt(0) lgkmcnt(2)
	v_add_f64 v[151:152], v[3:4], -v[151:152]
	scratch_load_b64 v[3:4], off, off offset:420 ; 8-byte Folded Reload
	s_waitcnt vmcnt(0)
	v_mul_f64 v[151:152], v[3:4], v[151:152]
	s_waitcnt lgkmcnt(0)
	s_delay_alu instid0(VALU_DEP_1)
	v_fma_f64 v[147:148], v[151:152], v[155:156], v[147:148]
	scratch_load_b64 v[155:156], off, off offset:496 ; 8-byte Folded Reload
	ds_bpermute_b32 v151, v130, v135 offset:32
	ds_bpermute_b32 v152, v130, v136 offset:32
	s_waitcnt vmcnt(0) lgkmcnt(0)
	v_add_f64 v[151:152], v[155:156], -v[151:152]
	ds_bpermute_b32 v155, v130, v137 offset:32
	ds_bpermute_b32 v156, v130, v138 offset:32
	v_mul_f64 v[151:152], v[153:154], v[151:152]
	s_waitcnt lgkmcnt(0)
	s_delay_alu instid0(VALU_DEP_1)
	v_fma_f64 v[147:148], v[151:152], v[155:156], v[147:148]
	scratch_load_b64 v[155:156], off, off offset:504 ; 8-byte Folded Reload
	ds_bpermute_b32 v151, v130, v135 offset:36
	ds_bpermute_b32 v152, v130, v136 offset:36
	s_waitcnt vmcnt(0) lgkmcnt(0)
	v_add_f64 v[151:152], v[155:156], -v[151:152]
	ds_bpermute_b32 v155, v130, v137 offset:36
	ds_bpermute_b32 v156, v130, v138 offset:36
	;; [unrolled: 11-line block ×10, first 2 shown]
	v_mul_f64 v[151:152], v[195:196], v[151:152]
	s_waitcnt lgkmcnt(0)
	s_delay_alu instid0(VALU_DEP_1) | instskip(SKIP_3) | instid1(VALU_DEP_1)
	v_fma_f64 v[147:148], v[151:152], v[155:156], v[147:148]
	scratch_load_b64 v[151:152], off, off   ; 8-byte Folded Reload
	s_waitcnt vmcnt(0)
	v_add_f64 v[139:140], v[151:152], v[139:140]
	v_add_f64 v[139:140], v[139:140], v[201:202]
	s_delay_alu instid0(VALU_DEP_1) | instskip(SKIP_3) | instid1(VALU_DEP_1)
	v_add_f64 v[139:140], v[139:140], v[141:142]
	ds_bpermute_b32 v141, v130, v135 offset:72
	ds_bpermute_b32 v142, v130, v136 offset:72
	v_add_f64 v[139:140], v[139:140], v[203:204]
	v_add_f64 v[139:140], v[139:140], v[145:146]
	ds_bpermute_b32 v145, v130, v135 offset:76
	ds_bpermute_b32 v146, v130, v136 offset:76
	v_add_f64 v[139:140], v[139:140], v[207:208]
	s_delay_alu instid0(VALU_DEP_1)
	v_add_f64 v[139:140], v[139:140], v[149:150]
	ds_bpermute_b32 v149, v130, v135 offset:80
	ds_bpermute_b32 v150, v130, v136 offset:80
	v_add_f64 v[139:140], v[139:140], v[3:4]
	scratch_load_b64 v[3:4], off, off offset:536 ; 8-byte Folded Reload
	v_add_f64 v[139:140], v[139:140], v[153:154]
	s_delay_alu instid0(VALU_DEP_1) | instskip(NEXT) | instid1(VALU_DEP_1)
	v_add_f64 v[139:140], v[139:140], v[159:160]
	v_add_f64 v[139:140], v[139:140], v[157:158]
	s_delay_alu instid0(VALU_DEP_1) | instskip(NEXT) | instid1(VALU_DEP_1)
	v_add_f64 v[139:140], v[139:140], v[163:164]
	;; [unrolled: 3-line block ×3, first 2 shown]
	v_add_f64 v[139:140], v[139:140], v[165:166]
	s_delay_alu instid0(VALU_DEP_1)
	v_add_f64 v[139:140], v[139:140], v[181:182]
	s_waitcnt vmcnt(0) lgkmcnt(4)
	v_add_f64 v[141:142], v[3:4], -v[141:142]
	scratch_load_b64 v[3:4], off, off offset:568 ; 8-byte Folded Reload
	v_add_f64 v[139:140], v[139:140], v[177:178]
	v_mul_f64 v[141:142], v[189:190], v[141:142]
	s_delay_alu instid0(VALU_DEP_2) | instskip(NEXT) | instid1(VALU_DEP_1)
	v_add_f64 v[139:140], v[139:140], v[195:196]
	v_add_f64 v[139:140], v[139:140], v[189:190]
	s_delay_alu instid0(VALU_DEP_1) | instskip(NEXT) | instid1(VALU_DEP_1)
	v_add_f64 v[139:140], v[139:140], v[205:206]
	v_add_f64 v[139:140], v[139:140], v[199:200]
	s_delay_alu instid0(VALU_DEP_1) | instskip(NEXT) | instid1(VALU_DEP_1)
	v_add_f64 v[139:140], v[139:140], v[219:220]
	v_add_f64 v[139:140], v[139:140], v[211:212]
	s_delay_alu instid0(VALU_DEP_1)
	v_add_f64 v[139:140], v[139:140], v[229:230]
	s_waitcnt vmcnt(0) lgkmcnt(2)
	v_add_f64 v[145:146], v[3:4], -v[145:146]
	scratch_load_b64 v[3:4], off, off offset:592 ; 8-byte Folded Reload
	v_add_f64 v[139:140], v[139:140], v[223:224]
	v_mul_f64 v[145:146], v[205:206], v[145:146]
	s_delay_alu instid0(VALU_DEP_2) | instskip(NEXT) | instid1(VALU_DEP_1)
	v_add_f64 v[139:140], v[139:140], v[237:238]
	v_add_f64 v[139:140], v[139:140], v[231:232]
	s_delay_alu instid0(VALU_DEP_1) | instskip(NEXT) | instid1(VALU_DEP_1)
	v_add_f64 v[139:140], v[139:140], v[245:246]
	v_add_f64 v[139:140], v[139:140], v[239:240]
	s_delay_alu instid0(VALU_DEP_1) | instskip(NEXT) | instid1(VALU_DEP_1)
	v_add_f64 v[139:140], v[139:140], v[143:144]
	v_add_f64 v[139:140], v[139:140], v[253:254]
	s_waitcnt vmcnt(0) lgkmcnt(0)
	v_add_f64 v[3:4], v[3:4], -v[149:150]
	ds_bpermute_b32 v149, v130, v137 offset:72
	ds_bpermute_b32 v150, v130, v138 offset:72
	s_waitcnt lgkmcnt(0)
	v_fma_f64 v[141:142], v[141:142], v[149:150], v[147:148]
	ds_bpermute_b32 v147, v130, v135 offset:84
	ds_bpermute_b32 v148, v130, v136 offset:84
	;; [unrolled: 1-line block ×4, first 2 shown]
	v_mul_f64 v[3:4], v[199:200], v[3:4]
	s_waitcnt lgkmcnt(2)
	v_add_f64 v[147:148], v[233:234], -v[147:148]
	s_waitcnt lgkmcnt(0)
	v_fma_f64 v[141:142], v[145:146], v[149:150], v[141:142]
	ds_bpermute_b32 v145, v130, v135 offset:88
	ds_bpermute_b32 v146, v130, v136 offset:88
	ds_bpermute_b32 v149, v130, v137 offset:80
	ds_bpermute_b32 v150, v130, v138 offset:80
	s_waitcnt lgkmcnt(2)
	v_add_f64 v[145:146], v[235:236], -v[145:146]
	v_mul_f64 v[147:148], v[219:220], v[147:148]
	s_waitcnt lgkmcnt(0)
	v_fma_f64 v[3:4], v[3:4], v[149:150], v[141:142]
	ds_bpermute_b32 v141, v130, v135 offset:92
	ds_bpermute_b32 v142, v130, v136 offset:92
	ds_bpermute_b32 v149, v130, v137 offset:84
	ds_bpermute_b32 v150, v130, v138 offset:84
	s_waitcnt lgkmcnt(2)
	v_add_f64 v[141:142], v[241:242], -v[141:142]
	v_mul_f64 v[145:146], v[211:212], v[145:146]
	;; [unrolled: 9-line block ×8, first 2 shown]
	s_waitcnt lgkmcnt(0)
	v_fma_f64 v[3:4], v[147:148], v[149:150], v[3:4]
	ds_bpermute_b32 v147, v130, v135 offset:120
	ds_bpermute_b32 v148, v130, v136 offset:120
	;; [unrolled: 1-line block ×6, first 2 shown]
	s_waitcnt lgkmcnt(4)
	v_add_f64 v[147:148], v[175:176], -v[147:148]
	v_mul_f64 v[141:142], v[143:144], v[141:142]
	s_waitcnt lgkmcnt(2)
	v_fma_f64 v[3:4], v[145:146], v[149:150], v[3:4]
	ds_bpermute_b32 v145, v130, v137 offset:116
	ds_bpermute_b32 v146, v130, v138 offset:116
	v_mul_f64 v[147:148], v[253:254], v[147:148]
	s_waitcnt lgkmcnt(0)
	v_fma_f64 v[3:4], v[141:142], v[145:146], v[3:4]
	ds_bpermute_b32 v141, v130, v137 offset:120
	ds_bpermute_b32 v142, v130, v138 offset:120
	;; [unrolled: 1-line block ×4, first 2 shown]
	s_waitcnt lgkmcnt(2)
	v_fma_f64 v[161:162], v[147:148], v[141:142], v[3:4]
	s_branch .LBB38_146
.LBB38_215:                             ;   in Loop: Header=BB38_147 Depth=1
                                        ; implicit-def: $vgpr137_vgpr138
                                        ; implicit-def: $vgpr251_vgpr252
                                        ; implicit-def: $vgpr1_vgpr2
                                        ; implicit-def: $vgpr135
                                        ; implicit-def: $vgpr139_vgpr140
                                        ; implicit-def: $vgpr161_vgpr162
	s_cbranch_execz .LBB38_146
; %bb.216:                              ;   in Loop: Header=BB38_147 Depth=1
	s_load_b32 s7, s[4:5], 0x0
	v_mov_b32_e32 v135, 0
	v_mov_b32_e32 v136, 0
	s_waitcnt lgkmcnt(0)
	s_cmp_lt_u32 s14, s7
	s_cselect_b32 s7, 12, 18
	s_delay_alu instid0(SALU_CYCLE_1)
	s_add_u32 s24, s4, s7
	s_addc_u32 s25, s5, 0
	global_load_u16 v1, v130, s[24:25]
	scratch_load_b32 v2, off, off offset:436 ; 4-byte Folded Reload
	s_mov_b32 s7, exec_lo
	s_waitcnt vmcnt(0)
	v_mad_u32_u24 v1, v129, v1, v2
	s_delay_alu instid0(VALU_DEP_1) | instskip(NEXT) | instid1(VALU_DEP_1)
	v_and_b32_e32 v1, 31, v1
	v_add_co_u32 v1, vcc_lo, v133, v1
	v_add_co_ci_u32_e32 v2, vcc_lo, 0, v134, vcc_lo
	v_dual_mov_b32 v133, v135 :: v_dual_mov_b32 v134, v136
	s_delay_alu instid0(VALU_DEP_2)
	v_cmpx_gt_i64_e64 s[16:17], v[1:2]
	s_cbranch_execz .LBB38_145
; %bb.217:                              ;   in Loop: Header=BB38_147 Depth=1
	v_lshlrev_b64 v[1:2], 3, v[1:2]
	s_delay_alu instid0(VALU_DEP_1) | instskip(NEXT) | instid1(VALU_DEP_2)
	v_add_co_u32 v3, vcc_lo, s8, v1
	v_add_co_ci_u32_e32 v4, vcc_lo, s9, v2, vcc_lo
	v_add_co_u32 v1, vcc_lo, s10, v1
	v_add_co_ci_u32_e32 v2, vcc_lo, s11, v2, vcc_lo
	global_load_b64 v[133:134], v[3:4], off
	global_load_b64 v[135:136], v[1:2], off
	s_branch .LBB38_145
.LBB38_218:
	scratch_load_b32 v0, off, off offset:600 ; 4-byte Folded Reload
.LBB38_219:
	s_mov_b32 s15, 0
	s_mov_b32 s3, exec_lo
	s_lshl_b64 s[4:5], s[14:15], 5
	s_waitcnt vmcnt(0)
	v_dual_mov_b32 v2, s5 :: v_dual_and_b32 v1, 0x3ff, v0
	s_delay_alu instid0(VALU_DEP_1) | instskip(NEXT) | instid1(VALU_DEP_1)
	v_or_b32_e32 v1, s4, v1
	v_cmpx_gt_i64_e64 s[18:19], v[1:2]
	s_cbranch_execz .LBB38_224
; %bb.220:
	s_clause 0x1
	s_load_b32 s3, s[0:1], 0x4c
	s_load_b128 s[4:7], s[0:1], 0x30
	v_bfe_u32 v3, v0, 10, 10
	v_mov_b32_e32 v4, 0
	v_lshlrev_b64 v[0:1], 3, v[1:2]
	s_waitcnt lgkmcnt(0)
	s_lshr_b32 s0, s3, 16
	s_cmp_eq_u64 s[4:5], 0
	v_mad_u64_u32 v[5:6], null, s0, s2, v[3:4]
	s_delay_alu instid0(VALU_DEP_1) | instskip(NEXT) | instid1(VALU_DEP_2)
	v_mul_lo_u32 v3, v6, s18
	v_mul_lo_u32 v4, v5, s19
	s_cbranch_scc1 .LBB38_222
; %bb.221:
	scratch_load_b64 v[8:9], off, off offset:8 ; 8-byte Folded Reload
	v_mad_u64_u32 v[6:7], null, v5, s18, 0
	s_delay_alu instid0(VALU_DEP_1) | instskip(NEXT) | instid1(VALU_DEP_1)
	v_add3_u32 v7, v7, v4, v3
	v_lshlrev_b64 v[6:7], 3, v[6:7]
	s_delay_alu instid0(VALU_DEP_1) | instskip(NEXT) | instid1(VALU_DEP_2)
	v_add_co_u32 v2, vcc_lo, s4, v6
	v_add_co_ci_u32_e32 v7, vcc_lo, s5, v7, vcc_lo
	s_delay_alu instid0(VALU_DEP_2) | instskip(NEXT) | instid1(VALU_DEP_2)
	v_add_co_u32 v6, vcc_lo, v2, v0
	v_add_co_ci_u32_e32 v7, vcc_lo, v7, v1, vcc_lo
	s_waitcnt vmcnt(0)
	global_store_b64 v[6:7], v[8:9], off
.LBB38_222:
	s_cmp_eq_u64 s[6:7], 0
	s_cbranch_scc1 .LBB38_224
; %bb.223:
	v_mad_u64_u32 v[6:7], null, v5, s18, 0
	s_delay_alu instid0(VALU_DEP_1) | instskip(NEXT) | instid1(VALU_DEP_1)
	v_add3_u32 v7, v7, v4, v3
	v_lshlrev_b64 v[2:3], 3, v[6:7]
	s_delay_alu instid0(VALU_DEP_1) | instskip(NEXT) | instid1(VALU_DEP_2)
	v_add_co_u32 v2, vcc_lo, s6, v2
	v_add_co_ci_u32_e32 v3, vcc_lo, s7, v3, vcc_lo
	s_delay_alu instid0(VALU_DEP_2) | instskip(NEXT) | instid1(VALU_DEP_2)
	v_add_co_u32 v0, vcc_lo, v2, v0
	v_add_co_ci_u32_e32 v1, vcc_lo, v3, v1, vcc_lo
	scratch_load_b64 v[2:3], off, off       ; 8-byte Folded Reload
	s_waitcnt vmcnt(0)
	global_store_b64 v[0:1], v[2:3], off
.LBB38_224:
	s_endpgm
	.section	.rodata,"a",@progbits
	.p2align	6, 0x0
	.amdhsa_kernel _ZN2at6native12_GLOBAL__N_135GammaBetaBackwardCUDAKernelTemplateIddLj32ELj1ELj32ELb1ELb0ELb0EEEvllPKT_S5_PKT0_S8_PS3_S9_
		.amdhsa_group_segment_fixed_size 0
		.amdhsa_private_segment_fixed_size 608
		.amdhsa_kernarg_size 320
		.amdhsa_user_sgpr_count 14
		.amdhsa_user_sgpr_dispatch_ptr 0
		.amdhsa_user_sgpr_queue_ptr 0
		.amdhsa_user_sgpr_kernarg_segment_ptr 1
		.amdhsa_user_sgpr_dispatch_id 0
		.amdhsa_user_sgpr_private_segment_size 0
		.amdhsa_wavefront_size32 1
		.amdhsa_uses_dynamic_stack 0
		.amdhsa_enable_private_segment 1
		.amdhsa_system_sgpr_workgroup_id_x 1
		.amdhsa_system_sgpr_workgroup_id_y 1
		.amdhsa_system_sgpr_workgroup_id_z 0
		.amdhsa_system_sgpr_workgroup_info 0
		.amdhsa_system_vgpr_workitem_id 1
		.amdhsa_next_free_vgpr 256
		.amdhsa_next_free_sgpr 32
		.amdhsa_reserve_vcc 1
		.amdhsa_float_round_mode_32 0
		.amdhsa_float_round_mode_16_64 0
		.amdhsa_float_denorm_mode_32 3
		.amdhsa_float_denorm_mode_16_64 3
		.amdhsa_dx10_clamp 1
		.amdhsa_ieee_mode 1
		.amdhsa_fp16_overflow 0
		.amdhsa_workgroup_processor_mode 1
		.amdhsa_memory_ordered 1
		.amdhsa_forward_progress 0
		.amdhsa_shared_vgpr_count 0
		.amdhsa_exception_fp_ieee_invalid_op 0
		.amdhsa_exception_fp_denorm_src 0
		.amdhsa_exception_fp_ieee_div_zero 0
		.amdhsa_exception_fp_ieee_overflow 0
		.amdhsa_exception_fp_ieee_underflow 0
		.amdhsa_exception_fp_ieee_inexact 0
		.amdhsa_exception_int_div_zero 0
	.end_amdhsa_kernel
	.section	.text._ZN2at6native12_GLOBAL__N_135GammaBetaBackwardCUDAKernelTemplateIddLj32ELj1ELj32ELb1ELb0ELb0EEEvllPKT_S5_PKT0_S8_PS3_S9_,"axG",@progbits,_ZN2at6native12_GLOBAL__N_135GammaBetaBackwardCUDAKernelTemplateIddLj32ELj1ELj32ELb1ELb0ELb0EEEvllPKT_S5_PKT0_S8_PS3_S9_,comdat
.Lfunc_end38:
	.size	_ZN2at6native12_GLOBAL__N_135GammaBetaBackwardCUDAKernelTemplateIddLj32ELj1ELj32ELb1ELb0ELb0EEEvllPKT_S5_PKT0_S8_PS3_S9_, .Lfunc_end38-_ZN2at6native12_GLOBAL__N_135GammaBetaBackwardCUDAKernelTemplateIddLj32ELj1ELj32ELb1ELb0ELb0EEEvllPKT_S5_PKT0_S8_PS3_S9_
                                        ; -- End function
	.section	.AMDGPU.csdata,"",@progbits
; Kernel info:
; codeLenInByte = 35728
; NumSgprs: 34
; NumVgprs: 256
; ScratchSize: 608
; MemoryBound: 0
; FloatMode: 240
; IeeeMode: 1
; LDSByteSize: 0 bytes/workgroup (compile time only)
; SGPRBlocks: 4
; VGPRBlocks: 31
; NumSGPRsForWavesPerEU: 34
; NumVGPRsForWavesPerEU: 256
; Occupancy: 5
; WaveLimiterHint : 0
; COMPUTE_PGM_RSRC2:SCRATCH_EN: 1
; COMPUTE_PGM_RSRC2:USER_SGPR: 14
; COMPUTE_PGM_RSRC2:TRAP_HANDLER: 0
; COMPUTE_PGM_RSRC2:TGID_X_EN: 1
; COMPUTE_PGM_RSRC2:TGID_Y_EN: 1
; COMPUTE_PGM_RSRC2:TGID_Z_EN: 0
; COMPUTE_PGM_RSRC2:TIDIG_COMP_CNT: 1
	.section	.text._ZN2at6native12_GLOBAL__N_135GammaBetaBackwardCUDAKernelTemplateIddLj32ELj1ELj8ELb1ELb1ELb0EEEvllPKT_S5_PKT0_S8_PS3_S9_,"axG",@progbits,_ZN2at6native12_GLOBAL__N_135GammaBetaBackwardCUDAKernelTemplateIddLj32ELj1ELj8ELb1ELb1ELb0EEEvllPKT_S5_PKT0_S8_PS3_S9_,comdat
	.globl	_ZN2at6native12_GLOBAL__N_135GammaBetaBackwardCUDAKernelTemplateIddLj32ELj1ELj8ELb1ELb1ELb0EEEvllPKT_S5_PKT0_S8_PS3_S9_ ; -- Begin function _ZN2at6native12_GLOBAL__N_135GammaBetaBackwardCUDAKernelTemplateIddLj32ELj1ELj8ELb1ELb1ELb0EEEvllPKT_S5_PKT0_S8_PS3_S9_
	.p2align	8
	.type	_ZN2at6native12_GLOBAL__N_135GammaBetaBackwardCUDAKernelTemplateIddLj32ELj1ELj8ELb1ELb1ELb0EEEvllPKT_S5_PKT0_S8_PS3_S9_,@function
_ZN2at6native12_GLOBAL__N_135GammaBetaBackwardCUDAKernelTemplateIddLj32ELj1ELj8ELb1ELb1ELb0EEEvllPKT_S5_PKT0_S8_PS3_S9_: ; @_ZN2at6native12_GLOBAL__N_135GammaBetaBackwardCUDAKernelTemplateIddLj32ELj1ELj8ELb1ELb1ELb0EEEvllPKT_S5_PKT0_S8_PS3_S9_
; %bb.0:
	s_load_b128 s[16:19], s[0:1], 0x0
	s_mov_b32 s13, 0
	s_lshl_b32 s12, s15, 3
	v_bfe_u32 v16, v0, 10, 10
	s_mov_b32 s2, s15
	s_waitcnt lgkmcnt(0)
	v_cmp_lt_i64_e64 s3, s[12:13], s[16:17]
	s_delay_alu instid0(VALU_DEP_1)
	s_and_b32 vcc_lo, exec_lo, s3
	s_cbranch_vccnz .LBB39_2
; %bb.1:
	v_bfe_u32 v1, v0, 10, 10
	s_add_u32 s24, s0, 64
	s_addc_u32 s25, s1, 0
	s_mov_b64 s[4:5], 0
	s_mov_b32 s3, s13
	s_branch .LBB39_3
.LBB39_2:
	s_mov_b32 s3, -1
                                        ; implicit-def: $sgpr4_sgpr5
                                        ; implicit-def: $sgpr24_sgpr25
                                        ; implicit-def: $vgpr1
.LBB39_3:
	s_load_b128 s[20:23], s[0:1], 0x30
	v_mov_b32_e32 v11, s5
	v_dual_mov_b32 v9, s5 :: v_dual_mov_b32 v8, s4
	v_dual_mov_b32 v10, s4 :: v_dual_and_b32 v17, 0x3ff, v0
	s_and_not1_b32 vcc_lo, exec_lo, s3
	s_cbranch_vccnz .LBB39_11
; %bb.4:
	s_clause 0x2
	s_load_b32 s3, s[0:1], 0x4c
	s_load_b32 s15, s[0:1], 0x44
	s_load_b256 s[4:11], s[0:1], 0x10
	v_dual_mov_b32 v1, 0 :: v_dual_lshlrev_b32 v0, 3, v16
	s_add_u32 s24, s0, 64
	s_addc_u32 s25, s1, 0
	v_dual_mov_b32 v18, 8 :: v_dual_mov_b32 v19, 4
	s_delay_alu instid0(VALU_DEP_2) | instskip(NEXT) | instid1(VALU_DEP_1)
	v_add_co_u32 v2, s0, v0, s12
	v_add_co_ci_u32_e64 v3, null, 0, 0, s0
	v_lshl_add_u32 v0, s14, 5, v17
	s_delay_alu instid0(VALU_DEP_3) | instskip(SKIP_1) | instid1(VALU_DEP_4)
	v_mul_lo_u32 v6, s19, v2
	v_mad_u64_u32 v[4:5], null, s18, v2, 0
	v_mul_lo_u32 v7, s18, v3
	v_dual_mov_b32 v20, 12 :: v_dual_mov_b32 v21, 16
	s_waitcnt lgkmcnt(0)
	s_and_b32 s0, s3, 0xffff
	s_lshl_b32 s26, s15, 3
	v_mad_u32_u24 v8, v16, s0, v17
	s_mul_i32 s1, s19, s26
	s_mul_hi_u32 s3, s18, s26
	v_add3_u32 v5, v5, v7, v6
	v_mov_b32_e32 v6, 0
	v_dual_mov_b32 v7, 0 :: v_dual_and_b32 v12, 31, v8
	v_lshlrev_b64 v[8:9], 3, v[0:1]
	s_delay_alu instid0(VALU_DEP_4) | instskip(SKIP_1) | instid1(VALU_DEP_4)
	v_lshlrev_b64 v[10:11], 3, v[4:5]
	v_mov_b32_e32 v24, 28
	v_add_co_u32 v2, vcc_lo, v2, v12
	v_add_co_ci_u32_e32 v3, vcc_lo, 0, v3, vcc_lo
	s_delay_alu instid0(VALU_DEP_4) | instskip(SKIP_2) | instid1(VALU_DEP_4)
	v_add_co_u32 v0, vcc_lo, v10, v8
	v_add_co_ci_u32_e32 v25, vcc_lo, v11, v9, vcc_lo
	v_mov_b32_e32 v11, v7
	v_lshlrev_b64 v[4:5], 3, v[2:3]
	v_dual_mov_b32 v10, v6 :: v_dual_mov_b32 v9, v7
	v_dual_mov_b32 v22, 20 :: v_dual_mov_b32 v23, 24
	v_cmp_gt_u32_e64 s0, 8, v12
	v_mov_b32_e32 v8, v6
	s_mov_b32 s27, 0
	s_add_i32 s31, s3, s1
	s_mul_i32 s30, s18, s26
	s_lshl_b64 s[28:29], s[26:27], 3
	s_lshl_b64 s[30:31], s[30:31], 3
	;; [unrolled: 1-line block ×3, first 2 shown]
	s_branch .LBB39_7
.LBB39_5:                               ;   in Loop: Header=BB39_7 Depth=1
	s_or_b32 exec_lo, exec_lo, s3
.LBB39_6:                               ;   in Loop: Header=BB39_7 Depth=1
	s_delay_alu instid0(SALU_CYCLE_1)
	s_or_b32 exec_lo, exec_lo, s1
	v_add_co_u32 v26, vcc_lo, s6, v0
	v_add_co_ci_u32_e32 v27, vcc_lo, s7, v25, vcc_lo
	s_waitcnt vmcnt(1)
	ds_bpermute_b32 v58, v1, v14
	ds_bpermute_b32 v59, v1, v15
	s_waitcnt vmcnt(0)
	ds_bpermute_b32 v60, v1, v12
	global_load_b64 v[28:29], v[26:27], off
	v_add_co_u32 v26, vcc_lo, v26, s34
	v_add_co_ci_u32_e32 v27, vcc_lo, s35, v27, vcc_lo
	v_add_co_u32 v30, vcc_lo, s4, v0
	v_add_co_ci_u32_e32 v31, vcc_lo, s5, v25, vcc_lo
	global_load_b64 v[32:33], v[26:27], off
	global_load_b64 v[34:35], v[30:31], off
	v_add_co_u32 v26, vcc_lo, v26, s34
	v_add_co_ci_u32_e32 v27, vcc_lo, s35, v27, vcc_lo
	v_add_co_u32 v30, vcc_lo, v30, s34
	v_add_co_ci_u32_e32 v31, vcc_lo, s35, v31, vcc_lo
	global_load_b64 v[36:37], v[26:27], off
	global_load_b64 v[38:39], v[30:31], off
	v_add_co_u32 v26, vcc_lo, v26, s34
	v_add_co_ci_u32_e32 v27, vcc_lo, s35, v27, vcc_lo
	v_add_co_u32 v30, vcc_lo, v30, s34
	v_add_co_ci_u32_e32 v31, vcc_lo, s35, v31, vcc_lo
	global_load_b64 v[40:41], v[26:27], off
	global_load_b64 v[42:43], v[30:31], off
	v_add_co_u32 v26, vcc_lo, v26, s34
	v_add_co_ci_u32_e32 v27, vcc_lo, s35, v27, vcc_lo
	v_add_co_u32 v30, vcc_lo, v30, s34
	v_add_co_ci_u32_e32 v31, vcc_lo, s35, v31, vcc_lo
	global_load_b64 v[44:45], v[26:27], off
	global_load_b64 v[46:47], v[30:31], off
	v_add_co_u32 v26, vcc_lo, v26, s34
	v_add_co_ci_u32_e32 v27, vcc_lo, s35, v27, vcc_lo
	v_add_co_u32 v30, vcc_lo, v30, s34
	v_add_co_ci_u32_e32 v31, vcc_lo, s35, v31, vcc_lo
	global_load_b64 v[48:49], v[26:27], off
	global_load_b64 v[50:51], v[30:31], off
	v_add_co_u32 v26, vcc_lo, v26, s34
	v_add_co_ci_u32_e32 v27, vcc_lo, s35, v27, vcc_lo
	v_add_co_u32 v30, vcc_lo, v30, s34
	v_add_co_ci_u32_e32 v31, vcc_lo, s35, v31, vcc_lo
	global_load_b64 v[52:53], v[26:27], off
	global_load_b64 v[54:55], v[30:31], off
	v_add_co_u32 v26, vcc_lo, v26, s34
	v_add_co_ci_u32_e32 v27, vcc_lo, s35, v27, vcc_lo
	v_add_co_u32 v30, vcc_lo, v30, s34
	v_add_co_ci_u32_e32 v31, vcc_lo, s35, v31, vcc_lo
	global_load_b64 v[26:27], v[26:27], off
	global_load_b64 v[56:57], v[30:31], off
	v_add_co_u32 v30, vcc_lo, v30, s34
	v_add_co_ci_u32_e32 v31, vcc_lo, s35, v31, vcc_lo
	ds_bpermute_b32 v61, v1, v13
	v_add_co_u32 v4, vcc_lo, v4, s28
	global_load_b64 v[30:31], v[30:31], off
	s_add_u32 s12, s12, s26
	v_add_co_ci_u32_e32 v5, vcc_lo, s29, v5, vcc_lo
	s_addc_u32 s13, s13, 0
	v_add_co_u32 v2, vcc_lo, v2, s26
	v_cmp_lt_i64_e64 s1, s[12:13], s[16:17]
	v_add_co_ci_u32_e32 v3, vcc_lo, 0, v3, vcc_lo
	v_add_co_u32 v0, vcc_lo, v0, s30
	v_add_co_ci_u32_e32 v25, vcc_lo, s31, v25, vcc_lo
	s_delay_alu instid0(VALU_DEP_4)
	s_and_b32 vcc_lo, exec_lo, s1
	s_waitcnt vmcnt(15) lgkmcnt(2)
	v_add_f64 v[28:29], v[28:29], -v[58:59]
	ds_bpermute_b32 v58, v19, v14
	ds_bpermute_b32 v59, v19, v15
	s_waitcnt vmcnt(13)
	v_add_f64 v[8:9], v[8:9], v[34:35]
	s_waitcnt lgkmcnt(0)
	v_add_f64 v[32:33], v[32:33], -v[58:59]
	ds_bpermute_b32 v58, v18, v14
	ds_bpermute_b32 v59, v18, v15
	v_mul_f64 v[28:29], v[34:35], v[28:29]
	ds_bpermute_b32 v34, v19, v12
	ds_bpermute_b32 v35, v19, v13
	s_waitcnt vmcnt(12) lgkmcnt(2)
	v_add_f64 v[36:37], v[36:37], -v[58:59]
	s_waitcnt vmcnt(11)
	v_add_f64 v[8:9], v[8:9], v[38:39]
	v_mul_f64 v[32:33], v[38:39], v[32:33]
	v_fma_f64 v[10:11], v[28:29], v[60:61], v[10:11]
	ds_bpermute_b32 v28, v20, v14
	ds_bpermute_b32 v29, v20, v15
	s_waitcnt vmcnt(9)
	v_mul_f64 v[36:37], v[42:43], v[36:37]
	v_add_f64 v[8:9], v[8:9], v[42:43]
	s_waitcnt lgkmcnt(0)
	v_add_f64 v[28:29], v[40:41], -v[28:29]
	v_fma_f64 v[10:11], v[32:33], v[34:35], v[10:11]
	ds_bpermute_b32 v32, v21, v14
	ds_bpermute_b32 v33, v21, v15
	;; [unrolled: 1-line block ×4, first 2 shown]
	s_waitcnt vmcnt(7)
	v_add_f64 v[8:9], v[8:9], v[46:47]
	s_waitcnt lgkmcnt(2)
	v_add_f64 v[32:33], v[44:45], -v[32:33]
	v_mul_f64 v[28:29], v[46:47], v[28:29]
	s_waitcnt lgkmcnt(0)
	v_fma_f64 v[10:11], v[36:37], v[34:35], v[10:11]
	ds_bpermute_b32 v34, v22, v14
	ds_bpermute_b32 v35, v22, v15
	;; [unrolled: 1-line block ×4, first 2 shown]
	s_waitcnt vmcnt(5)
	v_add_f64 v[8:9], v[8:9], v[50:51]
	s_waitcnt lgkmcnt(2)
	v_add_f64 v[34:35], v[48:49], -v[34:35]
	v_mul_f64 v[32:33], v[50:51], v[32:33]
	s_waitcnt lgkmcnt(0)
	v_fma_f64 v[10:11], v[28:29], v[36:37], v[10:11]
	ds_bpermute_b32 v28, v23, v14
	ds_bpermute_b32 v29, v23, v15
	;; [unrolled: 1-line block ×6, first 2 shown]
	s_waitcnt vmcnt(3)
	v_add_f64 v[8:9], v[8:9], v[54:55]
	s_waitcnt lgkmcnt(4)
	v_add_f64 v[28:29], v[52:53], -v[28:29]
	v_mul_f64 v[34:35], v[54:55], v[34:35]
	s_waitcnt vmcnt(2) lgkmcnt(0)
	v_add_f64 v[14:15], v[26:27], -v[14:15]
	v_fma_f64 v[10:11], v[32:33], v[36:37], v[10:11]
	ds_bpermute_b32 v32, v22, v12
	ds_bpermute_b32 v33, v22, v13
	s_waitcnt vmcnt(1)
	v_add_f64 v[8:9], v[8:9], v[56:57]
	v_mul_f64 v[26:27], v[56:57], v[28:29]
	ds_bpermute_b32 v28, v23, v12
	ds_bpermute_b32 v29, v23, v13
	ds_bpermute_b32 v12, v24, v12
	s_waitcnt vmcnt(0)
	v_mul_f64 v[14:15], v[30:31], v[14:15]
	ds_bpermute_b32 v13, v24, v13
	s_waitcnt lgkmcnt(4)
	v_fma_f64 v[10:11], v[34:35], v[32:33], v[10:11]
	v_add_f64 v[8:9], v[8:9], v[30:31]
	s_waitcnt lgkmcnt(2)
	s_delay_alu instid0(VALU_DEP_2) | instskip(SKIP_1) | instid1(VALU_DEP_1)
	v_fma_f64 v[10:11], v[26:27], v[28:29], v[10:11]
	s_waitcnt lgkmcnt(0)
	v_fma_f64 v[10:11], v[14:15], v[12:13], v[10:11]
	s_cbranch_vccz .LBB39_10
.LBB39_7:                               ; =>This Inner Loop Header: Depth=1
	v_dual_mov_b32 v13, v7 :: v_dual_mov_b32 v12, v6
	v_dual_mov_b32 v15, v7 :: v_dual_mov_b32 v14, v6
	s_and_saveexec_b32 s1, s0
	s_cbranch_execz .LBB39_6
; %bb.8:                                ;   in Loop: Header=BB39_7 Depth=1
	v_mov_b32_e32 v14, 0
	v_mov_b32_e32 v15, 0
	s_delay_alu instid0(VALU_DEP_2) | instskip(SKIP_1) | instid1(VALU_DEP_2)
	v_mov_b32_e32 v12, v14
	s_mov_b32 s3, exec_lo
	v_mov_b32_e32 v13, v15
	v_cmpx_gt_i64_e64 s[16:17], v[2:3]
	s_cbranch_execz .LBB39_5
; %bb.9:                                ;   in Loop: Header=BB39_7 Depth=1
	v_add_co_u32 v12, vcc_lo, s8, v4
	v_add_co_ci_u32_e32 v13, vcc_lo, s9, v5, vcc_lo
	v_add_co_u32 v26, vcc_lo, s10, v4
	v_add_co_ci_u32_e32 v27, vcc_lo, s11, v5, vcc_lo
	global_load_b64 v[14:15], v[12:13], off
	global_load_b64 v[12:13], v[26:27], off
	s_branch .LBB39_5
.LBB39_10:
	v_mov_b32_e32 v1, v16
.LBB39_11:
	s_load_b32 s0, s[24:25], 0xc
	v_mov_b32_e32 v2, 0
	s_mov_b32 s15, 0
	s_waitcnt lgkmcnt(0)
	s_lshr_b32 s0, s0, 16
	s_delay_alu instid0(VALU_DEP_1) | instid1(SALU_CYCLE_1)
	v_mad_u64_u32 v[3:4], null, s0, s2, v[1:2]
	s_lshl_b64 s[0:1], s[14:15], 5
	s_cmp_eq_u64 s[20:21], 0
	v_add_co_u32 v0, s0, s0, v17
	s_delay_alu instid0(VALU_DEP_1) | instskip(NEXT) | instid1(VALU_DEP_3)
	v_add_co_ci_u32_e64 v1, null, s1, 0, s0
	v_mul_lo_u32 v2, v4, s18
	s_delay_alu instid0(VALU_DEP_4) | instskip(NEXT) | instid1(VALU_DEP_3)
	v_mul_lo_u32 v4, v3, s19
	v_lshlrev_b64 v[0:1], 3, v[0:1]
	s_cbranch_scc1 .LBB39_13
; %bb.12:
	v_mad_u64_u32 v[5:6], null, v3, s18, 0
	s_delay_alu instid0(VALU_DEP_1) | instskip(NEXT) | instid1(VALU_DEP_1)
	v_add3_u32 v6, v6, v4, v2
	v_lshlrev_b64 v[5:6], 3, v[5:6]
	s_delay_alu instid0(VALU_DEP_1) | instskip(NEXT) | instid1(VALU_DEP_2)
	v_add_co_u32 v5, vcc_lo, s20, v5
	v_add_co_ci_u32_e32 v6, vcc_lo, s21, v6, vcc_lo
	s_delay_alu instid0(VALU_DEP_2) | instskip(NEXT) | instid1(VALU_DEP_2)
	v_add_co_u32 v5, vcc_lo, v5, v0
	v_add_co_ci_u32_e32 v6, vcc_lo, v6, v1, vcc_lo
	global_store_b64 v[5:6], v[10:11], off
.LBB39_13:
	s_cmp_eq_u64 s[22:23], 0
	s_cbranch_scc1 .LBB39_15
; %bb.14:
	v_mad_u64_u32 v[5:6], null, v3, s18, 0
	s_delay_alu instid0(VALU_DEP_1) | instskip(NEXT) | instid1(VALU_DEP_1)
	v_add3_u32 v6, v6, v4, v2
	v_lshlrev_b64 v[2:3], 3, v[5:6]
	s_delay_alu instid0(VALU_DEP_1) | instskip(NEXT) | instid1(VALU_DEP_2)
	v_add_co_u32 v2, vcc_lo, s22, v2
	v_add_co_ci_u32_e32 v3, vcc_lo, s23, v3, vcc_lo
	s_delay_alu instid0(VALU_DEP_2) | instskip(NEXT) | instid1(VALU_DEP_2)
	v_add_co_u32 v0, vcc_lo, v2, v0
	v_add_co_ci_u32_e32 v1, vcc_lo, v3, v1, vcc_lo
	global_store_b64 v[0:1], v[8:9], off
.LBB39_15:
	s_nop 0
	s_sendmsg sendmsg(MSG_DEALLOC_VGPRS)
	s_endpgm
	.section	.rodata,"a",@progbits
	.p2align	6, 0x0
	.amdhsa_kernel _ZN2at6native12_GLOBAL__N_135GammaBetaBackwardCUDAKernelTemplateIddLj32ELj1ELj8ELb1ELb1ELb0EEEvllPKT_S5_PKT0_S8_PS3_S9_
		.amdhsa_group_segment_fixed_size 0
		.amdhsa_private_segment_fixed_size 0
		.amdhsa_kernarg_size 320
		.amdhsa_user_sgpr_count 14
		.amdhsa_user_sgpr_dispatch_ptr 0
		.amdhsa_user_sgpr_queue_ptr 0
		.amdhsa_user_sgpr_kernarg_segment_ptr 1
		.amdhsa_user_sgpr_dispatch_id 0
		.amdhsa_user_sgpr_private_segment_size 0
		.amdhsa_wavefront_size32 1
		.amdhsa_uses_dynamic_stack 0
		.amdhsa_enable_private_segment 0
		.amdhsa_system_sgpr_workgroup_id_x 1
		.amdhsa_system_sgpr_workgroup_id_y 1
		.amdhsa_system_sgpr_workgroup_id_z 0
		.amdhsa_system_sgpr_workgroup_info 0
		.amdhsa_system_vgpr_workitem_id 1
		.amdhsa_next_free_vgpr 62
		.amdhsa_next_free_sgpr 36
		.amdhsa_reserve_vcc 1
		.amdhsa_float_round_mode_32 0
		.amdhsa_float_round_mode_16_64 0
		.amdhsa_float_denorm_mode_32 3
		.amdhsa_float_denorm_mode_16_64 3
		.amdhsa_dx10_clamp 1
		.amdhsa_ieee_mode 1
		.amdhsa_fp16_overflow 0
		.amdhsa_workgroup_processor_mode 1
		.amdhsa_memory_ordered 1
		.amdhsa_forward_progress 0
		.amdhsa_shared_vgpr_count 0
		.amdhsa_exception_fp_ieee_invalid_op 0
		.amdhsa_exception_fp_denorm_src 0
		.amdhsa_exception_fp_ieee_div_zero 0
		.amdhsa_exception_fp_ieee_overflow 0
		.amdhsa_exception_fp_ieee_underflow 0
		.amdhsa_exception_fp_ieee_inexact 0
		.amdhsa_exception_int_div_zero 0
	.end_amdhsa_kernel
	.section	.text._ZN2at6native12_GLOBAL__N_135GammaBetaBackwardCUDAKernelTemplateIddLj32ELj1ELj8ELb1ELb1ELb0EEEvllPKT_S5_PKT0_S8_PS3_S9_,"axG",@progbits,_ZN2at6native12_GLOBAL__N_135GammaBetaBackwardCUDAKernelTemplateIddLj32ELj1ELj8ELb1ELb1ELb0EEEvllPKT_S5_PKT0_S8_PS3_S9_,comdat
.Lfunc_end39:
	.size	_ZN2at6native12_GLOBAL__N_135GammaBetaBackwardCUDAKernelTemplateIddLj32ELj1ELj8ELb1ELb1ELb0EEEvllPKT_S5_PKT0_S8_PS3_S9_, .Lfunc_end39-_ZN2at6native12_GLOBAL__N_135GammaBetaBackwardCUDAKernelTemplateIddLj32ELj1ELj8ELb1ELb1ELb0EEEvllPKT_S5_PKT0_S8_PS3_S9_
                                        ; -- End function
	.section	.AMDGPU.csdata,"",@progbits
; Kernel info:
; codeLenInByte = 1776
; NumSgprs: 38
; NumVgprs: 62
; ScratchSize: 0
; MemoryBound: 0
; FloatMode: 240
; IeeeMode: 1
; LDSByteSize: 0 bytes/workgroup (compile time only)
; SGPRBlocks: 4
; VGPRBlocks: 7
; NumSGPRsForWavesPerEU: 38
; NumVGPRsForWavesPerEU: 62
; Occupancy: 16
; WaveLimiterHint : 0
; COMPUTE_PGM_RSRC2:SCRATCH_EN: 0
; COMPUTE_PGM_RSRC2:USER_SGPR: 14
; COMPUTE_PGM_RSRC2:TRAP_HANDLER: 0
; COMPUTE_PGM_RSRC2:TGID_X_EN: 1
; COMPUTE_PGM_RSRC2:TGID_Y_EN: 1
; COMPUTE_PGM_RSRC2:TGID_Z_EN: 0
; COMPUTE_PGM_RSRC2:TIDIG_COMP_CNT: 1
	.section	.text._ZN2at6native12_GLOBAL__N_135GammaBetaBackwardCUDAKernelTemplateIddLj32ELj1ELj8ELb1ELb0ELb0EEEvllPKT_S5_PKT0_S8_PS3_S9_,"axG",@progbits,_ZN2at6native12_GLOBAL__N_135GammaBetaBackwardCUDAKernelTemplateIddLj32ELj1ELj8ELb1ELb0ELb0EEEvllPKT_S5_PKT0_S8_PS3_S9_,comdat
	.globl	_ZN2at6native12_GLOBAL__N_135GammaBetaBackwardCUDAKernelTemplateIddLj32ELj1ELj8ELb1ELb0ELb0EEEvllPKT_S5_PKT0_S8_PS3_S9_ ; -- Begin function _ZN2at6native12_GLOBAL__N_135GammaBetaBackwardCUDAKernelTemplateIddLj32ELj1ELj8ELb1ELb0ELb0EEEvllPKT_S5_PKT0_S8_PS3_S9_
	.p2align	8
	.type	_ZN2at6native12_GLOBAL__N_135GammaBetaBackwardCUDAKernelTemplateIddLj32ELj1ELj8ELb1ELb0ELb0EEEvllPKT_S5_PKT0_S8_PS3_S9_,@function
_ZN2at6native12_GLOBAL__N_135GammaBetaBackwardCUDAKernelTemplateIddLj32ELj1ELj8ELb1ELb0ELb0EEEvllPKT_S5_PKT0_S8_PS3_S9_: ; @_ZN2at6native12_GLOBAL__N_135GammaBetaBackwardCUDAKernelTemplateIddLj32ELj1ELj8ELb1ELb0ELb0EEEvllPKT_S5_PKT0_S8_PS3_S9_
; %bb.0:
	s_clause 0x1
	s_load_b256 s[36:43], s[0:1], 0x0
	s_load_b128 s[8:11], s[0:1], 0x20
	s_mov_b32 s2, s15
	s_lshl_b32 s15, s14, 5
	s_mov_b32 s7, 0
	s_or_b32 s6, s15, 31
	s_waitcnt lgkmcnt(0)
	v_cmp_ge_i64_e64 s3, s[6:7], s[38:39]
	s_lshl_b32 s6, s2, 3
	s_delay_alu instid0(SALU_CYCLE_1) | instskip(NEXT) | instid1(VALU_DEP_2)
	v_cmp_lt_i64_e64 s33, s[6:7], s[36:37]
	s_and_b32 vcc_lo, exec_lo, s3
	s_delay_alu instid0(VALU_DEP_1) | instskip(NEXT) | instid1(VALU_DEP_1)
	v_cndmask_b32_e64 v1, 0, 1, s33
	v_cmp_ne_u32_e64 s3, 1, v1
	s_cbranch_vccz .LBB40_48
; %bb.1:
	v_mov_b32_e32 v51, 0
	v_mov_b32_e32 v52, 0
	s_delay_alu instid0(VALU_DEP_2) | instskip(SKIP_1) | instid1(VALU_DEP_2)
	v_mov_b32_e32 v49, v51
	s_and_b32 vcc_lo, exec_lo, s3
	v_mov_b32_e32 v50, v52
	s_cbranch_vccnz .LBB40_49
; %bb.2:
	v_bfe_u32 v61, v0, 10, 10
	s_load_b32 s4, s[0:1], 0x44
	s_add_u32 s12, s0, 64
	s_addc_u32 s13, s1, 0
	s_mov_b32 s16, 0
	v_dual_mov_b32 v3, 0 :: v_dual_lshlrev_b32 v62, 3, v61
	v_and_b32_e32 v63, 0x3ff, v0
	s_mov_b64 s[44:45], s[6:7]
	v_mov_b32_e32 v49, 0
	s_delay_alu instid0(VALU_DEP_3) | instskip(SKIP_2) | instid1(VALU_DEP_3)
	v_add_co_u32 v8, s3, v62, s6
	v_mov_b32_e32 v64, v3
	v_add_co_ci_u32_e64 v9, null, 0, 0, s3
	v_add_co_u32 v1, vcc_lo, v8, 7
	v_add_nc_u32_e32 v2, s15, v63
	s_delay_alu instid0(VALU_DEP_3) | instskip(NEXT) | instid1(VALU_DEP_3)
	v_add_co_ci_u32_e32 v4, vcc_lo, 0, v9, vcc_lo
	v_mul_lo_u32 v6, s39, v1
	v_add_co_u32 v10, vcc_lo, v8, 6
	s_delay_alu instid0(VALU_DEP_3)
	v_mul_lo_u32 v7, s38, v4
	v_mad_u64_u32 v[4:5], null, s38, v1, 0
	v_add_co_ci_u32_e32 v1, vcc_lo, 0, v9, vcc_lo
	v_cmp_gt_i64_e64 s3, s[38:39], v[2:3]
	v_lshlrev_b64 v[53:54], 3, v[2:3]
	s_waitcnt lgkmcnt(0)
	s_lshl_b32 s46, s4, 3
	v_mov_b32_e32 v50, 0
	v_add3_u32 v5, v5, v7, v6
	v_mul_lo_u32 v6, s39, v10
	v_mul_lo_u32 v7, s38, v1
	s_mul_i32 s4, s39, s46
	s_mul_hi_u32 s5, s38, s46
	v_lshlrev_b64 v[1:2], 3, v[4:5]
	v_mad_u64_u32 v[4:5], null, s38, v10, 0
	s_add_i32 s19, s5, s4
	v_dual_mov_b32 v52, v50 :: v_dual_mov_b32 v51, v49
	s_delay_alu instid0(VALU_DEP_3) | instskip(NEXT) | instid1(VALU_DEP_4)
	v_add_co_u32 v65, vcc_lo, s40, v1
	v_add_co_ci_u32_e32 v66, vcc_lo, s41, v2, vcc_lo
	s_delay_alu instid0(VALU_DEP_4) | instskip(SKIP_2) | instid1(VALU_DEP_1)
	v_add3_u32 v5, v5, v7, v6
	v_add_co_u32 v6, vcc_lo, v8, 5
	v_add_co_u32 v67, s4, s42, v1
	v_add_co_ci_u32_e64 v68, s4, s43, v2, s4
	s_delay_alu instid0(VALU_DEP_4) | instskip(SKIP_3) | instid1(VALU_DEP_3)
	v_lshlrev_b64 v[1:2], 3, v[4:5]
	v_add_co_ci_u32_e32 v4, vcc_lo, 0, v9, vcc_lo
	v_add_co_u32 v11, vcc_lo, v8, 4
	v_mul_lo_u32 v10, s39, v6
	v_mul_lo_u32 v12, s38, v4
	v_mad_u64_u32 v[4:5], null, s38, v6, 0
	v_add_co_ci_u32_e32 v7, vcc_lo, 0, v9, vcc_lo
	v_mul_lo_u32 v13, s39, v11
	v_add_co_u32 v69, vcc_lo, s40, v1
	s_delay_alu instid0(VALU_DEP_3)
	v_mul_lo_u32 v14, s38, v7
	v_mad_u64_u32 v[6:7], null, s38, v11, 0
	v_add3_u32 v5, v5, v12, v10
	v_add_co_ci_u32_e32 v70, vcc_lo, s41, v2, vcc_lo
	v_add_co_u32 v71, vcc_lo, s42, v1
	v_add_co_ci_u32_e32 v72, vcc_lo, s43, v2, vcc_lo
	s_delay_alu instid0(VALU_DEP_4) | instskip(SKIP_3) | instid1(VALU_DEP_4)
	v_lshlrev_b64 v[1:2], 3, v[4:5]
	v_add3_u32 v7, v7, v14, v13
	v_add_co_u32 v10, vcc_lo, v8, 3
	v_add_co_ci_u32_e32 v11, vcc_lo, 0, v9, vcc_lo
	v_add_co_u32 v73, vcc_lo, s40, v1
	s_delay_alu instid0(VALU_DEP_4)
	v_lshlrev_b64 v[4:5], 3, v[6:7]
	v_add_co_ci_u32_e32 v74, vcc_lo, s41, v2, vcc_lo
	v_mul_lo_u32 v12, s39, v10
	v_mul_lo_u32 v11, s38, v11
	v_mad_u64_u32 v[6:7], null, s38, v10, 0
	v_add_co_u32 v75, vcc_lo, s42, v1
	v_add_co_ci_u32_e32 v76, vcc_lo, s43, v2, vcc_lo
	v_add_co_u32 v77, vcc_lo, s40, v4
	v_add_co_ci_u32_e32 v78, vcc_lo, s41, v5, vcc_lo
	v_add_co_u32 v10, vcc_lo, v8, 2
	v_add3_u32 v7, v7, v11, v12
	v_add_co_ci_u32_e32 v11, vcc_lo, 0, v9, vcc_lo
	v_add_co_u32 v79, vcc_lo, s42, v4
	v_add_co_ci_u32_e32 v80, vcc_lo, s43, v5, vcc_lo
	v_mul_lo_u32 v12, s39, v10
	s_delay_alu instid0(VALU_DEP_4)
	v_mul_lo_u32 v11, s38, v11
	v_mad_u64_u32 v[4:5], null, s38, v10, 0
	v_lshlrev_b64 v[1:2], 3, v[6:7]
	v_mul_lo_u32 v10, s39, v8
	v_mul_lo_u32 v9, s38, v9
	v_mad_u64_u32 v[6:7], null, s38, v8, 0
	s_mul_i32 s18, s38, s46
	s_delay_alu instid0(VALU_DEP_4)
	v_add_co_u32 v81, vcc_lo, s40, v1
	v_add3_u32 v5, v5, v11, v12
	v_add_co_ci_u32_e32 v82, vcc_lo, s41, v2, vcc_lo
	v_add_co_u32 v83, vcc_lo, s42, v1
	v_add3_u32 v7, v7, v9, v10
	v_add_co_ci_u32_e32 v84, vcc_lo, s43, v2, vcc_lo
	v_lshlrev_b64 v[1:2], 3, v[4:5]
	v_add_co_u32 v4, vcc_lo, v6, s38
	s_delay_alu instid0(VALU_DEP_4) | instskip(SKIP_1) | instid1(VALU_DEP_3)
	v_add_co_ci_u32_e32 v5, vcc_lo, s39, v7, vcc_lo
	s_mov_b64 s[4:5], 7
	v_add_co_u32 v85, vcc_lo, s40, v1
	s_delay_alu instid0(VALU_DEP_2) | instskip(SKIP_3) | instid1(VALU_DEP_4)
	v_lshlrev_b64 v[4:5], 3, v[4:5]
	v_add_co_ci_u32_e32 v86, vcc_lo, s41, v2, vcc_lo
	v_add_co_u32 v87, vcc_lo, s42, v1
	v_add_co_ci_u32_e32 v88, vcc_lo, s43, v2, vcc_lo
	v_add_co_u32 v89, vcc_lo, s40, v4
	v_lshlrev_b64 v[1:2], 3, v[6:7]
	v_add_co_ci_u32_e32 v90, vcc_lo, s41, v5, vcc_lo
	v_add_co_u32 v91, vcc_lo, s42, v4
	v_add_co_ci_u32_e32 v92, vcc_lo, s43, v5, vcc_lo
	s_delay_alu instid0(VALU_DEP_4)
	v_add_co_u32 v93, vcc_lo, s40, v1
	v_add_co_ci_u32_e32 v94, vcc_lo, s41, v2, vcc_lo
	v_add_co_u32 v95, vcc_lo, s42, v1
	v_add_co_ci_u32_e32 v96, vcc_lo, s43, v2, vcc_lo
	s_lshl_b64 s[34:35], s[18:19], 3
	s_branch .LBB40_5
.LBB40_3:                               ;   in Loop: Header=BB40_5 Depth=1
	s_or_b32 exec_lo, exec_lo, s17
	s_waitcnt vmcnt(1)
	ds_bpermute_b32 v1, v3, v57
	ds_bpermute_b32 v2, v3, v58
	ds_bpermute_b32 v4, v3, v57 offset:4
	ds_bpermute_b32 v5, v3, v58 offset:4
	;; [unrolled: 1-line block ×4, first 2 shown]
	s_waitcnt vmcnt(0)
	ds_bpermute_b32 v8, v3, v59
	ds_bpermute_b32 v9, v3, v60
	ds_bpermute_b32 v10, v3, v57 offset:12
	ds_bpermute_b32 v11, v3, v58 offset:12
	;; [unrolled: 1-line block ×4, first 2 shown]
	s_waitcnt lgkmcnt(10)
	v_add_f64 v[1:2], v[17:18], -v[1:2]
	s_waitcnt lgkmcnt(8)
	v_add_f64 v[4:5], v[19:20], -v[4:5]
	;; [unrolled: 2-line block ×4, first 2 shown]
	s_delay_alu instid0(VALU_DEP_4) | instskip(NEXT) | instid1(VALU_DEP_4)
	v_mul_f64 v[1:2], v[33:34], v[1:2]
	v_mul_f64 v[4:5], v[35:36], v[4:5]
	s_delay_alu instid0(VALU_DEP_4) | instskip(NEXT) | instid1(VALU_DEP_4)
	v_mul_f64 v[6:7], v[37:38], v[6:7]
	v_mul_f64 v[10:11], v[39:40], v[10:11]
	s_delay_alu instid0(VALU_DEP_4) | instskip(SKIP_2) | instid1(VALU_DEP_2)
	v_fma_f64 v[1:2], v[1:2], v[8:9], v[49:50]
	v_add_f64 v[8:9], v[51:52], v[33:34]
	s_waitcnt lgkmcnt(0)
	v_fma_f64 v[1:2], v[4:5], v[12:13], v[1:2]
	s_delay_alu instid0(VALU_DEP_2)
	v_add_f64 v[4:5], v[35:36], v[8:9]
	ds_bpermute_b32 v8, v3, v57 offset:16
	ds_bpermute_b32 v9, v3, v58 offset:16
	;; [unrolled: 1-line block ×4, first 2 shown]
	s_waitcnt lgkmcnt(2)
	v_add_f64 v[8:9], v[25:26], -v[8:9]
	s_waitcnt lgkmcnt(0)
	v_fma_f64 v[1:2], v[6:7], v[12:13], v[1:2]
	v_add_f64 v[4:5], v[37:38], v[4:5]
	ds_bpermute_b32 v6, v3, v57 offset:20
	ds_bpermute_b32 v7, v3, v58 offset:20
	;; [unrolled: 1-line block ×4, first 2 shown]
	s_waitcnt lgkmcnt(2)
	v_add_f64 v[6:7], v[27:28], -v[6:7]
	v_mul_f64 v[8:9], v[41:42], v[8:9]
	s_waitcnt lgkmcnt(0)
	v_fma_f64 v[1:2], v[10:11], v[12:13], v[1:2]
	v_add_f64 v[4:5], v[39:40], v[4:5]
	ds_bpermute_b32 v10, v3, v57 offset:24
	ds_bpermute_b32 v11, v3, v58 offset:24
	;; [unrolled: 1-line block ×4, first 2 shown]
	s_waitcnt lgkmcnt(2)
	v_add_f64 v[10:11], v[29:30], -v[10:11]
	v_mul_f64 v[6:7], v[43:44], v[6:7]
	s_waitcnt lgkmcnt(0)
	v_fma_f64 v[1:2], v[8:9], v[12:13], v[1:2]
	v_add_f64 v[4:5], v[41:42], v[4:5]
	ds_bpermute_b32 v8, v3, v59 offset:20
	ds_bpermute_b32 v9, v3, v60 offset:20
	v_mul_f64 v[10:11], v[45:46], v[10:11]
	s_waitcnt lgkmcnt(0)
	v_fma_f64 v[1:2], v[6:7], v[8:9], v[1:2]
	v_add_f64 v[6:7], v[43:44], v[4:5]
	ds_bpermute_b32 v4, v3, v59 offset:24
	ds_bpermute_b32 v5, v3, v60 offset:24
	;; [unrolled: 1-line block ×4, first 2 shown]
	s_waitcnt lgkmcnt(2)
	v_fma_f64 v[4:5], v[10:11], v[4:5], v[1:2]
	v_add_f64 v[6:7], v[45:46], v[6:7]
	ds_bpermute_b32 v1, v3, v59 offset:28
	ds_bpermute_b32 v2, v3, v60 offset:28
.LBB40_4:                               ;   in Loop: Header=BB40_5 Depth=1
	s_waitcnt lgkmcnt(2)
	v_add_f64 v[8:9], v[31:32], -v[8:9]
	v_add_f64 v[51:52], v[6:7], v[47:48]
	v_add_co_u32 v65, vcc_lo, v65, s34
	v_add_co_ci_u32_e32 v66, vcc_lo, s35, v66, vcc_lo
	v_add_co_u32 v67, vcc_lo, v67, s34
	v_add_co_ci_u32_e32 v68, vcc_lo, s35, v68, vcc_lo
	;; [unrolled: 2-line block ×9, first 2 shown]
	v_mul_f64 v[6:7], v[47:48], v[8:9]
	v_add_co_u32 v83, vcc_lo, v83, s34
	v_add_co_ci_u32_e32 v84, vcc_lo, s35, v84, vcc_lo
	v_add_co_u32 v85, vcc_lo, v85, s34
	v_add_co_ci_u32_e32 v86, vcc_lo, s35, v86, vcc_lo
	;; [unrolled: 2-line block ×5, first 2 shown]
	v_add_co_u32 v62, vcc_lo, v62, s46
	s_add_u32 s44, s44, s46
	v_add_co_ci_u32_e32 v64, vcc_lo, 0, v64, vcc_lo
	s_addc_u32 s45, s45, 0
	v_add_co_u32 v93, vcc_lo, v93, s34
	v_add_co_ci_u32_e32 v94, vcc_lo, s35, v94, vcc_lo
	v_cmp_lt_i64_e64 s17, s[44:45], s[36:37]
	v_add_co_u32 v95, vcc_lo, v95, s34
	v_add_co_ci_u32_e32 v96, vcc_lo, s35, v96, vcc_lo
	s_add_u32 s4, s4, s46
	s_addc_u32 s5, s5, 0
	s_waitcnt lgkmcnt(0)
	v_fma_f64 v[49:50], v[6:7], v[1:2], v[4:5]
	s_and_b32 vcc_lo, exec_lo, s17
	s_cbranch_vccz .LBB40_49
.LBB40_5:                               ; =>This Inner Loop Header: Depth=1
	s_add_u32 s18, s6, s4
	s_addc_u32 s19, 0, s5
	v_add_co_u32 v55, vcc_lo, s6, v62
	v_cmp_ge_i64_e64 s17, s[18:19], s[36:37]
	v_add_co_ci_u32_e32 v56, vcc_lo, 0, v64, vcc_lo
	s_delay_alu instid0(VALU_DEP_2)
	s_and_b32 vcc_lo, exec_lo, s17
	s_cbranch_vccz .LBB40_27
; %bb.6:                                ;   in Loop: Header=BB40_5 Depth=1
	s_load_b32 s17, s[12:13], 0xc
	v_mov_b32_e32 v59, 0
	s_waitcnt lgkmcnt(0)
	s_and_b32 s17, s17, 0xffff
	s_delay_alu instid0(SALU_CYCLE_1) | instskip(SKIP_2) | instid1(VALU_DEP_2)
	v_mad_u32_u24 v1, v61, s17, v63
	v_mov_b32_e32 v60, 0
	s_mov_b32 s17, exec_lo
	v_and_b32_e32 v1, 31, v1
	s_delay_alu instid0(VALU_DEP_2) | instskip(NEXT) | instid1(VALU_DEP_2)
	v_dual_mov_b32 v57, v59 :: v_dual_mov_b32 v58, v60
	v_cmpx_gt_u32_e32 8, v1
	s_cbranch_execz .LBB40_10
; %bb.7:                                ;   in Loop: Header=BB40_5 Depth=1
	v_mov_b32_e32 v57, 0
	v_mov_b32_e32 v58, 0
	v_add_co_u32 v1, vcc_lo, v55, v1
	v_add_co_ci_u32_e32 v2, vcc_lo, 0, v56, vcc_lo
	s_delay_alu instid0(VALU_DEP_3) | instskip(SKIP_1) | instid1(VALU_DEP_2)
	v_dual_mov_b32 v60, v58 :: v_dual_mov_b32 v59, v57
	s_mov_b32 s18, exec_lo
	v_cmpx_gt_i64_e64 s[36:37], v[1:2]
	s_cbranch_execz .LBB40_9
; %bb.8:                                ;   in Loop: Header=BB40_5 Depth=1
	v_lshlrev_b64 v[1:2], 3, v[1:2]
	s_delay_alu instid0(VALU_DEP_1) | instskip(NEXT) | instid1(VALU_DEP_2)
	v_add_co_u32 v4, vcc_lo, s8, v1
	v_add_co_ci_u32_e32 v5, vcc_lo, s9, v2, vcc_lo
	v_add_co_u32 v1, vcc_lo, s10, v1
	v_add_co_ci_u32_e32 v2, vcc_lo, s11, v2, vcc_lo
	global_load_b64 v[57:58], v[4:5], off
	global_load_b64 v[59:60], v[1:2], off
.LBB40_9:                               ;   in Loop: Header=BB40_5 Depth=1
	s_or_b32 exec_lo, exec_lo, s18
.LBB40_10:                              ;   in Loop: Header=BB40_5 Depth=1
	s_delay_alu instid0(SALU_CYCLE_1)
	s_or_b32 exec_lo, exec_lo, s17
	s_mov_b32 s31, s16
	s_mov_b32 s17, s16
	;; [unrolled: 1-line block ×15, first 2 shown]
	s_delay_alu instid0(SALU_CYCLE_1)
	v_dual_mov_b32 v32, s31 :: v_dual_mov_b32 v31, s30
	v_dual_mov_b32 v30, s29 :: v_dual_mov_b32 v29, s28
	;; [unrolled: 1-line block ×8, first 2 shown]
	v_cmp_gt_i64_e32 vcc_lo, s[36:37], v[55:56]
	v_dual_mov_b32 v48, v32 :: v_dual_mov_b32 v47, v31
	v_dual_mov_b32 v46, v30 :: v_dual_mov_b32 v45, v29
	v_dual_mov_b32 v44, v28 :: v_dual_mov_b32 v43, v27
	v_dual_mov_b32 v42, v26 :: v_dual_mov_b32 v41, v25
	v_dual_mov_b32 v40, v24 :: v_dual_mov_b32 v39, v23
	v_dual_mov_b32 v38, v22 :: v_dual_mov_b32 v37, v21
	v_dual_mov_b32 v36, v20 :: v_dual_mov_b32 v35, v19
	v_dual_mov_b32 v34, v18 :: v_dual_mov_b32 v33, v17
	s_and_b32 s18, s3, vcc_lo
	s_delay_alu instid0(SALU_CYCLE_1)
	s_and_saveexec_b32 s17, s18
	s_cbranch_execz .LBB40_12
; %bb.11:                               ;   in Loop: Header=BB40_5 Depth=1
	v_add_co_u32 v1, vcc_lo, v93, v53
	v_add_co_ci_u32_e32 v2, vcc_lo, v94, v54, vcc_lo
	v_add_co_u32 v4, vcc_lo, v95, v53
	v_add_co_ci_u32_e32 v5, vcc_lo, v96, v54, vcc_lo
	global_load_b64 v[1:2], v[1:2], off
	v_mov_b32_e32 v16, v3
	v_mov_b32_e32 v6, v3
	global_load_b64 v[17:18], v[4:5], off
	v_mov_b32_e32 v4, v3
	v_mov_b32_e32 v5, v3
	;; [unrolled: 1-line block ×11, first 2 shown]
	s_waitcnt vmcnt(1)
	v_dual_mov_b32 v19, v3 :: v_dual_mov_b32 v48, v16
	v_dual_mov_b32 v20, v3 :: v_dual_mov_b32 v45, v13
	;; [unrolled: 1-line block ×7, first 2 shown]
	v_mov_b32_e32 v26, v3
	v_dual_mov_b32 v27, v3 :: v_dual_mov_b32 v40, v8
	v_mov_b32_e32 v28, v3
	v_dual_mov_b32 v29, v3 :: v_dual_mov_b32 v38, v6
	;; [unrolled: 2-line block ×3, first 2 shown]
	v_mov_b32_e32 v47, v15
	v_mov_b32_e32 v43, v11
	v_mov_b32_e32 v39, v7
	v_mov_b32_e32 v35, v3
	v_mov_b32_e32 v32, v3
	v_dual_mov_b32 v34, v2 :: v_dual_mov_b32 v33, v1
.LBB40_12:                              ;   in Loop: Header=BB40_5 Depth=1
	s_or_b32 exec_lo, exec_lo, s17
	v_add_co_u32 v1, vcc_lo, v55, 1
	v_add_co_ci_u32_e32 v2, vcc_lo, 0, v56, vcc_lo
	s_delay_alu instid0(VALU_DEP_1) | instskip(SKIP_1) | instid1(SALU_CYCLE_1)
	v_cmp_gt_i64_e32 vcc_lo, s[36:37], v[1:2]
	s_and_b32 s18, s3, vcc_lo
	s_and_saveexec_b32 s17, s18
	s_cbranch_execz .LBB40_14
; %bb.13:                               ;   in Loop: Header=BB40_5 Depth=1
	v_add_co_u32 v1, vcc_lo, v89, v53
	v_add_co_ci_u32_e32 v2, vcc_lo, v90, v54, vcc_lo
	v_add_co_u32 v4, vcc_lo, v91, v53
	v_add_co_ci_u32_e32 v5, vcc_lo, v92, v54, vcc_lo
	global_load_b64 v[35:36], v[1:2], off
	global_load_b64 v[19:20], v[4:5], off
.LBB40_14:                              ;   in Loop: Header=BB40_5 Depth=1
	s_or_b32 exec_lo, exec_lo, s17
	v_add_co_u32 v1, vcc_lo, v55, 2
	v_add_co_ci_u32_e32 v2, vcc_lo, 0, v56, vcc_lo
	s_delay_alu instid0(VALU_DEP_1) | instskip(SKIP_1) | instid1(SALU_CYCLE_1)
	v_cmp_gt_i64_e32 vcc_lo, s[36:37], v[1:2]
	s_and_b32 s18, s3, vcc_lo
	s_and_saveexec_b32 s17, s18
	s_cbranch_execz .LBB40_16
; %bb.15:                               ;   in Loop: Header=BB40_5 Depth=1
	v_add_co_u32 v1, vcc_lo, v85, v53
	v_add_co_ci_u32_e32 v2, vcc_lo, v86, v54, vcc_lo
	v_add_co_u32 v4, vcc_lo, v87, v53
	v_add_co_ci_u32_e32 v5, vcc_lo, v88, v54, vcc_lo
	global_load_b64 v[37:38], v[1:2], off
	global_load_b64 v[21:22], v[4:5], off
.LBB40_16:                              ;   in Loop: Header=BB40_5 Depth=1
	;; [unrolled: 16-line block ×7, first 2 shown]
	s_or_b32 exec_lo, exec_lo, s17
	s_waitcnt vmcnt(1)
	ds_bpermute_b32 v1, v3, v57
	ds_bpermute_b32 v2, v3, v58
	ds_bpermute_b32 v4, v3, v57 offset:4
	ds_bpermute_b32 v5, v3, v58 offset:4
	;; [unrolled: 1-line block ×4, first 2 shown]
	s_waitcnt vmcnt(0)
	ds_bpermute_b32 v8, v3, v59
	ds_bpermute_b32 v9, v3, v60
	ds_bpermute_b32 v10, v3, v57 offset:12
	ds_bpermute_b32 v11, v3, v58 offset:12
	;; [unrolled: 1-line block ×4, first 2 shown]
	s_waitcnt lgkmcnt(10)
	v_add_f64 v[1:2], v[17:18], -v[1:2]
	s_waitcnt lgkmcnt(8)
	v_add_f64 v[4:5], v[19:20], -v[4:5]
	;; [unrolled: 2-line block ×4, first 2 shown]
	s_delay_alu instid0(VALU_DEP_4) | instskip(NEXT) | instid1(VALU_DEP_4)
	v_mul_f64 v[1:2], v[33:34], v[1:2]
	v_mul_f64 v[4:5], v[35:36], v[4:5]
	s_delay_alu instid0(VALU_DEP_4) | instskip(NEXT) | instid1(VALU_DEP_4)
	v_mul_f64 v[6:7], v[37:38], v[6:7]
	v_mul_f64 v[10:11], v[39:40], v[10:11]
	s_delay_alu instid0(VALU_DEP_4) | instskip(SKIP_2) | instid1(VALU_DEP_2)
	v_fma_f64 v[1:2], v[1:2], v[8:9], v[49:50]
	v_add_f64 v[8:9], v[51:52], v[33:34]
	s_waitcnt lgkmcnt(0)
	v_fma_f64 v[1:2], v[4:5], v[12:13], v[1:2]
	s_delay_alu instid0(VALU_DEP_2)
	v_add_f64 v[4:5], v[35:36], v[8:9]
	ds_bpermute_b32 v8, v3, v57 offset:16
	ds_bpermute_b32 v9, v3, v58 offset:16
	;; [unrolled: 1-line block ×4, first 2 shown]
	s_waitcnt lgkmcnt(2)
	v_add_f64 v[8:9], v[25:26], -v[8:9]
	s_waitcnt lgkmcnt(0)
	v_fma_f64 v[1:2], v[6:7], v[12:13], v[1:2]
	v_add_f64 v[4:5], v[37:38], v[4:5]
	ds_bpermute_b32 v6, v3, v57 offset:20
	ds_bpermute_b32 v7, v3, v58 offset:20
	;; [unrolled: 1-line block ×4, first 2 shown]
	s_waitcnt lgkmcnt(2)
	v_add_f64 v[6:7], v[27:28], -v[6:7]
	v_mul_f64 v[8:9], v[41:42], v[8:9]
	s_waitcnt lgkmcnt(0)
	v_fma_f64 v[1:2], v[10:11], v[12:13], v[1:2]
	v_add_f64 v[4:5], v[39:40], v[4:5]
	ds_bpermute_b32 v10, v3, v57 offset:24
	ds_bpermute_b32 v11, v3, v58 offset:24
	;; [unrolled: 1-line block ×4, first 2 shown]
	s_waitcnt lgkmcnt(2)
	v_add_f64 v[10:11], v[29:30], -v[10:11]
	v_mul_f64 v[6:7], v[43:44], v[6:7]
	s_waitcnt lgkmcnt(0)
	v_fma_f64 v[1:2], v[8:9], v[12:13], v[1:2]
	v_add_f64 v[4:5], v[41:42], v[4:5]
	ds_bpermute_b32 v8, v3, v59 offset:20
	ds_bpermute_b32 v9, v3, v60 offset:20
	v_mul_f64 v[10:11], v[45:46], v[10:11]
	s_waitcnt lgkmcnt(0)
	v_fma_f64 v[1:2], v[6:7], v[8:9], v[1:2]
	v_add_f64 v[6:7], v[43:44], v[4:5]
	ds_bpermute_b32 v4, v3, v59 offset:24
	ds_bpermute_b32 v5, v3, v60 offset:24
	;; [unrolled: 1-line block ×4, first 2 shown]
	s_waitcnt lgkmcnt(2)
	v_fma_f64 v[4:5], v[10:11], v[4:5], v[1:2]
	v_add_f64 v[6:7], v[45:46], v[6:7]
	ds_bpermute_b32 v1, v3, v59 offset:28
	ds_bpermute_b32 v2, v3, v60 offset:28
	s_branch .LBB40_4
.LBB40_27:                              ;   in Loop: Header=BB40_5 Depth=1
                                        ; implicit-def: $vgpr1_vgpr2
                                        ; implicit-def: $vgpr17_vgpr18_vgpr19_vgpr20_vgpr21_vgpr22_vgpr23_vgpr24_vgpr25_vgpr26_vgpr27_vgpr28_vgpr29_vgpr30_vgpr31_vgpr32
                                        ; implicit-def: $vgpr33_vgpr34_vgpr35_vgpr36_vgpr37_vgpr38_vgpr39_vgpr40_vgpr41_vgpr42_vgpr43_vgpr44_vgpr45_vgpr46_vgpr47_vgpr48
                                        ; implicit-def: $vgpr8
                                        ; implicit-def: $vgpr6_vgpr7
                                        ; implicit-def: $vgpr4_vgpr5
	s_cbranch_execz .LBB40_4
; %bb.28:                               ;   in Loop: Header=BB40_5 Depth=1
	s_load_b32 s17, s[12:13], 0x0
	v_mov_b32_e32 v59, 0
	s_waitcnt lgkmcnt(0)
	s_cmp_lt_u32 s14, s17
	s_cselect_b32 s17, 12, 18
	s_delay_alu instid0(SALU_CYCLE_1)
	s_add_u32 s18, s12, s17
	s_addc_u32 s19, s13, 0
	s_mov_b32 s17, exec_lo
	global_load_u16 v1, v3, s[18:19]
	s_waitcnt vmcnt(0)
	v_mad_u32_u24 v1, v61, v1, v63
	s_delay_alu instid0(VALU_DEP_1) | instskip(NEXT) | instid1(VALU_DEP_1)
	v_dual_mov_b32 v60, 0 :: v_dual_and_b32 v1, 31, v1
	v_dual_mov_b32 v57, v59 :: v_dual_mov_b32 v58, v60
	s_delay_alu instid0(VALU_DEP_2)
	v_cmpx_gt_u32_e32 8, v1
	s_cbranch_execz .LBB40_32
; %bb.29:                               ;   in Loop: Header=BB40_5 Depth=1
	v_mov_b32_e32 v57, 0
	v_mov_b32_e32 v58, 0
	v_add_co_u32 v1, vcc_lo, v55, v1
	v_add_co_ci_u32_e32 v2, vcc_lo, 0, v56, vcc_lo
	s_delay_alu instid0(VALU_DEP_3) | instskip(SKIP_1) | instid1(VALU_DEP_2)
	v_dual_mov_b32 v60, v58 :: v_dual_mov_b32 v59, v57
	s_mov_b32 s18, exec_lo
	v_cmpx_gt_i64_e64 s[36:37], v[1:2]
	s_cbranch_execz .LBB40_31
; %bb.30:                               ;   in Loop: Header=BB40_5 Depth=1
	v_lshlrev_b64 v[1:2], 3, v[1:2]
	s_delay_alu instid0(VALU_DEP_1) | instskip(NEXT) | instid1(VALU_DEP_2)
	v_add_co_u32 v4, vcc_lo, s8, v1
	v_add_co_ci_u32_e32 v5, vcc_lo, s9, v2, vcc_lo
	v_add_co_u32 v1, vcc_lo, s10, v1
	v_add_co_ci_u32_e32 v2, vcc_lo, s11, v2, vcc_lo
	global_load_b64 v[57:58], v[4:5], off
	global_load_b64 v[59:60], v[1:2], off
.LBB40_31:                              ;   in Loop: Header=BB40_5 Depth=1
	s_or_b32 exec_lo, exec_lo, s18
.LBB40_32:                              ;   in Loop: Header=BB40_5 Depth=1
	s_delay_alu instid0(SALU_CYCLE_1)
	s_or_b32 exec_lo, exec_lo, s17
	s_mov_b32 s31, s16
	s_mov_b32 s17, s16
	;; [unrolled: 1-line block ×15, first 2 shown]
	s_delay_alu instid0(SALU_CYCLE_1)
	v_dual_mov_b32 v32, s31 :: v_dual_mov_b32 v31, s30
	v_dual_mov_b32 v30, s29 :: v_dual_mov_b32 v29, s28
	;; [unrolled: 1-line block ×16, first 2 shown]
	s_and_saveexec_b32 s17, s3
	s_cbranch_execnz .LBB40_40
; %bb.33:                               ;   in Loop: Header=BB40_5 Depth=1
	s_or_b32 exec_lo, exec_lo, s17
	s_and_saveexec_b32 s17, s3
	s_cbranch_execnz .LBB40_41
.LBB40_34:                              ;   in Loop: Header=BB40_5 Depth=1
	s_or_b32 exec_lo, exec_lo, s17
	s_and_saveexec_b32 s17, s3
	s_cbranch_execnz .LBB40_42
.LBB40_35:                              ;   in Loop: Header=BB40_5 Depth=1
	s_or_b32 exec_lo, exec_lo, s17
	s_and_saveexec_b32 s17, s3
	s_cbranch_execnz .LBB40_43
.LBB40_36:                              ;   in Loop: Header=BB40_5 Depth=1
	s_or_b32 exec_lo, exec_lo, s17
	s_and_saveexec_b32 s17, s3
	s_cbranch_execnz .LBB40_44
.LBB40_37:                              ;   in Loop: Header=BB40_5 Depth=1
	s_or_b32 exec_lo, exec_lo, s17
	s_and_saveexec_b32 s17, s3
	s_cbranch_execnz .LBB40_45
.LBB40_38:                              ;   in Loop: Header=BB40_5 Depth=1
	s_or_b32 exec_lo, exec_lo, s17
	s_and_saveexec_b32 s17, s3
	s_cbranch_execnz .LBB40_46
.LBB40_39:                              ;   in Loop: Header=BB40_5 Depth=1
	s_or_b32 exec_lo, exec_lo, s17
	s_and_saveexec_b32 s17, s3
	s_cbranch_execz .LBB40_3
	s_branch .LBB40_47
.LBB40_40:                              ;   in Loop: Header=BB40_5 Depth=1
	v_add_co_u32 v1, vcc_lo, v93, v53
	v_add_co_ci_u32_e32 v2, vcc_lo, v94, v54, vcc_lo
	v_add_co_u32 v4, vcc_lo, v95, v53
	v_add_co_ci_u32_e32 v5, vcc_lo, v96, v54, vcc_lo
	global_load_b64 v[1:2], v[1:2], off
	v_mov_b32_e32 v16, v3
	v_mov_b32_e32 v6, v3
	global_load_b64 v[17:18], v[4:5], off
	v_mov_b32_e32 v4, v3
	v_mov_b32_e32 v5, v3
	;; [unrolled: 1-line block ×11, first 2 shown]
	s_waitcnt vmcnt(1)
	v_dual_mov_b32 v19, v3 :: v_dual_mov_b32 v48, v16
	v_dual_mov_b32 v20, v3 :: v_dual_mov_b32 v45, v13
	;; [unrolled: 1-line block ×7, first 2 shown]
	v_mov_b32_e32 v26, v3
	v_dual_mov_b32 v27, v3 :: v_dual_mov_b32 v40, v8
	v_mov_b32_e32 v28, v3
	v_dual_mov_b32 v29, v3 :: v_dual_mov_b32 v38, v6
	;; [unrolled: 2-line block ×3, first 2 shown]
	v_mov_b32_e32 v47, v15
	v_mov_b32_e32 v43, v11
	;; [unrolled: 1-line block ×5, first 2 shown]
	v_dual_mov_b32 v34, v2 :: v_dual_mov_b32 v33, v1
	s_or_b32 exec_lo, exec_lo, s17
	s_and_saveexec_b32 s17, s3
	s_cbranch_execz .LBB40_34
.LBB40_41:                              ;   in Loop: Header=BB40_5 Depth=1
	v_add_co_u32 v1, vcc_lo, v89, v53
	v_add_co_ci_u32_e32 v2, vcc_lo, v90, v54, vcc_lo
	v_add_co_u32 v4, vcc_lo, v91, v53
	v_add_co_ci_u32_e32 v5, vcc_lo, v92, v54, vcc_lo
	global_load_b64 v[35:36], v[1:2], off
	global_load_b64 v[19:20], v[4:5], off
	s_or_b32 exec_lo, exec_lo, s17
	s_and_saveexec_b32 s17, s3
	s_cbranch_execz .LBB40_35
.LBB40_42:                              ;   in Loop: Header=BB40_5 Depth=1
	v_add_co_u32 v1, vcc_lo, v85, v53
	v_add_co_ci_u32_e32 v2, vcc_lo, v86, v54, vcc_lo
	v_add_co_u32 v4, vcc_lo, v87, v53
	v_add_co_ci_u32_e32 v5, vcc_lo, v88, v54, vcc_lo
	global_load_b64 v[37:38], v[1:2], off
	global_load_b64 v[21:22], v[4:5], off
	s_or_b32 exec_lo, exec_lo, s17
	s_and_saveexec_b32 s17, s3
	s_cbranch_execz .LBB40_36
.LBB40_43:                              ;   in Loop: Header=BB40_5 Depth=1
	v_add_co_u32 v1, vcc_lo, v81, v53
	v_add_co_ci_u32_e32 v2, vcc_lo, v82, v54, vcc_lo
	v_add_co_u32 v4, vcc_lo, v83, v53
	v_add_co_ci_u32_e32 v5, vcc_lo, v84, v54, vcc_lo
	global_load_b64 v[39:40], v[1:2], off
	global_load_b64 v[23:24], v[4:5], off
	s_or_b32 exec_lo, exec_lo, s17
	s_and_saveexec_b32 s17, s3
	s_cbranch_execz .LBB40_37
.LBB40_44:                              ;   in Loop: Header=BB40_5 Depth=1
	v_add_co_u32 v1, vcc_lo, v77, v53
	v_add_co_ci_u32_e32 v2, vcc_lo, v78, v54, vcc_lo
	v_add_co_u32 v4, vcc_lo, v79, v53
	v_add_co_ci_u32_e32 v5, vcc_lo, v80, v54, vcc_lo
	global_load_b64 v[41:42], v[1:2], off
	global_load_b64 v[25:26], v[4:5], off
	s_or_b32 exec_lo, exec_lo, s17
	s_and_saveexec_b32 s17, s3
	s_cbranch_execz .LBB40_38
.LBB40_45:                              ;   in Loop: Header=BB40_5 Depth=1
	v_add_co_u32 v1, vcc_lo, v73, v53
	v_add_co_ci_u32_e32 v2, vcc_lo, v74, v54, vcc_lo
	v_add_co_u32 v4, vcc_lo, v75, v53
	v_add_co_ci_u32_e32 v5, vcc_lo, v76, v54, vcc_lo
	global_load_b64 v[43:44], v[1:2], off
	global_load_b64 v[27:28], v[4:5], off
	s_or_b32 exec_lo, exec_lo, s17
	s_and_saveexec_b32 s17, s3
	s_cbranch_execz .LBB40_39
.LBB40_46:                              ;   in Loop: Header=BB40_5 Depth=1
	v_add_co_u32 v1, vcc_lo, v69, v53
	v_add_co_ci_u32_e32 v2, vcc_lo, v70, v54, vcc_lo
	v_add_co_u32 v4, vcc_lo, v71, v53
	v_add_co_ci_u32_e32 v5, vcc_lo, v72, v54, vcc_lo
	global_load_b64 v[45:46], v[1:2], off
	global_load_b64 v[29:30], v[4:5], off
	s_or_b32 exec_lo, exec_lo, s17
	s_and_saveexec_b32 s17, s3
	s_cbranch_execz .LBB40_3
.LBB40_47:                              ;   in Loop: Header=BB40_5 Depth=1
	v_add_co_u32 v1, vcc_lo, v65, v53
	v_add_co_ci_u32_e32 v2, vcc_lo, v66, v54, vcc_lo
	v_add_co_u32 v4, vcc_lo, v67, v53
	v_add_co_ci_u32_e32 v5, vcc_lo, v68, v54, vcc_lo
	global_load_b64 v[47:48], v[1:2], off
	global_load_b64 v[31:32], v[4:5], off
	s_branch .LBB40_3
.LBB40_48:
                                        ; implicit-def: $vgpr51_vgpr52
                                        ; implicit-def: $vgpr49_vgpr50
	s_branch .LBB40_50
.LBB40_49:
	s_cbranch_execnz .LBB40_81
.LBB40_50:
	v_mov_b32_e32 v51, 0
	v_mov_b32_e32 v52, 0
	s_delay_alu instid0(VALU_DEP_2) | instskip(SKIP_1) | instid1(VALU_DEP_2)
	v_mov_b32_e32 v49, v51
	s_and_not1_b32 vcc_lo, exec_lo, s33
	v_mov_b32_e32 v50, v52
	s_cbranch_vccnz .LBB40_81
; %bb.51:
	v_bfe_u32 v48, v0, 10, 10
	v_mov_b32_e32 v49, 0
	v_dual_mov_b32 v50, 0 :: v_dual_and_b32 v77, 0x3ff, v0
	s_add_u32 s4, s0, 64
	s_delay_alu instid0(VALU_DEP_3)
	v_lshlrev_b32_e32 v1, 6, v48
	s_load_b32 s3, s[0:1], 0x44
	s_addc_u32 s5, s1, 0
	v_mov_b32_e32 v52, v50
	s_lshl_b64 s[12:13], s[6:7], 3
	v_dual_mov_b32 v3, 0 :: v_dual_add_nc_u32 v2, s15, v77
	v_add_co_u32 v1, s12, v1, s12
	s_delay_alu instid0(VALU_DEP_1) | instskip(NEXT) | instid1(VALU_DEP_3)
	v_add_co_ci_u32_e64 v4, null, 0, s13, s12
	v_lshlrev_b64 v[38:39], 3, v[2:3]
	s_delay_alu instid0(VALU_DEP_3) | instskip(NEXT) | instid1(VALU_DEP_3)
	v_add_co_u32 v6, vcc_lo, v1, 8
	v_add_co_ci_u32_e32 v5, vcc_lo, 0, v4, vcc_lo
	v_add_co_u32 v9, vcc_lo, v1, 16
	v_add_co_ci_u32_e32 v2, vcc_lo, 0, v4, vcc_lo
	v_add_co_u32 v11, vcc_lo, v1, 24
	v_dual_mov_b32 v79, v3 :: v_dual_lshlrev_b32 v78, 3, v48
	s_delay_alu instid0(VALU_DEP_3)
	v_mul_lo_u32 v10, s38, v2
	v_add_co_ci_u32_e32 v2, vcc_lo, 0, v4, vcc_lo
	v_add_co_u32 v13, vcc_lo, v1, 32
	s_waitcnt lgkmcnt(0)
	s_lshl_b32 s15, s3, 3
	v_mul_lo_u32 v7, s38, v5
	v_add_co_ci_u32_e32 v5, vcc_lo, 0, v4, vcc_lo
	v_add_co_u32 v17, vcc_lo, v1, 40
	s_mul_i32 s3, s39, s15
	s_mul_hi_u32 s12, s38, s15
	v_mul_lo_u32 v14, s38, v2
	v_add_co_ci_u32_e32 v2, vcc_lo, 0, v4, vcc_lo
	s_add_i32 s13, s12, s3
	v_add_co_u32 v19, vcc_lo, v1, 48
	v_add_co_u32 v24, s3, v78, s6
	v_mul_lo_u32 v16, s38, v5
	v_add_co_ci_u32_e32 v5, vcc_lo, 0, v4, vcc_lo
	v_add_co_ci_u32_e64 v25, null, 0, 0, s3
	v_mul_lo_u32 v20, s38, v2
	s_delay_alu instid0(VALU_DEP_3)
	v_mul_lo_u32 v22, s38, v5
	v_add_co_u32 v26, vcc_lo, v1, 56
	v_mul_lo_u32 v5, s39, v24
	v_mul_lo_u32 v27, s38, v25
	v_mad_u64_u32 v[1:2], null, s38, v24, 0
	v_add_co_ci_u32_e32 v4, vcc_lo, 0, v4, vcc_lo
	v_mad_u64_u32 v[36:37], null, s38, v6, s[40:41]
	v_mul_lo_u32 v8, s39, v6
	s_delay_alu instid0(VALU_DEP_3) | instskip(SKIP_3) | instid1(VALU_DEP_3)
	v_mul_lo_u32 v28, s38, v4
	v_add3_u32 v2, v2, v27, v5
	v_mad_u64_u32 v[57:58], null, s38, v6, s[42:43]
	v_mad_u64_u32 v[40:41], null, s38, v9, s[40:41]
	v_lshlrev_b64 v[4:5], 3, v[1:2]
	v_mul_lo_u32 v12, s39, v9
	v_mad_u64_u32 v[59:60], null, s38, v9, s[42:43]
	v_add3_u32 v37, v8, v37, v7
	v_add3_u32 v58, v8, v58, v7
	v_add_co_u32 v80, vcc_lo, s40, v4
	v_add_co_ci_u32_e32 v81, vcc_lo, s41, v5, vcc_lo
	v_add_co_u32 v8, vcc_lo, v24, 7
	v_add_co_ci_u32_e32 v6, vcc_lo, 0, v25, vcc_lo
	v_mad_u64_u32 v[42:43], null, s38, v11, s[40:41]
	v_mul_lo_u32 v15, s39, v11
	v_mad_u64_u32 v[61:62], null, s38, v11, s[42:43]
	v_add3_u32 v41, v12, v41, v10
	v_add3_u32 v60, v12, v60, v10
	v_add_co_u32 v12, vcc_lo, v24, 6
	v_mul_lo_u32 v10, s39, v8
	v_mul_lo_u32 v11, s38, v6
	v_mad_u64_u32 v[6:7], null, s38, v8, 0
	v_add_co_ci_u32_e32 v9, vcc_lo, 0, v25, vcc_lo
	v_mad_u64_u32 v[44:45], null, s38, v13, s[40:41]
	v_mul_lo_u32 v18, s39, v13
	v_add3_u32 v43, v15, v43, v14
	v_mad_u64_u32 v[63:64], null, s38, v13, s[42:43]
	v_add3_u32 v62, v15, v62, v14
	v_mul_lo_u32 v13, s39, v12
	v_mul_lo_u32 v14, s38, v9
	v_mad_u64_u32 v[8:9], null, s38, v12, 0
	v_add3_u32 v7, v7, v11, v10
	v_add_co_u32 v82, vcc_lo, s42, v4
	v_add_co_ci_u32_e32 v83, vcc_lo, s43, v5, vcc_lo
	s_delay_alu instid0(VALU_DEP_3) | instskip(SKIP_3) | instid1(VALU_DEP_4)
	v_lshlrev_b64 v[4:5], 3, v[6:7]
	v_add3_u32 v9, v9, v14, v13
	v_add_co_u32 v10, vcc_lo, v24, 5
	v_add_co_ci_u32_e32 v11, vcc_lo, 0, v25, vcc_lo
	v_add_co_u32 v84, vcc_lo, s40, v4
	s_delay_alu instid0(VALU_DEP_4)
	v_lshlrev_b64 v[6:7], 3, v[8:9]
	v_add_co_ci_u32_e32 v85, vcc_lo, s41, v5, vcc_lo
	v_mul_lo_u32 v12, s39, v10
	v_mul_lo_u32 v11, s38, v11
	v_mad_u64_u32 v[8:9], null, s38, v10, 0
	v_add_co_u32 v86, vcc_lo, s42, v4
	v_add_co_ci_u32_e32 v87, vcc_lo, s43, v5, vcc_lo
	v_add_co_u32 v88, vcc_lo, s40, v6
	v_add_co_ci_u32_e32 v89, vcc_lo, s41, v7, vcc_lo
	v_add_co_u32 v10, vcc_lo, v24, 4
	v_add3_u32 v9, v9, v11, v12
	v_add_co_u32 v90, s3, s42, v6
	v_add_co_ci_u32_e32 v6, vcc_lo, 0, v25, vcc_lo
	v_add_co_u32 v12, vcc_lo, v24, 3
	s_delay_alu instid0(VALU_DEP_4)
	v_lshlrev_b64 v[4:5], 3, v[8:9]
	v_add_co_ci_u32_e32 v8, vcc_lo, 0, v25, vcc_lo
	v_add_co_ci_u32_e64 v91, s3, s43, v7, s3
	v_mul_lo_u32 v11, s39, v10
	v_mul_lo_u32 v13, s38, v6
	v_mad_u64_u32 v[6:7], null, s38, v10, 0
	v_mul_lo_u32 v10, s39, v12
	v_mul_lo_u32 v14, s38, v8
	v_mad_u64_u32 v[8:9], null, s38, v12, 0
	v_add_co_u32 v92, vcc_lo, s40, v4
	v_add_co_ci_u32_e32 v93, vcc_lo, s41, v5, vcc_lo
	v_add3_u32 v7, v7, v13, v11
	v_add_co_u32 v94, vcc_lo, s42, v4
	v_add_co_ci_u32_e32 v95, vcc_lo, s43, v5, vcc_lo
	v_add3_u32 v9, v9, v14, v10
	v_add_co_u32 v10, vcc_lo, v24, 2
	v_lshlrev_b64 v[4:5], 3, v[6:7]
	v_add_co_ci_u32_e32 v11, vcc_lo, 0, v25, vcc_lo
	s_delay_alu instid0(VALU_DEP_4) | instskip(NEXT) | instid1(VALU_DEP_4)
	v_lshlrev_b64 v[6:7], 3, v[8:9]
	v_mul_lo_u32 v12, s39, v10
	v_mad_u64_u32 v[8:9], null, s38, v10, 0
	v_add_co_u32 v96, vcc_lo, s40, v4
	v_mul_lo_u32 v11, s38, v11
	v_add_co_ci_u32_e32 v97, vcc_lo, s41, v5, vcc_lo
	v_add_co_u32 v98, vcc_lo, s42, v4
	v_add_co_ci_u32_e32 v99, vcc_lo, s43, v5, vcc_lo
	v_add_co_u32 v100, vcc_lo, s40, v6
	v_add_co_ci_u32_e32 v101, vcc_lo, s41, v7, vcc_lo
	v_add3_u32 v9, v9, v11, v12
	v_add_co_u32 v102, vcc_lo, s42, v6
	v_add_co_ci_u32_e32 v103, vcc_lo, s43, v7, vcc_lo
	v_add_co_u32 v1, vcc_lo, v1, s38
	s_delay_alu instid0(VALU_DEP_4) | instskip(SKIP_3) | instid1(VALU_DEP_4)
	v_lshlrev_b64 v[4:5], 3, v[8:9]
	v_add_co_ci_u32_e32 v2, vcc_lo, s39, v2, vcc_lo
	v_mad_u64_u32 v[46:47], null, s38, v17, s[40:41]
	v_mul_lo_u32 v21, s39, v17
	v_add_co_u32 v104, vcc_lo, s40, v4
	s_delay_alu instid0(VALU_DEP_4)
	v_lshlrev_b64 v[1:2], 3, v[1:2]
	v_add_co_ci_u32_e32 v105, vcc_lo, s41, v5, vcc_lo
	v_mad_u64_u32 v[53:54], null, s38, v19, s[40:41]
	v_mul_lo_u32 v23, s39, v19
	v_mad_u64_u32 v[55:56], null, s38, v26, s[40:41]
	v_mul_lo_u32 v29, s39, v26
	v_mad_u64_u32 v[65:66], null, s38, v17, s[42:43]
	v_mad_u64_u32 v[67:68], null, s38, v19, s[42:43]
	;; [unrolled: 1-line block ×3, first 2 shown]
	v_add_co_u32 v106, vcc_lo, s42, v4
	v_add_co_ci_u32_e32 v107, vcc_lo, s43, v5, vcc_lo
	v_add_co_u32 v108, vcc_lo, s40, v1
	v_add_co_ci_u32_e32 v109, vcc_lo, s41, v2, vcc_lo
	v_add_co_u32 v110, vcc_lo, s42, v1
	v_add3_u32 v45, v18, v45, v16
	v_add3_u32 v47, v21, v47, v20
	v_add3_u32 v54, v23, v54, v22
	v_add3_u32 v56, v29, v56, v28
	v_add3_u32 v64, v18, v64, v16
	v_add3_u32 v66, v21, v66, v20
	v_add3_u32 v68, v23, v68, v22
	v_add3_u32 v70, v29, v70, v28
	v_add_co_ci_u32_e32 v111, vcc_lo, s43, v2, vcc_lo
	v_mov_b32_e32 v51, v49
	s_mul_i32 s12, s38, s15
	s_mov_b32 s16, 0
	s_lshl_b64 s[12:13], s[12:13], 3
	s_mov_b64 s[34:35], 7
	s_mov_b64 s[40:41], s[6:7]
	s_branch .LBB40_55
.LBB40_52:                              ;   in Loop: Header=BB40_55 Depth=1
	s_or_b32 exec_lo, exec_lo, s7
.LBB40_53:                              ;   in Loop: Header=BB40_55 Depth=1
	s_delay_alu instid0(SALU_CYCLE_1)
	s_or_b32 exec_lo, exec_lo, s3
	v_add_co_u32 v6, vcc_lo, v82, v38
	v_add_co_ci_u32_e32 v7, vcc_lo, v83, v39, vcc_lo
	v_add_co_u32 v8, vcc_lo, v57, v38
	v_add_co_ci_u32_e32 v9, vcc_lo, v58, v39, vcc_lo
	global_load_b64 v[6:7], v[6:7], off
	v_add_co_u32 v10, vcc_lo, v80, v38
	v_add_co_ci_u32_e32 v11, vcc_lo, v81, v39, vcc_lo
	global_load_b64 v[8:9], v[8:9], off
	global_load_b64 v[10:11], v[10:11], off
	v_add_co_u32 v12, vcc_lo, v59, v38
	v_add_co_ci_u32_e32 v13, vcc_lo, v60, v39, vcc_lo
	v_add_co_u32 v14, vcc_lo, v36, v38
	v_add_co_ci_u32_e32 v15, vcc_lo, v37, v39, vcc_lo
	global_load_b64 v[12:13], v[12:13], off
	global_load_b64 v[14:15], v[14:15], off
	v_add_co_u32 v16, vcc_lo, v61, v38
	v_add_co_ci_u32_e32 v17, vcc_lo, v62, v39, vcc_lo
	;; [unrolled: 6-line block ×5, first 2 shown]
	v_add_co_u32 v30, vcc_lo, v67, v38
	v_add_co_ci_u32_e32 v31, vcc_lo, v68, v39, vcc_lo
	v_add_co_u32 v32, vcc_lo, v69, v38
	v_add_co_ci_u32_e32 v33, vcc_lo, v70, v39, vcc_lo
	global_load_b64 v[30:31], v[30:31], off
	global_load_b64 v[34:35], v[18:19], off
	;; [unrolled: 1-line block ×3, first 2 shown]
	v_add_co_u32 v18, vcc_lo, v53, v38
	v_add_co_ci_u32_e32 v19, vcc_lo, v54, v39, vcc_lo
	v_add_co_u32 v71, vcc_lo, v55, v38
	v_add_co_ci_u32_e32 v72, vcc_lo, v56, v39, vcc_lo
	global_load_b64 v[73:74], v[18:19], off
	global_load_b64 v[18:19], v[71:72], off
	s_waitcnt vmcnt(17)
	ds_bpermute_b32 v71, v3, v4
	ds_bpermute_b32 v72, v3, v5
	s_waitcnt vmcnt(16)
	ds_bpermute_b32 v75, v3, v1
	ds_bpermute_b32 v76, v3, v2
	s_waitcnt vmcnt(15) lgkmcnt(2)
	v_add_f64 v[6:7], v[6:7], -v[71:72]
	ds_bpermute_b32 v71, v3, v4 offset:4
	ds_bpermute_b32 v72, v3, v5 offset:4
	s_waitcnt vmcnt(14) lgkmcnt(0)
	v_add_f64 v[8:9], v[8:9], -v[71:72]
	ds_bpermute_b32 v71, v3, v4 offset:8
	ds_bpermute_b32 v72, v3, v5 offset:8
	s_waitcnt vmcnt(13)
	v_mul_f64 v[6:7], v[10:11], v[6:7]
	v_add_f64 v[10:11], v[51:52], v[10:11]
	ds_bpermute_b32 v51, v3, v1 offset:4
	ds_bpermute_b32 v52, v3, v2 offset:4
	s_waitcnt vmcnt(12) lgkmcnt(2)
	v_add_f64 v[12:13], v[12:13], -v[71:72]
	s_waitcnt vmcnt(11)
	v_mul_f64 v[8:9], v[14:15], v[8:9]
	v_fma_f64 v[6:7], v[6:7], v[75:76], v[49:50]
	ds_bpermute_b32 v49, v3, v4 offset:12
	ds_bpermute_b32 v50, v3, v5 offset:12
	v_add_f64 v[10:11], v[10:11], v[14:15]
	ds_bpermute_b32 v14, v3, v1 offset:8
	ds_bpermute_b32 v15, v3, v2 offset:8
	s_waitcnt vmcnt(9)
	v_mul_f64 v[12:13], v[20:21], v[12:13]
	s_waitcnt lgkmcnt(2)
	v_add_f64 v[16:17], v[16:17], -v[49:50]
	v_fma_f64 v[6:7], v[8:9], v[51:52], v[6:7]
	ds_bpermute_b32 v8, v3, v4 offset:16
	ds_bpermute_b32 v9, v3, v5 offset:16
	v_add_f64 v[10:11], v[10:11], v[20:21]
	s_waitcnt vmcnt(8) lgkmcnt(0)
	v_add_f64 v[8:9], v[24:25], -v[8:9]
	s_waitcnt vmcnt(7)
	v_mul_f64 v[16:17], v[22:23], v[16:17]
	v_fma_f64 v[6:7], v[12:13], v[14:15], v[6:7]
	ds_bpermute_b32 v12, v3, v4 offset:20
	ds_bpermute_b32 v13, v3, v5 offset:20
	;; [unrolled: 1-line block ×4, first 2 shown]
	v_add_f64 v[10:11], v[10:11], v[22:23]
	s_waitcnt vmcnt(6) lgkmcnt(2)
	v_add_f64 v[12:13], v[28:29], -v[12:13]
	s_waitcnt vmcnt(5)
	v_mul_f64 v[8:9], v[26:27], v[8:9]
	s_waitcnt lgkmcnt(0)
	v_fma_f64 v[6:7], v[16:17], v[14:15], v[6:7]
	ds_bpermute_b32 v14, v3, v4 offset:24
	ds_bpermute_b32 v15, v3, v5 offset:24
	;; [unrolled: 1-line block ×6, first 2 shown]
	v_add_f64 v[10:11], v[10:11], v[26:27]
	s_waitcnt vmcnt(4) lgkmcnt(4)
	v_add_f64 v[14:15], v[30:31], -v[14:15]
	s_waitcnt vmcnt(3)
	v_mul_f64 v[12:13], v[34:35], v[12:13]
	s_waitcnt vmcnt(2) lgkmcnt(0)
	v_add_f64 v[4:5], v[32:33], -v[4:5]
	v_fma_f64 v[6:7], v[8:9], v[16:17], v[6:7]
	ds_bpermute_b32 v8, v3, v1 offset:20
	ds_bpermute_b32 v9, v3, v2 offset:20
	v_add_f64 v[10:11], v[10:11], v[34:35]
	s_waitcnt vmcnt(1)
	v_mul_f64 v[14:15], v[73:74], v[14:15]
	s_waitcnt vmcnt(0)
	v_mul_f64 v[4:5], v[18:19], v[4:5]
	s_waitcnt lgkmcnt(0)
	v_fma_f64 v[6:7], v[12:13], v[8:9], v[6:7]
	ds_bpermute_b32 v8, v3, v1 offset:24
	ds_bpermute_b32 v9, v3, v2 offset:24
	;; [unrolled: 1-line block ×4, first 2 shown]
	v_add_f64 v[1:2], v[10:11], v[73:74]
	s_waitcnt lgkmcnt(0)
	v_mul_f64 v[4:5], v[4:5], v[12:13]
	v_fma_f64 v[6:7], v[14:15], v[8:9], v[6:7]
.LBB40_54:                              ;   in Loop: Header=BB40_55 Depth=1
	v_add_co_u32 v78, vcc_lo, v78, s15
	v_add_co_ci_u32_e32 v79, vcc_lo, 0, v79, vcc_lo
	v_add_co_u32 v36, vcc_lo, v36, s12
	v_add_co_ci_u32_e32 v37, vcc_lo, s13, v37, vcc_lo
	;; [unrolled: 2-line block ×19, first 2 shown]
	v_add_co_u32 v88, vcc_lo, v88, s12
	v_add_f64 v[49:50], v[6:7], v[4:5]
	v_add_f64 v[51:52], v[1:2], v[18:19]
	v_add_co_ci_u32_e32 v89, vcc_lo, s13, v89, vcc_lo
	v_add_co_u32 v90, vcc_lo, v90, s12
	v_add_co_ci_u32_e32 v91, vcc_lo, s13, v91, vcc_lo
	v_add_co_u32 v92, vcc_lo, v92, s12
	;; [unrolled: 2-line block ×9, first 2 shown]
	s_add_u32 s40, s40, s15
	v_add_co_ci_u32_e32 v107, vcc_lo, s13, v107, vcc_lo
	s_addc_u32 s41, s41, 0
	v_add_co_u32 v108, vcc_lo, v108, s12
	v_add_co_ci_u32_e32 v109, vcc_lo, s13, v109, vcc_lo
	v_cmp_ge_i64_e64 s3, s[40:41], s[36:37]
	v_add_co_u32 v110, vcc_lo, v110, s12
	v_add_co_ci_u32_e32 v111, vcc_lo, s13, v111, vcc_lo
	s_add_u32 s34, s34, s15
	s_addc_u32 s35, s35, 0
	s_delay_alu instid0(VALU_DEP_3)
	s_and_b32 vcc_lo, exec_lo, s3
	s_cbranch_vccnz .LBB40_81
.LBB40_55:                              ; =>This Inner Loop Header: Depth=1
	s_add_u32 s18, s6, s34
	s_addc_u32 s19, 0, s35
	v_add_co_u32 v71, vcc_lo, s6, v78
	v_cmp_ge_i64_e64 s3, s[18:19], s[36:37]
	v_add_co_ci_u32_e32 v72, vcc_lo, 0, v79, vcc_lo
	s_delay_alu instid0(VALU_DEP_2)
	s_and_b32 vcc_lo, exec_lo, s3
	s_cbranch_vccz .LBB40_77
; %bb.56:                               ;   in Loop: Header=BB40_55 Depth=1
	s_load_b32 s3, s[4:5], 0xc
	v_mov_b32_e32 v73, 0
	s_waitcnt lgkmcnt(0)
	s_and_b32 s3, s3, 0xffff
	s_delay_alu instid0(SALU_CYCLE_1) | instskip(SKIP_2) | instid1(VALU_DEP_1)
	v_mad_u32_u24 v1, v48, s3, v77
	v_mov_b32_e32 v74, 0
	s_mov_b32 s3, exec_lo
	v_dual_mov_b32 v76, v74 :: v_dual_and_b32 v1, 31, v1
	v_mov_b32_e32 v75, v73
	s_delay_alu instid0(VALU_DEP_2)
	v_cmpx_gt_u32_e32 8, v1
	s_cbranch_execz .LBB40_60
; %bb.57:                               ;   in Loop: Header=BB40_55 Depth=1
	v_mov_b32_e32 v75, 0
	v_mov_b32_e32 v76, 0
	v_add_co_u32 v1, vcc_lo, v71, v1
	v_add_co_ci_u32_e32 v2, vcc_lo, 0, v72, vcc_lo
	s_delay_alu instid0(VALU_DEP_3) | instskip(SKIP_1) | instid1(VALU_DEP_2)
	v_dual_mov_b32 v73, v75 :: v_dual_mov_b32 v74, v76
	s_mov_b32 s7, exec_lo
	v_cmpx_gt_i64_e64 s[36:37], v[1:2]
	s_cbranch_execz .LBB40_59
; %bb.58:                               ;   in Loop: Header=BB40_55 Depth=1
	v_lshlrev_b64 v[1:2], 3, v[1:2]
	s_delay_alu instid0(VALU_DEP_1) | instskip(NEXT) | instid1(VALU_DEP_2)
	v_add_co_u32 v4, vcc_lo, s8, v1
	v_add_co_ci_u32_e32 v5, vcc_lo, s9, v2, vcc_lo
	v_add_co_u32 v1, vcc_lo, s10, v1
	v_add_co_ci_u32_e32 v2, vcc_lo, s11, v2, vcc_lo
	global_load_b64 v[75:76], v[4:5], off
	global_load_b64 v[73:74], v[1:2], off
.LBB40_59:                              ;   in Loop: Header=BB40_55 Depth=1
	s_or_b32 exec_lo, exec_lo, s7
.LBB40_60:                              ;   in Loop: Header=BB40_55 Depth=1
	s_delay_alu instid0(SALU_CYCLE_1)
	s_or_b32 exec_lo, exec_lo, s3
	s_mov_b32 s31, s16
	s_mov_b32 s17, s16
	;; [unrolled: 1-line block ×15, first 2 shown]
	s_delay_alu instid0(SALU_CYCLE_1)
	v_dual_mov_b32 v35, s31 :: v_dual_mov_b32 v34, s30
	v_dual_mov_b32 v21, s17 :: v_dual_mov_b32 v20, s16
	;; [unrolled: 1-line block ×9, first 2 shown]
	s_delay_alu instid0(VALU_DEP_3) | instskip(NEXT) | instid1(VALU_DEP_3)
	v_dual_mov_b32 v8, v24 :: v_dual_mov_b32 v9, v25
	v_dual_mov_b32 v6, v22 :: v_dual_mov_b32 v7, v23
	;; [unrolled: 1-line block ×7, first 2 shown]
	s_mov_b32 s3, exec_lo
	v_cmpx_gt_i64_e64 s[36:37], v[71:72]
	s_cbranch_execz .LBB40_62
; %bb.61:                               ;   in Loop: Header=BB40_55 Depth=1
	v_add_co_u32 v1, vcc_lo, v80, v38
	v_add_co_ci_u32_e32 v2, vcc_lo, v81, v39, vcc_lo
	v_add_co_u32 v4, vcc_lo, v82, v38
	v_add_co_ci_u32_e32 v5, vcc_lo, v83, v39, vcc_lo
	global_load_b64 v[1:2], v[1:2], off
	v_mov_b32_e32 v16, v3
	v_mov_b32_e32 v6, v3
	global_load_b64 v[20:21], v[4:5], off
	v_mov_b32_e32 v4, v3
	v_mov_b32_e32 v5, v3
	;; [unrolled: 1-line block ×11, first 2 shown]
	s_waitcnt vmcnt(1)
	v_dual_mov_b32 v22, v3 :: v_dual_mov_b32 v19, v16
	v_mov_b32_e32 v23, v3
	v_dual_mov_b32 v24, v3 :: v_dual_mov_b32 v17, v14
	v_mov_b32_e32 v31, v3
	v_mov_b32_e32 v33, v3
	;; [unrolled: 1-line block ×4, first 2 shown]
	v_dual_mov_b32 v26, v3 :: v_dual_mov_b32 v15, v12
	v_mov_b32_e32 v14, v11
	v_dual_mov_b32 v28, v3 :: v_dual_mov_b32 v13, v10
	v_dual_mov_b32 v25, v3 :: v_dual_mov_b32 v12, v9
	;; [unrolled: 1-line block ×3, first 2 shown]
	v_mov_b32_e32 v10, v7
	v_dual_mov_b32 v32, v3 :: v_dual_mov_b32 v9, v6
	v_dual_mov_b32 v27, v3 :: v_dual_mov_b32 v8, v5
	;; [unrolled: 1-line block ×3, first 2 shown]
	v_mov_b32_e32 v6, v3
	v_mov_b32_e32 v35, v3
	;; [unrolled: 1-line block ×3, first 2 shown]
	v_dual_mov_b32 v29, v3 :: v_dual_mov_b32 v4, v1
.LBB40_62:                              ;   in Loop: Header=BB40_55 Depth=1
	s_or_b32 exec_lo, exec_lo, s3
	v_add_co_u32 v1, vcc_lo, v71, 1
	v_add_co_ci_u32_e32 v2, vcc_lo, 0, v72, vcc_lo
	s_mov_b32 s3, exec_lo
	s_delay_alu instid0(VALU_DEP_1)
	v_cmpx_gt_i64_e64 s[36:37], v[1:2]
	s_cbranch_execz .LBB40_64
; %bb.63:                               ;   in Loop: Header=BB40_55 Depth=1
	v_add_co_u32 v1, vcc_lo, v108, v38
	v_add_co_ci_u32_e32 v2, vcc_lo, v109, v39, vcc_lo
	v_add_co_u32 v22, vcc_lo, v110, v38
	v_add_co_ci_u32_e32 v23, vcc_lo, v111, v39, vcc_lo
	global_load_b64 v[6:7], v[1:2], off
	global_load_b64 v[22:23], v[22:23], off
.LBB40_64:                              ;   in Loop: Header=BB40_55 Depth=1
	s_or_b32 exec_lo, exec_lo, s3
	v_add_co_u32 v1, vcc_lo, v71, 2
	v_add_co_ci_u32_e32 v2, vcc_lo, 0, v72, vcc_lo
	s_mov_b32 s3, exec_lo
	s_delay_alu instid0(VALU_DEP_1)
	v_cmpx_gt_i64_e64 s[36:37], v[1:2]
	s_cbranch_execz .LBB40_66
; %bb.65:                               ;   in Loop: Header=BB40_55 Depth=1
	v_add_co_u32 v1, vcc_lo, v104, v38
	v_add_co_ci_u32_e32 v2, vcc_lo, v105, v39, vcc_lo
	v_add_co_u32 v24, vcc_lo, v106, v38
	v_add_co_ci_u32_e32 v25, vcc_lo, v107, v39, vcc_lo
	global_load_b64 v[8:9], v[1:2], off
	global_load_b64 v[24:25], v[24:25], off
.LBB40_66:                              ;   in Loop: Header=BB40_55 Depth=1
	;; [unrolled: 15-line block ×7, first 2 shown]
	s_or_b32 exec_lo, exec_lo, s3
	s_waitcnt vmcnt(1)
	ds_bpermute_b32 v1, v3, v75
	ds_bpermute_b32 v2, v3, v76
	s_waitcnt vmcnt(0)
	ds_bpermute_b32 v112, v3, v73
	ds_bpermute_b32 v113, v3, v74
	s_waitcnt lgkmcnt(2)
	v_add_f64 v[1:2], v[20:21], -v[1:2]
	ds_bpermute_b32 v20, v3, v75 offset:4
	ds_bpermute_b32 v21, v3, v76 offset:4
	s_waitcnt lgkmcnt(0)
	v_add_f64 v[20:21], v[22:23], -v[20:21]
	ds_bpermute_b32 v22, v3, v75 offset:8
	ds_bpermute_b32 v23, v3, v76 offset:8
	v_mul_f64 v[1:2], v[4:5], v[1:2]
	v_add_f64 v[4:5], v[51:52], v[4:5]
	s_waitcnt lgkmcnt(0)
	v_add_f64 v[22:23], v[24:25], -v[22:23]
	ds_bpermute_b32 v24, v3, v75 offset:12
	ds_bpermute_b32 v25, v3, v76 offset:12
	v_mul_f64 v[20:21], v[6:7], v[20:21]
	s_waitcnt lgkmcnt(0)
	v_add_f64 v[24:25], v[26:27], -v[24:25]
	v_fma_f64 v[1:2], v[1:2], v[112:113], v[49:50]
	ds_bpermute_b32 v112, v3, v73 offset:4
	ds_bpermute_b32 v113, v3, v74 offset:4
	v_add_f64 v[4:5], v[6:7], v[4:5]
	v_mul_f64 v[6:7], v[8:9], v[22:23]
	ds_bpermute_b32 v22, v3, v73 offset:8
	ds_bpermute_b32 v23, v3, v74 offset:8
	v_mul_f64 v[24:25], v[10:11], v[24:25]
	s_waitcnt lgkmcnt(2)
	v_fma_f64 v[1:2], v[20:21], v[112:113], v[1:2]
	ds_bpermute_b32 v20, v3, v75 offset:16
	ds_bpermute_b32 v21, v3, v76 offset:16
	v_add_f64 v[4:5], v[8:9], v[4:5]
	ds_bpermute_b32 v8, v3, v73 offset:12
	ds_bpermute_b32 v9, v3, v74 offset:12
	s_waitcnt lgkmcnt(2)
	v_add_f64 v[20:21], v[28:29], -v[20:21]
	v_fma_f64 v[1:2], v[6:7], v[22:23], v[1:2]
	ds_bpermute_b32 v6, v3, v75 offset:20
	ds_bpermute_b32 v7, v3, v76 offset:20
	v_add_f64 v[4:5], v[10:11], v[4:5]
	ds_bpermute_b32 v10, v3, v73 offset:16
	ds_bpermute_b32 v11, v3, v74 offset:16
	;; [unrolled: 1-line block ×4, first 2 shown]
	s_waitcnt lgkmcnt(4)
	v_add_f64 v[6:7], v[30:31], -v[6:7]
	v_mul_f64 v[20:21], v[12:13], v[20:21]
	v_fma_f64 v[1:2], v[24:25], v[8:9], v[1:2]
	ds_bpermute_b32 v8, v3, v75 offset:24
	ds_bpermute_b32 v9, v3, v76 offset:24
	v_add_f64 v[4:5], v[12:13], v[4:5]
	ds_bpermute_b32 v12, v3, v73 offset:20
	ds_bpermute_b32 v13, v3, v74 offset:20
	s_waitcnt lgkmcnt(2)
	v_add_f64 v[8:9], v[32:33], -v[8:9]
	v_mul_f64 v[6:7], v[14:15], v[6:7]
	v_fma_f64 v[1:2], v[20:21], v[10:11], v[1:2]
	v_add_f64 v[10:11], v[34:35], -v[22:23]
	v_add_f64 v[4:5], v[14:15], v[4:5]
	ds_bpermute_b32 v14, v3, v73 offset:28
	ds_bpermute_b32 v15, v3, v74 offset:28
	v_mul_f64 v[8:9], v[16:17], v[8:9]
	s_waitcnt lgkmcnt(2)
	v_fma_f64 v[6:7], v[6:7], v[12:13], v[1:2]
	v_mul_f64 v[10:11], v[18:19], v[10:11]
	ds_bpermute_b32 v12, v3, v73 offset:24
	ds_bpermute_b32 v13, v3, v74 offset:24
	v_add_f64 v[1:2], v[16:17], v[4:5]
	s_waitcnt lgkmcnt(0)
	v_fma_f64 v[6:7], v[8:9], v[12:13], v[6:7]
	v_mul_f64 v[4:5], v[10:11], v[14:15]
	s_branch .LBB40_54
.LBB40_77:                              ;   in Loop: Header=BB40_55 Depth=1
                                        ; implicit-def: $vgpr18_vgpr19
                                        ; implicit-def: $vgpr4_vgpr5
                                        ; implicit-def: $vgpr1_vgpr2
                                        ; implicit-def: $vgpr6_vgpr7
	s_cbranch_execz .LBB40_54
; %bb.78:                               ;   in Loop: Header=BB40_55 Depth=1
	s_load_b32 s3, s[4:5], 0x0
	s_waitcnt lgkmcnt(0)
	s_cmp_lt_u32 s14, s3
	s_cselect_b32 s3, 12, 18
	s_delay_alu instid0(SALU_CYCLE_1)
	s_add_u32 s18, s4, s3
	s_addc_u32 s19, s5, 0
	s_mov_b32 s3, exec_lo
	global_load_u16 v1, v3, s[18:19]
	s_waitcnt vmcnt(0)
	v_mad_u32_u24 v4, v48, v1, v77
	v_mov_b32_e32 v1, 0
	v_mov_b32_e32 v2, 0
	s_delay_alu instid0(VALU_DEP_1) | instskip(NEXT) | instid1(VALU_DEP_3)
	v_dual_mov_b32 v5, v2 :: v_dual_and_b32 v6, 31, v4
	v_mov_b32_e32 v4, v1
	s_delay_alu instid0(VALU_DEP_2)
	v_cmpx_gt_u32_e32 8, v6
	s_cbranch_execz .LBB40_53
; %bb.79:                               ;   in Loop: Header=BB40_55 Depth=1
	v_mov_b32_e32 v4, 0
	v_mov_b32_e32 v5, 0
	v_add_co_u32 v6, vcc_lo, v71, v6
	v_add_co_ci_u32_e32 v7, vcc_lo, 0, v72, vcc_lo
	s_delay_alu instid0(VALU_DEP_3) | instskip(SKIP_1) | instid1(VALU_DEP_2)
	v_dual_mov_b32 v1, v4 :: v_dual_mov_b32 v2, v5
	s_mov_b32 s7, exec_lo
	v_cmpx_gt_i64_e64 s[36:37], v[6:7]
	s_cbranch_execz .LBB40_52
; %bb.80:                               ;   in Loop: Header=BB40_55 Depth=1
	v_lshlrev_b64 v[1:2], 3, v[6:7]
	s_delay_alu instid0(VALU_DEP_1) | instskip(NEXT) | instid1(VALU_DEP_2)
	v_add_co_u32 v4, vcc_lo, s8, v1
	v_add_co_ci_u32_e32 v5, vcc_lo, s9, v2, vcc_lo
	v_add_co_u32 v1, vcc_lo, s10, v1
	v_add_co_ci_u32_e32 v2, vcc_lo, s11, v2, vcc_lo
	global_load_b64 v[4:5], v[4:5], off
	global_load_b64 v[1:2], v[1:2], off
	s_branch .LBB40_52
.LBB40_81:
	v_and_b32_e32 v1, 0x3ff, v0
	s_mov_b32 s15, 0
	s_mov_b32 s3, exec_lo
	s_lshl_b64 s[4:5], s[14:15], 5
	s_delay_alu instid0(SALU_CYCLE_1) | instskip(SKIP_1) | instid1(VALU_DEP_1)
	v_mov_b32_e32 v5, s5
	v_or_b32_e32 v4, s4, v1
	v_cmpx_gt_i64_e64 s[38:39], v[4:5]
	s_cbranch_execz .LBB40_86
; %bb.82:
	s_clause 0x1
	s_load_b32 s3, s[0:1], 0x4c
	s_load_b128 s[4:7], s[0:1], 0x30
	v_bfe_u32 v0, v0, 10, 10
	v_mov_b32_e32 v1, 0
	s_waitcnt lgkmcnt(0)
	s_lshr_b32 s0, s3, 16
	s_cmp_eq_u64 s[4:5], 0
	s_delay_alu instid0(VALU_DEP_1) | instskip(SKIP_1) | instid1(VALU_DEP_2)
	v_mad_u64_u32 v[2:3], null, s0, s2, v[0:1]
	v_lshlrev_b64 v[0:1], 3, v[4:5]
	v_mul_lo_u32 v3, v3, s38
	s_delay_alu instid0(VALU_DEP_3)
	v_mul_lo_u32 v6, v2, s39
	s_cbranch_scc1 .LBB40_84
; %bb.83:
	v_mad_u64_u32 v[4:5], null, v2, s38, 0
	s_delay_alu instid0(VALU_DEP_1) | instskip(NEXT) | instid1(VALU_DEP_1)
	v_add3_u32 v5, v5, v6, v3
	v_lshlrev_b64 v[4:5], 3, v[4:5]
	s_delay_alu instid0(VALU_DEP_1) | instskip(NEXT) | instid1(VALU_DEP_2)
	v_add_co_u32 v4, vcc_lo, s4, v4
	v_add_co_ci_u32_e32 v5, vcc_lo, s5, v5, vcc_lo
	s_delay_alu instid0(VALU_DEP_2) | instskip(NEXT) | instid1(VALU_DEP_2)
	v_add_co_u32 v4, vcc_lo, v4, v0
	v_add_co_ci_u32_e32 v5, vcc_lo, v5, v1, vcc_lo
	global_store_b64 v[4:5], v[49:50], off
.LBB40_84:
	s_cmp_eq_u64 s[6:7], 0
	s_cbranch_scc1 .LBB40_86
; %bb.85:
	v_mad_u64_u32 v[4:5], null, v2, s38, 0
	s_delay_alu instid0(VALU_DEP_1) | instskip(NEXT) | instid1(VALU_DEP_1)
	v_add3_u32 v5, v5, v6, v3
	v_lshlrev_b64 v[2:3], 3, v[4:5]
	s_delay_alu instid0(VALU_DEP_1) | instskip(NEXT) | instid1(VALU_DEP_2)
	v_add_co_u32 v2, vcc_lo, s6, v2
	v_add_co_ci_u32_e32 v3, vcc_lo, s7, v3, vcc_lo
	s_delay_alu instid0(VALU_DEP_2) | instskip(NEXT) | instid1(VALU_DEP_2)
	v_add_co_u32 v0, vcc_lo, v2, v0
	v_add_co_ci_u32_e32 v1, vcc_lo, v3, v1, vcc_lo
	global_store_b64 v[0:1], v[51:52], off
.LBB40_86:
	s_nop 0
	s_sendmsg sendmsg(MSG_DEALLOC_VGPRS)
	s_endpgm
	.section	.rodata,"a",@progbits
	.p2align	6, 0x0
	.amdhsa_kernel _ZN2at6native12_GLOBAL__N_135GammaBetaBackwardCUDAKernelTemplateIddLj32ELj1ELj8ELb1ELb0ELb0EEEvllPKT_S5_PKT0_S8_PS3_S9_
		.amdhsa_group_segment_fixed_size 0
		.amdhsa_private_segment_fixed_size 0
		.amdhsa_kernarg_size 320
		.amdhsa_user_sgpr_count 14
		.amdhsa_user_sgpr_dispatch_ptr 0
		.amdhsa_user_sgpr_queue_ptr 0
		.amdhsa_user_sgpr_kernarg_segment_ptr 1
		.amdhsa_user_sgpr_dispatch_id 0
		.amdhsa_user_sgpr_private_segment_size 0
		.amdhsa_wavefront_size32 1
		.amdhsa_uses_dynamic_stack 0
		.amdhsa_enable_private_segment 0
		.amdhsa_system_sgpr_workgroup_id_x 1
		.amdhsa_system_sgpr_workgroup_id_y 1
		.amdhsa_system_sgpr_workgroup_id_z 0
		.amdhsa_system_sgpr_workgroup_info 0
		.amdhsa_system_vgpr_workitem_id 1
		.amdhsa_next_free_vgpr 114
		.amdhsa_next_free_sgpr 47
		.amdhsa_reserve_vcc 1
		.amdhsa_float_round_mode_32 0
		.amdhsa_float_round_mode_16_64 0
		.amdhsa_float_denorm_mode_32 3
		.amdhsa_float_denorm_mode_16_64 3
		.amdhsa_dx10_clamp 1
		.amdhsa_ieee_mode 1
		.amdhsa_fp16_overflow 0
		.amdhsa_workgroup_processor_mode 1
		.amdhsa_memory_ordered 1
		.amdhsa_forward_progress 0
		.amdhsa_shared_vgpr_count 0
		.amdhsa_exception_fp_ieee_invalid_op 0
		.amdhsa_exception_fp_denorm_src 0
		.amdhsa_exception_fp_ieee_div_zero 0
		.amdhsa_exception_fp_ieee_overflow 0
		.amdhsa_exception_fp_ieee_underflow 0
		.amdhsa_exception_fp_ieee_inexact 0
		.amdhsa_exception_int_div_zero 0
	.end_amdhsa_kernel
	.section	.text._ZN2at6native12_GLOBAL__N_135GammaBetaBackwardCUDAKernelTemplateIddLj32ELj1ELj8ELb1ELb0ELb0EEEvllPKT_S5_PKT0_S8_PS3_S9_,"axG",@progbits,_ZN2at6native12_GLOBAL__N_135GammaBetaBackwardCUDAKernelTemplateIddLj32ELj1ELj8ELb1ELb0ELb0EEEvllPKT_S5_PKT0_S8_PS3_S9_,comdat
.Lfunc_end40:
	.size	_ZN2at6native12_GLOBAL__N_135GammaBetaBackwardCUDAKernelTemplateIddLj32ELj1ELj8ELb1ELb0ELb0EEEvllPKT_S5_PKT0_S8_PS3_S9_, .Lfunc_end40-_ZN2at6native12_GLOBAL__N_135GammaBetaBackwardCUDAKernelTemplateIddLj32ELj1ELj8ELb1ELb0ELb0EEEvllPKT_S5_PKT0_S8_PS3_S9_
                                        ; -- End function
	.section	.AMDGPU.csdata,"",@progbits
; Kernel info:
; codeLenInByte = 9344
; NumSgprs: 49
; NumVgprs: 114
; ScratchSize: 0
; MemoryBound: 1
; FloatMode: 240
; IeeeMode: 1
; LDSByteSize: 0 bytes/workgroup (compile time only)
; SGPRBlocks: 6
; VGPRBlocks: 14
; NumSGPRsForWavesPerEU: 49
; NumVGPRsForWavesPerEU: 114
; Occupancy: 12
; WaveLimiterHint : 0
; COMPUTE_PGM_RSRC2:SCRATCH_EN: 0
; COMPUTE_PGM_RSRC2:USER_SGPR: 14
; COMPUTE_PGM_RSRC2:TRAP_HANDLER: 0
; COMPUTE_PGM_RSRC2:TGID_X_EN: 1
; COMPUTE_PGM_RSRC2:TGID_Y_EN: 1
; COMPUTE_PGM_RSRC2:TGID_Z_EN: 0
; COMPUTE_PGM_RSRC2:TIDIG_COMP_CNT: 1
	.section	.text._ZN2at6native12_GLOBAL__N_135GammaBetaBackwardCUDAKernelTemplateIddLj32ELj8ELj64ELb0ELb1ELb0EEEvllPKT_S5_PKT0_S8_PS3_S9_,"axG",@progbits,_ZN2at6native12_GLOBAL__N_135GammaBetaBackwardCUDAKernelTemplateIddLj32ELj8ELj64ELb0ELb1ELb0EEEvllPKT_S5_PKT0_S8_PS3_S9_,comdat
	.globl	_ZN2at6native12_GLOBAL__N_135GammaBetaBackwardCUDAKernelTemplateIddLj32ELj8ELj64ELb0ELb1ELb0EEEvllPKT_S5_PKT0_S8_PS3_S9_ ; -- Begin function _ZN2at6native12_GLOBAL__N_135GammaBetaBackwardCUDAKernelTemplateIddLj32ELj8ELj64ELb0ELb1ELb0EEEvllPKT_S5_PKT0_S8_PS3_S9_
	.p2align	8
	.type	_ZN2at6native12_GLOBAL__N_135GammaBetaBackwardCUDAKernelTemplateIddLj32ELj8ELj64ELb0ELb1ELb0EEEvllPKT_S5_PKT0_S8_PS3_S9_,@function
_ZN2at6native12_GLOBAL__N_135GammaBetaBackwardCUDAKernelTemplateIddLj32ELj8ELj64ELb0ELb1ELb0EEEvllPKT_S5_PKT0_S8_PS3_S9_: ; @_ZN2at6native12_GLOBAL__N_135GammaBetaBackwardCUDAKernelTemplateIddLj32ELj8ELj64ELb0ELb1ELb0EEEvllPKT_S5_PKT0_S8_PS3_S9_
; %bb.0:
	s_load_b128 s[20:23], s[0:1], 0x0
	s_mov_b32 s3, 0
	s_lshl_b32 s2, s15, 6
	v_bfe_u32 v17, v0, 10, 10
	s_waitcnt lgkmcnt(0)
	v_cmp_lt_i64_e64 s4, s[2:3], s[20:21]
	s_delay_alu instid0(VALU_DEP_1)
	s_and_b32 vcc_lo, exec_lo, s4
	s_cbranch_vccnz .LBB41_2
; %bb.1:
	v_bfe_u32 v2, v0, 10, 10
	s_mov_b64 s[4:5], 0
	s_mov_b32 s6, s3
	s_branch .LBB41_3
.LBB41_2:
	s_mov_b32 s6, -1
                                        ; implicit-def: $sgpr4_sgpr5
                                        ; implicit-def: $vgpr2
.LBB41_3:
	s_load_b128 s[16:19], s[0:1], 0x30
	v_dual_mov_b32 v11, s5 :: v_dual_and_b32 v16, 0x3ff, v0
	v_dual_mov_b32 v9, s5 :: v_dual_mov_b32 v8, s4
	v_mov_b32_e32 v10, s4
	s_and_not1_b32 vcc_lo, exec_lo, s6
	s_cbranch_vccnz .LBB41_11
; %bb.4:
	s_clause 0x2
	s_load_b32 s12, s[0:1], 0x4c
	s_load_b32 s15, s[0:1], 0x44
	s_load_b256 s[4:11], s[0:1], 0x10
	v_dual_mov_b32 v19, 4 :: v_dual_lshlrev_b32 v2, 3, v17
	v_dual_mov_b32 v18, 8 :: v_dual_mov_b32 v1, 0
	v_lshl_add_u32 v0, s14, 5, v16
	s_delay_alu instid0(VALU_DEP_3) | instskip(NEXT) | instid1(VALU_DEP_1)
	v_add_co_u32 v4, s0, v2, s2
	v_add_co_ci_u32_e64 v5, null, 0, 0, s0
	v_mov_b32_e32 v2, 0
	s_delay_alu instid0(VALU_DEP_3) | instskip(SKIP_1) | instid1(VALU_DEP_4)
	v_mul_lo_u32 v10, s23, v4
	v_mad_u64_u32 v[6:7], null, s22, v4, 0
	v_mul_lo_u32 v11, s22, v5
	v_dual_mov_b32 v24, 28 :: v_dual_mov_b32 v3, 0
	v_dual_mov_b32 v20, 12 :: v_dual_mov_b32 v21, 16
	s_waitcnt lgkmcnt(0)
	s_and_b32 s0, s12, 0xffff
	s_lshl_b32 s12, s15, 6
	v_mad_u32_u24 v8, v17, s0, v16
	s_delay_alu instid0(VALU_DEP_4)
	v_add3_u32 v7, v7, v11, v10
	s_mul_i32 s1, s23, s12
	s_mul_hi_u32 s15, s22, s12
	v_dual_mov_b32 v22, 20 :: v_dual_mov_b32 v23, 24
	v_and_b32_e32 v12, 31, v8
	v_lshlrev_b64 v[8:9], 3, v[0:1]
	v_lshlrev_b64 v[10:11], 3, v[6:7]
	s_mov_b32 s13, 0
	s_add_i32 s27, s15, s1
	v_add_co_u32 v4, vcc_lo, v4, v12
	v_add_co_ci_u32_e32 v5, vcc_lo, 0, v5, vcc_lo
	s_delay_alu instid0(VALU_DEP_3) | instskip(SKIP_2) | instid1(VALU_DEP_4)
	v_add_co_u32 v0, vcc_lo, v10, v8
	v_add_co_ci_u32_e32 v25, vcc_lo, v11, v9, vcc_lo
	v_mov_b32_e32 v11, v3
	v_lshlrev_b64 v[6:7], 3, v[4:5]
	v_dual_mov_b32 v10, v2 :: v_dual_mov_b32 v9, v3
	v_cmp_gt_u32_e64 s0, 8, v12
	v_mov_b32_e32 v8, v2
	s_mul_i32 s26, s22, s12
	s_lshl_b64 s[24:25], s[12:13], 3
	s_lshl_b64 s[26:27], s[26:27], 3
	;; [unrolled: 1-line block ×3, first 2 shown]
	s_branch .LBB41_7
.LBB41_5:                               ;   in Loop: Header=BB41_7 Depth=1
	s_or_b32 exec_lo, exec_lo, s13
.LBB41_6:                               ;   in Loop: Header=BB41_7 Depth=1
	s_delay_alu instid0(SALU_CYCLE_1)
	s_or_b32 exec_lo, exec_lo, s1
	v_add_co_u32 v26, vcc_lo, s6, v0
	v_add_co_ci_u32_e32 v27, vcc_lo, s7, v25, vcc_lo
	s_waitcnt vmcnt(1)
	ds_bpermute_b32 v58, v1, v14
	ds_bpermute_b32 v59, v1, v15
	s_waitcnt vmcnt(0)
	ds_bpermute_b32 v60, v1, v12
	global_load_b64 v[28:29], v[26:27], off
	v_add_co_u32 v26, vcc_lo, v26, s22
	v_add_co_ci_u32_e32 v27, vcc_lo, s23, v27, vcc_lo
	v_add_co_u32 v30, vcc_lo, s4, v0
	v_add_co_ci_u32_e32 v31, vcc_lo, s5, v25, vcc_lo
	global_load_b64 v[32:33], v[26:27], off
	global_load_b64 v[34:35], v[30:31], off
	v_add_co_u32 v26, vcc_lo, v26, s22
	v_add_co_ci_u32_e32 v27, vcc_lo, s23, v27, vcc_lo
	v_add_co_u32 v30, vcc_lo, v30, s22
	v_add_co_ci_u32_e32 v31, vcc_lo, s23, v31, vcc_lo
	global_load_b64 v[36:37], v[26:27], off
	global_load_b64 v[38:39], v[30:31], off
	v_add_co_u32 v26, vcc_lo, v26, s22
	v_add_co_ci_u32_e32 v27, vcc_lo, s23, v27, vcc_lo
	v_add_co_u32 v30, vcc_lo, v30, s22
	v_add_co_ci_u32_e32 v31, vcc_lo, s23, v31, vcc_lo
	global_load_b64 v[40:41], v[26:27], off
	global_load_b64 v[42:43], v[30:31], off
	v_add_co_u32 v26, vcc_lo, v26, s22
	v_add_co_ci_u32_e32 v27, vcc_lo, s23, v27, vcc_lo
	v_add_co_u32 v30, vcc_lo, v30, s22
	v_add_co_ci_u32_e32 v31, vcc_lo, s23, v31, vcc_lo
	global_load_b64 v[44:45], v[26:27], off
	global_load_b64 v[46:47], v[30:31], off
	v_add_co_u32 v26, vcc_lo, v26, s22
	v_add_co_ci_u32_e32 v27, vcc_lo, s23, v27, vcc_lo
	v_add_co_u32 v30, vcc_lo, v30, s22
	v_add_co_ci_u32_e32 v31, vcc_lo, s23, v31, vcc_lo
	global_load_b64 v[48:49], v[26:27], off
	global_load_b64 v[50:51], v[30:31], off
	v_add_co_u32 v26, vcc_lo, v26, s22
	v_add_co_ci_u32_e32 v27, vcc_lo, s23, v27, vcc_lo
	v_add_co_u32 v30, vcc_lo, v30, s22
	v_add_co_ci_u32_e32 v31, vcc_lo, s23, v31, vcc_lo
	global_load_b64 v[52:53], v[26:27], off
	global_load_b64 v[54:55], v[30:31], off
	v_add_co_u32 v26, vcc_lo, v26, s22
	v_add_co_ci_u32_e32 v27, vcc_lo, s23, v27, vcc_lo
	v_add_co_u32 v30, vcc_lo, v30, s22
	v_add_co_ci_u32_e32 v31, vcc_lo, s23, v31, vcc_lo
	global_load_b64 v[26:27], v[26:27], off
	global_load_b64 v[56:57], v[30:31], off
	v_add_co_u32 v30, vcc_lo, v30, s22
	v_add_co_ci_u32_e32 v31, vcc_lo, s23, v31, vcc_lo
	ds_bpermute_b32 v61, v1, v13
	v_add_co_u32 v6, vcc_lo, v6, s24
	global_load_b64 v[30:31], v[30:31], off
	s_add_u32 s2, s2, s12
	v_add_co_ci_u32_e32 v7, vcc_lo, s25, v7, vcc_lo
	s_addc_u32 s3, s3, 0
	v_add_co_u32 v4, vcc_lo, v4, s12
	v_cmp_lt_i64_e64 s1, s[2:3], s[20:21]
	v_add_co_ci_u32_e32 v5, vcc_lo, 0, v5, vcc_lo
	v_add_co_u32 v0, vcc_lo, v0, s26
	v_add_co_ci_u32_e32 v25, vcc_lo, s27, v25, vcc_lo
	s_delay_alu instid0(VALU_DEP_4)
	s_and_b32 vcc_lo, exec_lo, s1
	s_waitcnt vmcnt(15) lgkmcnt(2)
	v_add_f64 v[28:29], v[28:29], -v[58:59]
	ds_bpermute_b32 v58, v19, v14
	ds_bpermute_b32 v59, v19, v15
	s_waitcnt vmcnt(13)
	v_add_f64 v[8:9], v[8:9], v[34:35]
	s_waitcnt lgkmcnt(0)
	v_add_f64 v[32:33], v[32:33], -v[58:59]
	ds_bpermute_b32 v58, v18, v14
	ds_bpermute_b32 v59, v18, v15
	v_mul_f64 v[28:29], v[34:35], v[28:29]
	ds_bpermute_b32 v34, v19, v12
	ds_bpermute_b32 v35, v19, v13
	s_waitcnt vmcnt(12) lgkmcnt(2)
	v_add_f64 v[36:37], v[36:37], -v[58:59]
	s_waitcnt vmcnt(11)
	v_add_f64 v[8:9], v[8:9], v[38:39]
	v_mul_f64 v[32:33], v[38:39], v[32:33]
	v_fma_f64 v[10:11], v[28:29], v[60:61], v[10:11]
	ds_bpermute_b32 v28, v20, v14
	ds_bpermute_b32 v29, v20, v15
	s_waitcnt vmcnt(9)
	v_mul_f64 v[36:37], v[42:43], v[36:37]
	v_add_f64 v[8:9], v[8:9], v[42:43]
	s_waitcnt lgkmcnt(0)
	v_add_f64 v[28:29], v[40:41], -v[28:29]
	v_fma_f64 v[10:11], v[32:33], v[34:35], v[10:11]
	ds_bpermute_b32 v32, v21, v14
	ds_bpermute_b32 v33, v21, v15
	;; [unrolled: 1-line block ×4, first 2 shown]
	s_waitcnt vmcnt(7)
	v_add_f64 v[8:9], v[8:9], v[46:47]
	s_waitcnt lgkmcnt(2)
	v_add_f64 v[32:33], v[44:45], -v[32:33]
	v_mul_f64 v[28:29], v[46:47], v[28:29]
	s_waitcnt lgkmcnt(0)
	v_fma_f64 v[10:11], v[36:37], v[34:35], v[10:11]
	ds_bpermute_b32 v34, v22, v14
	ds_bpermute_b32 v35, v22, v15
	;; [unrolled: 1-line block ×4, first 2 shown]
	s_waitcnt vmcnt(5)
	v_add_f64 v[8:9], v[8:9], v[50:51]
	s_waitcnt lgkmcnt(2)
	v_add_f64 v[34:35], v[48:49], -v[34:35]
	v_mul_f64 v[32:33], v[50:51], v[32:33]
	s_waitcnt lgkmcnt(0)
	v_fma_f64 v[10:11], v[28:29], v[36:37], v[10:11]
	ds_bpermute_b32 v28, v23, v14
	ds_bpermute_b32 v29, v23, v15
	;; [unrolled: 1-line block ×6, first 2 shown]
	s_waitcnt vmcnt(3)
	v_add_f64 v[8:9], v[8:9], v[54:55]
	s_waitcnt lgkmcnt(4)
	v_add_f64 v[28:29], v[52:53], -v[28:29]
	v_mul_f64 v[34:35], v[54:55], v[34:35]
	s_waitcnt vmcnt(2) lgkmcnt(0)
	v_add_f64 v[14:15], v[26:27], -v[14:15]
	v_fma_f64 v[10:11], v[32:33], v[36:37], v[10:11]
	ds_bpermute_b32 v32, v22, v12
	ds_bpermute_b32 v33, v22, v13
	s_waitcnt vmcnt(1)
	v_add_f64 v[8:9], v[8:9], v[56:57]
	v_mul_f64 v[26:27], v[56:57], v[28:29]
	ds_bpermute_b32 v28, v23, v12
	ds_bpermute_b32 v29, v23, v13
	;; [unrolled: 1-line block ×3, first 2 shown]
	s_waitcnt vmcnt(0)
	v_mul_f64 v[14:15], v[30:31], v[14:15]
	ds_bpermute_b32 v13, v24, v13
	s_waitcnt lgkmcnt(4)
	v_fma_f64 v[10:11], v[34:35], v[32:33], v[10:11]
	v_add_f64 v[8:9], v[8:9], v[30:31]
	s_waitcnt lgkmcnt(2)
	s_delay_alu instid0(VALU_DEP_2) | instskip(SKIP_1) | instid1(VALU_DEP_1)
	v_fma_f64 v[10:11], v[26:27], v[28:29], v[10:11]
	s_waitcnt lgkmcnt(0)
	v_fma_f64 v[10:11], v[14:15], v[12:13], v[10:11]
	s_cbranch_vccz .LBB41_10
.LBB41_7:                               ; =>This Inner Loop Header: Depth=1
	v_dual_mov_b32 v13, v3 :: v_dual_mov_b32 v12, v2
	v_dual_mov_b32 v15, v3 :: v_dual_mov_b32 v14, v2
	s_and_saveexec_b32 s1, s0
	s_cbranch_execz .LBB41_6
; %bb.8:                                ;   in Loop: Header=BB41_7 Depth=1
	v_mov_b32_e32 v14, 0
	v_mov_b32_e32 v15, 0
	s_delay_alu instid0(VALU_DEP_2) | instskip(SKIP_1) | instid1(VALU_DEP_2)
	v_mov_b32_e32 v12, v14
	s_mov_b32 s13, exec_lo
	v_mov_b32_e32 v13, v15
	v_cmpx_gt_i64_e64 s[20:21], v[4:5]
	s_cbranch_execz .LBB41_5
; %bb.9:                                ;   in Loop: Header=BB41_7 Depth=1
	v_add_co_u32 v12, vcc_lo, s8, v6
	v_add_co_ci_u32_e32 v13, vcc_lo, s9, v7, vcc_lo
	v_add_co_u32 v26, vcc_lo, s10, v6
	v_add_co_ci_u32_e32 v27, vcc_lo, s11, v7, vcc_lo
	global_load_b64 v[14:15], v[12:13], off
	global_load_b64 v[12:13], v[26:27], off
	s_branch .LBB41_5
.LBB41_10:
	v_mov_b32_e32 v2, v17
.LBB41_11:
	v_lshrrev_b32_e32 v3, 5, v16
	s_delay_alu instid0(VALU_DEP_2) | instskip(SKIP_2) | instid1(VALU_DEP_2)
	v_mad_u32_u24 v1, v2, 33, v16
	s_mov_b32 s15, 0
	s_mov_b32 s0, exec_lo
	v_add_nc_u32_e32 v0, v3, v2
	s_delay_alu instid0(VALU_DEP_2)
	v_lshl_add_u32 v1, v1, 3, 0
	ds_store_b64 v1, v[10:11]
	ds_store_b64 v1, v[8:9] offset:2112
	s_waitcnt lgkmcnt(0)
	s_barrier
	buffer_gl0_inv
	v_cmpx_gt_u32_e32 32, v0
	s_cbranch_execz .LBB41_21
; %bb.12:
	v_mbcnt_lo_u32_b32 v1, -1, 0
	s_lshl_b64 s[4:5], s[14:15], 5
	s_cmp_lg_u64 s[16:17], 0
	v_or_b32_e32 v6, s4, v3
	v_cmp_eq_u32_e64 s0, 0, v16
	v_xor_b32_e32 v5, 4, v1
	v_xor_b32_e32 v9, 2, v1
	;; [unrolled: 1-line block ×3, first 2 shown]
	v_and_b32_e32 v4, 31, v16
	s_cselect_b32 s3, -1, 0
	v_cmp_gt_i32_e32 vcc_lo, 32, v5
	s_cmp_lg_u64 s[18:19], 0
	v_add_nc_u32_e32 v11, -8, v0
	v_cmp_gt_u32_e64 s1, 8, v4
	v_mul_u32_u24_e32 v7, 33, v4
	v_cndmask_b32_e32 v8, v1, v5, vcc_lo
	v_add_co_u32 v4, s2, v6, v2
	v_cmp_gt_i32_e32 vcc_lo, 32, v9
	v_add_co_ci_u32_e64 v5, null, s5, 0, s2
	s_cselect_b32 s4, -1, 0
	v_cndmask_b32_e32 v6, v1, v9, vcc_lo
	v_cmp_gt_i32_e32 vcc_lo, 32, v10
	s_delay_alu instid0(VALU_DEP_3) | instskip(NEXT) | instid1(VALU_DEP_3)
	v_lshlrev_b64 v[4:5], 3, v[4:5]
	v_lshlrev_b32_e32 v9, 2, v6
	v_cndmask_b32_e32 v1, v1, v10, vcc_lo
	v_add3_u32 v6, v7, v2, v3
	s_delay_alu instid0(VALU_DEP_4) | instskip(SKIP_1) | instid1(VALU_DEP_4)
	v_add_co_u32 v0, vcc_lo, s18, v4
	v_lshlrev_b32_e32 v8, 2, v8
	v_lshlrev_b32_e32 v10, 2, v1
	v_add_co_ci_u32_e32 v1, vcc_lo, s19, v5, vcc_lo
	v_add_co_u32 v2, vcc_lo, s16, v4
	v_add_co_ci_u32_e32 v3, vcc_lo, s17, v5, vcc_lo
	v_lshl_add_u32 v12, v6, 3, 0
                                        ; implicit-def: $vgpr4_vgpr5
                                        ; implicit-def: $vgpr6_vgpr7
	s_branch .LBB41_14
.LBB41_13:                              ;   in Loop: Header=BB41_14 Depth=1
	s_or_b32 exec_lo, exec_lo, s2
	v_add_nc_u32_e32 v11, 8, v11
	v_add_co_u32 v0, vcc_lo, v0, 64
	v_add_co_ci_u32_e32 v1, vcc_lo, 0, v1, vcc_lo
	s_delay_alu instid0(VALU_DEP_3) | instskip(SKIP_1) | instid1(VALU_DEP_1)
	v_cmp_lt_u32_e32 vcc_lo, 23, v11
	v_add_co_u32 v2, s2, v2, 64
	v_add_co_ci_u32_e64 v3, s2, 0, v3, s2
	v_add_nc_u32_e32 v12, 64, v12
	s_or_b32 s15, vcc_lo, s15
	s_delay_alu instid0(SALU_CYCLE_1)
	s_and_not1_b32 exec_lo, exec_lo, s15
	s_cbranch_execz .LBB41_21
.LBB41_14:                              ; =>This Inner Loop Header: Depth=1
	s_and_saveexec_b32 s2, s1
	s_cbranch_execz .LBB41_16
; %bb.15:                               ;   in Loop: Header=BB41_14 Depth=1
	ds_load_b64 v[4:5], v12
	ds_load_b64 v[6:7], v12 offset:2112
.LBB41_16:                              ;   in Loop: Header=BB41_14 Depth=1
	s_or_b32 exec_lo, exec_lo, s2
	s_waitcnt lgkmcnt(1)
	ds_bpermute_b32 v13, v8, v4
	ds_bpermute_b32 v14, v8, v5
	s_waitcnt lgkmcnt(2)
	ds_bpermute_b32 v15, v8, v6
	ds_bpermute_b32 v16, v8, v7
	s_waitcnt lgkmcnt(2)
	v_add_f64 v[4:5], v[4:5], v[13:14]
	s_waitcnt lgkmcnt(0)
	v_add_f64 v[6:7], v[6:7], v[15:16]
	ds_bpermute_b32 v13, v9, v4
	ds_bpermute_b32 v14, v9, v5
	;; [unrolled: 1-line block ×4, first 2 shown]
	s_waitcnt lgkmcnt(2)
	v_add_f64 v[4:5], v[4:5], v[13:14]
	s_waitcnt lgkmcnt(0)
	v_add_f64 v[6:7], v[6:7], v[15:16]
	ds_bpermute_b32 v13, v10, v4
	ds_bpermute_b32 v14, v10, v5
	;; [unrolled: 1-line block ×4, first 2 shown]
	s_waitcnt lgkmcnt(2)
	v_add_f64 v[4:5], v[4:5], v[13:14]
	s_waitcnt lgkmcnt(0)
	v_add_f64 v[6:7], v[6:7], v[15:16]
	s_and_saveexec_b32 s2, s0
	s_cbranch_execz .LBB41_13
; %bb.17:                               ;   in Loop: Header=BB41_14 Depth=1
	s_and_not1_b32 vcc_lo, exec_lo, s3
	s_cbranch_vccnz .LBB41_19
; %bb.18:                               ;   in Loop: Header=BB41_14 Depth=1
	global_store_b64 v[2:3], v[4:5], off
.LBB41_19:                              ;   in Loop: Header=BB41_14 Depth=1
	s_and_not1_b32 vcc_lo, exec_lo, s4
	s_cbranch_vccnz .LBB41_13
; %bb.20:                               ;   in Loop: Header=BB41_14 Depth=1
	global_store_b64 v[0:1], v[6:7], off
	s_branch .LBB41_13
.LBB41_21:
	s_nop 0
	s_sendmsg sendmsg(MSG_DEALLOC_VGPRS)
	s_endpgm
	.section	.rodata,"a",@progbits
	.p2align	6, 0x0
	.amdhsa_kernel _ZN2at6native12_GLOBAL__N_135GammaBetaBackwardCUDAKernelTemplateIddLj32ELj8ELj64ELb0ELb1ELb0EEEvllPKT_S5_PKT0_S8_PS3_S9_
		.amdhsa_group_segment_fixed_size 0
		.amdhsa_private_segment_fixed_size 0
		.amdhsa_kernarg_size 320
		.amdhsa_user_sgpr_count 14
		.amdhsa_user_sgpr_dispatch_ptr 0
		.amdhsa_user_sgpr_queue_ptr 0
		.amdhsa_user_sgpr_kernarg_segment_ptr 1
		.amdhsa_user_sgpr_dispatch_id 0
		.amdhsa_user_sgpr_private_segment_size 0
		.amdhsa_wavefront_size32 1
		.amdhsa_uses_dynamic_stack 0
		.amdhsa_enable_private_segment 0
		.amdhsa_system_sgpr_workgroup_id_x 1
		.amdhsa_system_sgpr_workgroup_id_y 1
		.amdhsa_system_sgpr_workgroup_id_z 0
		.amdhsa_system_sgpr_workgroup_info 0
		.amdhsa_system_vgpr_workitem_id 1
		.amdhsa_next_free_vgpr 62
		.amdhsa_next_free_sgpr 28
		.amdhsa_reserve_vcc 1
		.amdhsa_float_round_mode_32 0
		.amdhsa_float_round_mode_16_64 0
		.amdhsa_float_denorm_mode_32 3
		.amdhsa_float_denorm_mode_16_64 3
		.amdhsa_dx10_clamp 1
		.amdhsa_ieee_mode 1
		.amdhsa_fp16_overflow 0
		.amdhsa_workgroup_processor_mode 1
		.amdhsa_memory_ordered 1
		.amdhsa_forward_progress 0
		.amdhsa_shared_vgpr_count 0
		.amdhsa_exception_fp_ieee_invalid_op 0
		.amdhsa_exception_fp_denorm_src 0
		.amdhsa_exception_fp_ieee_div_zero 0
		.amdhsa_exception_fp_ieee_overflow 0
		.amdhsa_exception_fp_ieee_underflow 0
		.amdhsa_exception_fp_ieee_inexact 0
		.amdhsa_exception_int_div_zero 0
	.end_amdhsa_kernel
	.section	.text._ZN2at6native12_GLOBAL__N_135GammaBetaBackwardCUDAKernelTemplateIddLj32ELj8ELj64ELb0ELb1ELb0EEEvllPKT_S5_PKT0_S8_PS3_S9_,"axG",@progbits,_ZN2at6native12_GLOBAL__N_135GammaBetaBackwardCUDAKernelTemplateIddLj32ELj8ELj64ELb0ELb1ELb0EEEvllPKT_S5_PKT0_S8_PS3_S9_,comdat
.Lfunc_end41:
	.size	_ZN2at6native12_GLOBAL__N_135GammaBetaBackwardCUDAKernelTemplateIddLj32ELj8ELj64ELb0ELb1ELb0EEEvllPKT_S5_PKT0_S8_PS3_S9_, .Lfunc_end41-_ZN2at6native12_GLOBAL__N_135GammaBetaBackwardCUDAKernelTemplateIddLj32ELj8ELj64ELb0ELb1ELb0EEEvllPKT_S5_PKT0_S8_PS3_S9_
                                        ; -- End function
	.section	.AMDGPU.csdata,"",@progbits
; Kernel info:
; codeLenInByte = 2092
; NumSgprs: 30
; NumVgprs: 62
; ScratchSize: 0
; MemoryBound: 0
; FloatMode: 240
; IeeeMode: 1
; LDSByteSize: 0 bytes/workgroup (compile time only)
; SGPRBlocks: 3
; VGPRBlocks: 7
; NumSGPRsForWavesPerEU: 30
; NumVGPRsForWavesPerEU: 62
; Occupancy: 16
; WaveLimiterHint : 0
; COMPUTE_PGM_RSRC2:SCRATCH_EN: 0
; COMPUTE_PGM_RSRC2:USER_SGPR: 14
; COMPUTE_PGM_RSRC2:TRAP_HANDLER: 0
; COMPUTE_PGM_RSRC2:TGID_X_EN: 1
; COMPUTE_PGM_RSRC2:TGID_Y_EN: 1
; COMPUTE_PGM_RSRC2:TGID_Z_EN: 0
; COMPUTE_PGM_RSRC2:TIDIG_COMP_CNT: 1
	.section	.text._ZN2at6native12_GLOBAL__N_135GammaBetaBackwardCUDAKernelTemplateIddLj32ELj8ELj64ELb0ELb0ELb0EEEvllPKT_S5_PKT0_S8_PS3_S9_,"axG",@progbits,_ZN2at6native12_GLOBAL__N_135GammaBetaBackwardCUDAKernelTemplateIddLj32ELj8ELj64ELb0ELb0ELb0EEEvllPKT_S5_PKT0_S8_PS3_S9_,comdat
	.globl	_ZN2at6native12_GLOBAL__N_135GammaBetaBackwardCUDAKernelTemplateIddLj32ELj8ELj64ELb0ELb0ELb0EEEvllPKT_S5_PKT0_S8_PS3_S9_ ; -- Begin function _ZN2at6native12_GLOBAL__N_135GammaBetaBackwardCUDAKernelTemplateIddLj32ELj8ELj64ELb0ELb0ELb0EEEvllPKT_S5_PKT0_S8_PS3_S9_
	.p2align	8
	.type	_ZN2at6native12_GLOBAL__N_135GammaBetaBackwardCUDAKernelTemplateIddLj32ELj8ELj64ELb0ELb0ELb0EEEvllPKT_S5_PKT0_S8_PS3_S9_,@function
_ZN2at6native12_GLOBAL__N_135GammaBetaBackwardCUDAKernelTemplateIddLj32ELj8ELj64ELb0ELb0ELb0EEEvllPKT_S5_PKT0_S8_PS3_S9_: ; @_ZN2at6native12_GLOBAL__N_135GammaBetaBackwardCUDAKernelTemplateIddLj32ELj8ELj64ELb0ELb0ELb0EEEvllPKT_S5_PKT0_S8_PS3_S9_
; %bb.0:
	s_clause 0x1
	s_load_b256 s[4:11], s[0:1], 0x0
	s_load_b128 s[36:39], s[0:1], 0x20
	s_lshl_b32 s33, s14, 5
	s_mov_b32 s13, 0
	s_or_b32 s12, s33, 31
	s_waitcnt lgkmcnt(0)
	v_cmp_ge_i64_e64 s2, s[12:13], s[6:7]
	s_lshl_b32 s12, s15, 6
	s_delay_alu instid0(SALU_CYCLE_1) | instskip(NEXT) | instid1(VALU_DEP_2)
	v_cmp_lt_i64_e64 s15, s[12:13], s[4:5]
	s_and_b32 vcc_lo, exec_lo, s2
	s_delay_alu instid0(VALU_DEP_1) | instskip(NEXT) | instid1(VALU_DEP_1)
	v_cndmask_b32_e64 v1, 0, 1, s15
	v_cmp_ne_u32_e64 s2, 1, v1
	s_cbranch_vccz .LBB42_48
; %bb.1:
	v_mov_b32_e32 v51, 0
	v_mov_b32_e32 v52, 0
	s_delay_alu instid0(VALU_DEP_2) | instskip(SKIP_1) | instid1(VALU_DEP_2)
	v_mov_b32_e32 v49, v51
	s_and_b32 vcc_lo, exec_lo, s2
	v_mov_b32_e32 v50, v52
	s_cbranch_vccnz .LBB42_49
; %bb.2:
	v_bfe_u32 v59, v0, 10, 10
	s_load_b32 s3, s[0:1], 0x44
	v_and_b32_e32 v61, 0x3ff, v0
	v_mov_b32_e32 v49, 0
	v_mov_b32_e32 v50, 0
	v_dual_mov_b32 v3, 0 :: v_dual_lshlrev_b32 v60, 3, v59
	s_delay_alu instid0(VALU_DEP_4) | instskip(SKIP_1) | instid1(VALU_DEP_3)
	v_add_nc_u32_e32 v2, s33, v61
	s_add_u32 s34, s0, 64
	v_dual_mov_b32 v52, v50 :: v_dual_mov_b32 v51, v49
	s_delay_alu instid0(VALU_DEP_3) | instskip(NEXT) | instid1(VALU_DEP_1)
	v_add_co_u32 v8, s2, v60, s12
	v_add_co_ci_u32_e64 v9, null, 0, 0, s2
	v_cmp_gt_i64_e64 s2, s[6:7], v[2:3]
	s_delay_alu instid0(VALU_DEP_3) | instskip(NEXT) | instid1(VALU_DEP_3)
	v_add_co_u32 v1, vcc_lo, v8, 7
	v_add_co_ci_u32_e32 v4, vcc_lo, 0, v9, vcc_lo
	v_add_co_u32 v10, vcc_lo, v8, 6
	s_delay_alu instid0(VALU_DEP_3) | instskip(NEXT) | instid1(VALU_DEP_3)
	v_mul_lo_u32 v6, s7, v1
	v_mul_lo_u32 v7, s6, v4
	v_mad_u64_u32 v[4:5], null, s6, v1, 0
	v_add_co_ci_u32_e32 v1, vcc_lo, 0, v9, vcc_lo
	v_lshlrev_b64 v[53:54], 3, v[2:3]
	s_addc_u32 s35, s1, 0
	s_waitcnt lgkmcnt(0)
	s_lshl_b32 s46, s3, 6
	s_mov_b32 s16, 0
	s_delay_alu instid0(VALU_DEP_3) | instskip(SKIP_3) | instid1(VALU_DEP_4)
	v_add3_u32 v5, v5, v7, v6
	v_mul_lo_u32 v6, s7, v10
	v_mul_lo_u32 v7, s6, v1
	v_mad_u64_u32 v[1:2], null, s6, v10, 0
	v_lshlrev_b64 v[4:5], 3, v[4:5]
	s_mul_i32 s3, s7, s46
	s_mul_hi_u32 s17, s6, s46
	s_mul_i32 s18, s6, s46
	s_add_i32 s19, s17, s3
	s_mov_b64 s[44:45], s[12:13]
	v_add_co_u32 v62, vcc_lo, s8, v4
	v_add_co_ci_u32_e32 v63, vcc_lo, s9, v5, vcc_lo
	v_add3_u32 v2, v2, v7, v6
	v_add_co_u32 v6, vcc_lo, v8, 5
	v_add_co_u32 v64, s3, s10, v4
	v_add_co_ci_u32_e32 v4, vcc_lo, 0, v9, vcc_lo
	v_add_co_u32 v11, vcc_lo, v8, 4
	v_add_co_ci_u32_e64 v65, s3, s11, v5, s3
	v_mul_lo_u32 v10, s7, v6
	s_delay_alu instid0(VALU_DEP_4)
	v_mul_lo_u32 v12, s6, v4
	v_mad_u64_u32 v[4:5], null, s6, v6, 0
	v_add_co_ci_u32_e32 v7, vcc_lo, 0, v9, vcc_lo
	v_lshlrev_b64 v[1:2], 3, v[1:2]
	v_mul_lo_u32 v13, s7, v11
	s_lshl_b64 s[40:41], s[18:19], 3
	s_delay_alu instid0(VALU_DEP_3) | instskip(SKIP_1) | instid1(VALU_DEP_4)
	v_mul_lo_u32 v14, s6, v7
	v_mad_u64_u32 v[6:7], null, s6, v11, 0
	v_add_co_u32 v66, vcc_lo, s8, v1
	v_add3_u32 v5, v5, v12, v10
	v_add_co_ci_u32_e32 v67, vcc_lo, s9, v2, vcc_lo
	v_add_co_u32 v68, vcc_lo, s10, v1
	v_add_co_ci_u32_e32 v69, vcc_lo, s11, v2, vcc_lo
	s_delay_alu instid0(VALU_DEP_4) | instskip(SKIP_3) | instid1(VALU_DEP_4)
	v_lshlrev_b64 v[1:2], 3, v[4:5]
	v_add3_u32 v7, v7, v14, v13
	v_add_co_u32 v10, vcc_lo, v8, 3
	v_add_co_ci_u32_e32 v11, vcc_lo, 0, v9, vcc_lo
	v_add_co_u32 v70, vcc_lo, s8, v1
	s_delay_alu instid0(VALU_DEP_4)
	v_lshlrev_b64 v[4:5], 3, v[6:7]
	v_add_co_ci_u32_e32 v71, vcc_lo, s9, v2, vcc_lo
	v_mul_lo_u32 v12, s7, v10
	v_mul_lo_u32 v11, s6, v11
	v_mad_u64_u32 v[6:7], null, s6, v10, 0
	v_add_co_u32 v72, vcc_lo, s10, v1
	v_add_co_ci_u32_e32 v73, vcc_lo, s11, v2, vcc_lo
	v_add_co_u32 v74, vcc_lo, s8, v4
	v_add_co_ci_u32_e32 v75, vcc_lo, s9, v5, vcc_lo
	v_add_co_u32 v10, vcc_lo, v8, 2
	v_add3_u32 v7, v7, v11, v12
	v_add_co_ci_u32_e32 v11, vcc_lo, 0, v9, vcc_lo
	v_add_co_u32 v76, vcc_lo, s10, v4
	v_add_co_ci_u32_e32 v77, vcc_lo, s11, v5, vcc_lo
	v_mul_lo_u32 v12, s7, v10
	s_delay_alu instid0(VALU_DEP_4)
	v_mul_lo_u32 v11, s6, v11
	v_mad_u64_u32 v[4:5], null, s6, v10, 0
	v_lshlrev_b64 v[1:2], 3, v[6:7]
	v_mul_lo_u32 v10, s7, v8
	v_mul_lo_u32 v9, s6, v9
	v_mad_u64_u32 v[6:7], null, s6, v8, 0
	s_add_u32 s42, s12, 63
	s_delay_alu instid0(VALU_DEP_4)
	v_add_co_u32 v78, vcc_lo, s8, v1
	v_add3_u32 v5, v5, v11, v12
	v_add_co_ci_u32_e32 v79, vcc_lo, s9, v2, vcc_lo
	v_add_co_u32 v80, vcc_lo, s10, v1
	v_add3_u32 v7, v7, v9, v10
	v_add_co_ci_u32_e32 v81, vcc_lo, s11, v2, vcc_lo
	v_lshlrev_b64 v[1:2], 3, v[4:5]
	v_add_co_u32 v4, vcc_lo, v6, s6
	s_delay_alu instid0(VALU_DEP_4) | instskip(SKIP_1) | instid1(VALU_DEP_3)
	v_add_co_ci_u32_e32 v5, vcc_lo, s7, v7, vcc_lo
	s_addc_u32 s43, 0, 0
	v_add_co_u32 v82, vcc_lo, s8, v1
	s_delay_alu instid0(VALU_DEP_2) | instskip(SKIP_3) | instid1(VALU_DEP_4)
	v_lshlrev_b64 v[4:5], 3, v[4:5]
	v_add_co_ci_u32_e32 v83, vcc_lo, s9, v2, vcc_lo
	v_add_co_u32 v84, vcc_lo, s10, v1
	v_add_co_ci_u32_e32 v85, vcc_lo, s11, v2, vcc_lo
	v_add_co_u32 v86, vcc_lo, s8, v4
	v_lshlrev_b64 v[1:2], 3, v[6:7]
	v_add_co_ci_u32_e32 v87, vcc_lo, s9, v5, vcc_lo
	v_add_co_u32 v88, vcc_lo, s10, v4
	v_add_co_ci_u32_e32 v89, vcc_lo, s11, v5, vcc_lo
	s_delay_alu instid0(VALU_DEP_4)
	v_add_co_u32 v90, vcc_lo, s8, v1
	v_add_co_ci_u32_e32 v91, vcc_lo, s9, v2, vcc_lo
	v_add_co_u32 v92, vcc_lo, s10, v1
	v_add_co_ci_u32_e32 v93, vcc_lo, s11, v2, vcc_lo
	s_branch .LBB42_5
.LBB42_3:                               ;   in Loop: Header=BB42_5 Depth=1
	s_or_b32 exec_lo, exec_lo, s3
	s_waitcnt vmcnt(1)
	ds_bpermute_b32 v1, v3, v55
	ds_bpermute_b32 v2, v3, v56
	ds_bpermute_b32 v4, v3, v55 offset:4
	ds_bpermute_b32 v5, v3, v56 offset:4
	;; [unrolled: 1-line block ×4, first 2 shown]
	s_waitcnt vmcnt(0)
	ds_bpermute_b32 v8, v3, v57
	ds_bpermute_b32 v9, v3, v58
	ds_bpermute_b32 v10, v3, v55 offset:12
	ds_bpermute_b32 v11, v3, v56 offset:12
	;; [unrolled: 1-line block ×4, first 2 shown]
	s_waitcnt lgkmcnt(10)
	v_add_f64 v[1:2], v[17:18], -v[1:2]
	s_waitcnt lgkmcnt(8)
	v_add_f64 v[4:5], v[19:20], -v[4:5]
	;; [unrolled: 2-line block ×4, first 2 shown]
	s_delay_alu instid0(VALU_DEP_4) | instskip(NEXT) | instid1(VALU_DEP_4)
	v_mul_f64 v[1:2], v[33:34], v[1:2]
	v_mul_f64 v[4:5], v[35:36], v[4:5]
	s_delay_alu instid0(VALU_DEP_4) | instskip(NEXT) | instid1(VALU_DEP_4)
	v_mul_f64 v[6:7], v[37:38], v[6:7]
	v_mul_f64 v[10:11], v[39:40], v[10:11]
	s_delay_alu instid0(VALU_DEP_4) | instskip(SKIP_2) | instid1(VALU_DEP_2)
	v_fma_f64 v[1:2], v[1:2], v[8:9], v[49:50]
	v_add_f64 v[8:9], v[51:52], v[33:34]
	s_waitcnt lgkmcnt(0)
	v_fma_f64 v[1:2], v[4:5], v[12:13], v[1:2]
	s_delay_alu instid0(VALU_DEP_2)
	v_add_f64 v[4:5], v[35:36], v[8:9]
	ds_bpermute_b32 v8, v3, v55 offset:16
	ds_bpermute_b32 v9, v3, v56 offset:16
	;; [unrolled: 1-line block ×4, first 2 shown]
	s_waitcnt lgkmcnt(2)
	v_add_f64 v[8:9], v[25:26], -v[8:9]
	s_waitcnt lgkmcnt(0)
	v_fma_f64 v[1:2], v[6:7], v[12:13], v[1:2]
	v_add_f64 v[4:5], v[37:38], v[4:5]
	ds_bpermute_b32 v6, v3, v55 offset:20
	ds_bpermute_b32 v7, v3, v56 offset:20
	;; [unrolled: 1-line block ×4, first 2 shown]
	s_waitcnt lgkmcnt(2)
	v_add_f64 v[6:7], v[27:28], -v[6:7]
	v_mul_f64 v[8:9], v[41:42], v[8:9]
	s_waitcnt lgkmcnt(0)
	v_fma_f64 v[1:2], v[10:11], v[12:13], v[1:2]
	v_add_f64 v[4:5], v[39:40], v[4:5]
	ds_bpermute_b32 v10, v3, v55 offset:24
	ds_bpermute_b32 v11, v3, v56 offset:24
	;; [unrolled: 1-line block ×4, first 2 shown]
	s_waitcnt lgkmcnt(2)
	v_add_f64 v[10:11], v[29:30], -v[10:11]
	v_mul_f64 v[6:7], v[43:44], v[6:7]
	s_waitcnt lgkmcnt(0)
	v_fma_f64 v[1:2], v[8:9], v[12:13], v[1:2]
	v_add_f64 v[4:5], v[41:42], v[4:5]
	ds_bpermute_b32 v8, v3, v57 offset:20
	ds_bpermute_b32 v9, v3, v58 offset:20
	v_mul_f64 v[10:11], v[45:46], v[10:11]
	s_waitcnt lgkmcnt(0)
	v_fma_f64 v[1:2], v[6:7], v[8:9], v[1:2]
	v_add_f64 v[6:7], v[43:44], v[4:5]
	ds_bpermute_b32 v4, v3, v57 offset:24
	ds_bpermute_b32 v5, v3, v58 offset:24
	;; [unrolled: 1-line block ×4, first 2 shown]
	s_waitcnt lgkmcnt(2)
	v_fma_f64 v[4:5], v[10:11], v[4:5], v[1:2]
	v_add_f64 v[6:7], v[45:46], v[6:7]
	ds_bpermute_b32 v1, v3, v57 offset:28
	ds_bpermute_b32 v2, v3, v58 offset:28
.LBB42_4:                               ;   in Loop: Header=BB42_5 Depth=1
	s_waitcnt lgkmcnt(2)
	v_add_f64 v[8:9], v[31:32], -v[8:9]
	v_add_co_u32 v62, vcc_lo, v62, s40
	v_add_co_ci_u32_e32 v63, vcc_lo, s41, v63, vcc_lo
	v_add_co_u32 v64, vcc_lo, v64, s40
	v_add_co_ci_u32_e32 v65, vcc_lo, s41, v65, vcc_lo
	;; [unrolled: 2-line block ×4, first 2 shown]
	v_add_co_u32 v70, vcc_lo, v70, s40
	v_add_f64 v[51:52], v[6:7], v[47:48]
	v_add_co_ci_u32_e32 v71, vcc_lo, s41, v71, vcc_lo
	v_add_co_u32 v72, vcc_lo, v72, s40
	v_add_co_ci_u32_e32 v73, vcc_lo, s41, v73, vcc_lo
	v_add_co_u32 v74, vcc_lo, v74, s40
	;; [unrolled: 2-line block ×4, first 2 shown]
	v_add_co_ci_u32_e32 v79, vcc_lo, s41, v79, vcc_lo
	v_mul_f64 v[8:9], v[47:48], v[8:9]
	v_add_co_u32 v80, vcc_lo, v80, s40
	v_add_co_ci_u32_e32 v81, vcc_lo, s41, v81, vcc_lo
	v_add_co_u32 v82, vcc_lo, v82, s40
	v_add_co_ci_u32_e32 v83, vcc_lo, s41, v83, vcc_lo
	;; [unrolled: 2-line block ×4, first 2 shown]
	v_add_co_u32 v88, vcc_lo, v88, s40
	s_add_u32 s44, s44, s46
	v_add_co_ci_u32_e32 v89, vcc_lo, s41, v89, vcc_lo
	s_addc_u32 s45, s45, 0
	v_add_co_u32 v90, vcc_lo, v90, s40
	v_cmp_lt_i64_e64 s3, s[44:45], s[4:5]
	v_add_co_ci_u32_e32 v91, vcc_lo, s41, v91, vcc_lo
	v_add_co_u32 v92, vcc_lo, v92, s40
	v_add_co_ci_u32_e32 v93, vcc_lo, s41, v93, vcc_lo
	s_add_u32 s42, s42, s46
	s_addc_u32 s43, s43, 0
	s_and_b32 vcc_lo, exec_lo, s3
	s_waitcnt lgkmcnt(0)
	v_fma_f64 v[49:50], v[8:9], v[1:2], v[4:5]
	s_cbranch_vccz .LBB42_49
.LBB42_5:                               ; =>This Inner Loop Header: Depth=1
	v_cmp_ge_i64_e64 s3, s[42:43], s[4:5]
	v_add_co_u32 v94, s17, v60, s42
	s_delay_alu instid0(VALU_DEP_1) | instskip(NEXT) | instid1(VALU_DEP_3)
	v_add_co_ci_u32_e64 v95, null, 0, s43, s17
	s_and_b32 vcc_lo, exec_lo, s3
	s_cbranch_vccz .LBB42_27
; %bb.6:                                ;   in Loop: Header=BB42_5 Depth=1
	s_load_b32 s3, s[34:35], 0xc
	v_mov_b32_e32 v57, 0
	s_waitcnt lgkmcnt(0)
	s_and_b32 s3, s3, 0xffff
	s_delay_alu instid0(SALU_CYCLE_1) | instskip(SKIP_2) | instid1(VALU_DEP_2)
	v_mad_u32_u24 v1, v59, s3, v61
	v_mov_b32_e32 v58, 0
	s_mov_b32 s3, exec_lo
	v_and_b32_e32 v1, 31, v1
	s_delay_alu instid0(VALU_DEP_2) | instskip(NEXT) | instid1(VALU_DEP_2)
	v_dual_mov_b32 v55, v57 :: v_dual_mov_b32 v56, v58
	v_cmpx_gt_u32_e32 8, v1
	s_cbranch_execz .LBB42_10
; %bb.7:                                ;   in Loop: Header=BB42_5 Depth=1
	v_add_co_u32 v1, vcc_lo, v94, v1
	v_mov_b32_e32 v55, 0
	v_add_co_ci_u32_e32 v2, vcc_lo, 0, v95, vcc_lo
	v_mov_b32_e32 v56, 0
	s_delay_alu instid0(VALU_DEP_4) | instskip(NEXT) | instid1(VALU_DEP_3)
	v_add_co_u32 v1, vcc_lo, 0xffffffc1, v1
	v_add_co_ci_u32_e32 v2, vcc_lo, -1, v2, vcc_lo
	s_delay_alu instid0(VALU_DEP_3) | instskip(SKIP_1) | instid1(VALU_DEP_2)
	v_dual_mov_b32 v58, v56 :: v_dual_mov_b32 v57, v55
	s_mov_b32 s17, exec_lo
	v_cmpx_gt_i64_e64 s[4:5], v[1:2]
	s_cbranch_execz .LBB42_9
; %bb.8:                                ;   in Loop: Header=BB42_5 Depth=1
	v_lshlrev_b64 v[1:2], 3, v[1:2]
	s_delay_alu instid0(VALU_DEP_1) | instskip(NEXT) | instid1(VALU_DEP_2)
	v_add_co_u32 v4, vcc_lo, s36, v1
	v_add_co_ci_u32_e32 v5, vcc_lo, s37, v2, vcc_lo
	v_add_co_u32 v1, vcc_lo, s38, v1
	v_add_co_ci_u32_e32 v2, vcc_lo, s39, v2, vcc_lo
	global_load_b64 v[55:56], v[4:5], off
	global_load_b64 v[57:58], v[1:2], off
.LBB42_9:                               ;   in Loop: Header=BB42_5 Depth=1
	s_or_b32 exec_lo, exec_lo, s17
.LBB42_10:                              ;   in Loop: Header=BB42_5 Depth=1
	s_delay_alu instid0(SALU_CYCLE_1)
	s_or_b32 exec_lo, exec_lo, s3
	v_add_co_u32 v1, vcc_lo, 0xffffffc1, v94
	s_mov_b32 s31, s16
	v_add_co_ci_u32_e32 v2, vcc_lo, -1, v95, vcc_lo
	s_mov_b32 s17, s16
	s_mov_b32 s18, s16
	;; [unrolled: 1-line block ×14, first 2 shown]
	s_delay_alu instid0(SALU_CYCLE_1)
	v_dual_mov_b32 v32, s31 :: v_dual_mov_b32 v31, s30
	v_dual_mov_b32 v30, s29 :: v_dual_mov_b32 v29, s28
	;; [unrolled: 1-line block ×8, first 2 shown]
	v_cmp_gt_i64_e32 vcc_lo, s[4:5], v[1:2]
	v_dual_mov_b32 v48, v32 :: v_dual_mov_b32 v47, v31
	v_dual_mov_b32 v46, v30 :: v_dual_mov_b32 v45, v29
	;; [unrolled: 1-line block ×8, first 2 shown]
	s_and_b32 s17, s2, vcc_lo
	s_delay_alu instid0(SALU_CYCLE_1)
	s_and_saveexec_b32 s3, s17
	s_cbranch_execz .LBB42_12
; %bb.11:                               ;   in Loop: Header=BB42_5 Depth=1
	v_add_co_u32 v1, vcc_lo, v90, v53
	v_add_co_ci_u32_e32 v2, vcc_lo, v91, v54, vcc_lo
	v_add_co_u32 v4, vcc_lo, v92, v53
	v_add_co_ci_u32_e32 v5, vcc_lo, v93, v54, vcc_lo
	global_load_b64 v[1:2], v[1:2], off
	v_mov_b32_e32 v16, v3
	v_mov_b32_e32 v6, v3
	global_load_b64 v[17:18], v[4:5], off
	v_mov_b32_e32 v4, v3
	v_mov_b32_e32 v5, v3
	;; [unrolled: 1-line block ×11, first 2 shown]
	s_waitcnt vmcnt(1)
	v_dual_mov_b32 v19, v3 :: v_dual_mov_b32 v48, v16
	v_dual_mov_b32 v20, v3 :: v_dual_mov_b32 v45, v13
	;; [unrolled: 1-line block ×7, first 2 shown]
	v_mov_b32_e32 v26, v3
	v_dual_mov_b32 v27, v3 :: v_dual_mov_b32 v40, v8
	v_mov_b32_e32 v28, v3
	v_dual_mov_b32 v29, v3 :: v_dual_mov_b32 v38, v6
	;; [unrolled: 2-line block ×3, first 2 shown]
	v_mov_b32_e32 v47, v15
	v_mov_b32_e32 v43, v11
	;; [unrolled: 1-line block ×5, first 2 shown]
	v_dual_mov_b32 v34, v2 :: v_dual_mov_b32 v33, v1
.LBB42_12:                              ;   in Loop: Header=BB42_5 Depth=1
	s_or_b32 exec_lo, exec_lo, s3
	v_add_co_u32 v1, vcc_lo, 0xffffffc2, v94
	v_add_co_ci_u32_e32 v2, vcc_lo, -1, v95, vcc_lo
	s_delay_alu instid0(VALU_DEP_1) | instskip(SKIP_1) | instid1(SALU_CYCLE_1)
	v_cmp_gt_i64_e32 vcc_lo, s[4:5], v[1:2]
	s_and_b32 s17, s2, vcc_lo
	s_and_saveexec_b32 s3, s17
	s_cbranch_execz .LBB42_14
; %bb.13:                               ;   in Loop: Header=BB42_5 Depth=1
	v_add_co_u32 v1, vcc_lo, v86, v53
	v_add_co_ci_u32_e32 v2, vcc_lo, v87, v54, vcc_lo
	v_add_co_u32 v4, vcc_lo, v88, v53
	v_add_co_ci_u32_e32 v5, vcc_lo, v89, v54, vcc_lo
	global_load_b64 v[35:36], v[1:2], off
	global_load_b64 v[19:20], v[4:5], off
.LBB42_14:                              ;   in Loop: Header=BB42_5 Depth=1
	s_or_b32 exec_lo, exec_lo, s3
	v_add_co_u32 v1, vcc_lo, 0xffffffc3, v94
	v_add_co_ci_u32_e32 v2, vcc_lo, -1, v95, vcc_lo
	s_delay_alu instid0(VALU_DEP_1) | instskip(SKIP_1) | instid1(SALU_CYCLE_1)
	v_cmp_gt_i64_e32 vcc_lo, s[4:5], v[1:2]
	s_and_b32 s17, s2, vcc_lo
	s_and_saveexec_b32 s3, s17
	s_cbranch_execz .LBB42_16
; %bb.15:                               ;   in Loop: Header=BB42_5 Depth=1
	v_add_co_u32 v1, vcc_lo, v82, v53
	v_add_co_ci_u32_e32 v2, vcc_lo, v83, v54, vcc_lo
	v_add_co_u32 v4, vcc_lo, v84, v53
	v_add_co_ci_u32_e32 v5, vcc_lo, v85, v54, vcc_lo
	global_load_b64 v[37:38], v[1:2], off
	global_load_b64 v[21:22], v[4:5], off
.LBB42_16:                              ;   in Loop: Header=BB42_5 Depth=1
	;; [unrolled: 16-line block ×7, first 2 shown]
	s_or_b32 exec_lo, exec_lo, s3
	s_waitcnt vmcnt(1)
	ds_bpermute_b32 v1, v3, v55
	ds_bpermute_b32 v2, v3, v56
	ds_bpermute_b32 v4, v3, v55 offset:4
	ds_bpermute_b32 v5, v3, v56 offset:4
	;; [unrolled: 1-line block ×4, first 2 shown]
	s_waitcnt vmcnt(0)
	ds_bpermute_b32 v8, v3, v57
	ds_bpermute_b32 v9, v3, v58
	ds_bpermute_b32 v10, v3, v55 offset:12
	ds_bpermute_b32 v11, v3, v56 offset:12
	ds_bpermute_b32 v12, v3, v57 offset:4
	ds_bpermute_b32 v13, v3, v58 offset:4
	s_waitcnt lgkmcnt(10)
	v_add_f64 v[1:2], v[17:18], -v[1:2]
	s_waitcnt lgkmcnt(8)
	v_add_f64 v[4:5], v[19:20], -v[4:5]
	;; [unrolled: 2-line block ×4, first 2 shown]
	s_delay_alu instid0(VALU_DEP_4) | instskip(NEXT) | instid1(VALU_DEP_4)
	v_mul_f64 v[1:2], v[33:34], v[1:2]
	v_mul_f64 v[4:5], v[35:36], v[4:5]
	s_delay_alu instid0(VALU_DEP_4) | instskip(NEXT) | instid1(VALU_DEP_4)
	v_mul_f64 v[6:7], v[37:38], v[6:7]
	v_mul_f64 v[10:11], v[39:40], v[10:11]
	s_delay_alu instid0(VALU_DEP_4) | instskip(SKIP_2) | instid1(VALU_DEP_2)
	v_fma_f64 v[1:2], v[1:2], v[8:9], v[49:50]
	v_add_f64 v[8:9], v[51:52], v[33:34]
	s_waitcnt lgkmcnt(0)
	v_fma_f64 v[1:2], v[4:5], v[12:13], v[1:2]
	s_delay_alu instid0(VALU_DEP_2)
	v_add_f64 v[4:5], v[35:36], v[8:9]
	ds_bpermute_b32 v8, v3, v55 offset:16
	ds_bpermute_b32 v9, v3, v56 offset:16
	ds_bpermute_b32 v12, v3, v57 offset:8
	ds_bpermute_b32 v13, v3, v58 offset:8
	s_waitcnt lgkmcnt(2)
	v_add_f64 v[8:9], v[25:26], -v[8:9]
	s_waitcnt lgkmcnt(0)
	v_fma_f64 v[1:2], v[6:7], v[12:13], v[1:2]
	v_add_f64 v[4:5], v[37:38], v[4:5]
	ds_bpermute_b32 v6, v3, v55 offset:20
	ds_bpermute_b32 v7, v3, v56 offset:20
	;; [unrolled: 1-line block ×4, first 2 shown]
	s_waitcnt lgkmcnt(2)
	v_add_f64 v[6:7], v[27:28], -v[6:7]
	v_mul_f64 v[8:9], v[41:42], v[8:9]
	s_waitcnt lgkmcnt(0)
	v_fma_f64 v[1:2], v[10:11], v[12:13], v[1:2]
	v_add_f64 v[4:5], v[39:40], v[4:5]
	ds_bpermute_b32 v10, v3, v55 offset:24
	ds_bpermute_b32 v11, v3, v56 offset:24
	;; [unrolled: 1-line block ×4, first 2 shown]
	s_waitcnt lgkmcnt(2)
	v_add_f64 v[10:11], v[29:30], -v[10:11]
	v_mul_f64 v[6:7], v[43:44], v[6:7]
	s_waitcnt lgkmcnt(0)
	v_fma_f64 v[1:2], v[8:9], v[12:13], v[1:2]
	v_add_f64 v[4:5], v[41:42], v[4:5]
	ds_bpermute_b32 v8, v3, v57 offset:20
	ds_bpermute_b32 v9, v3, v58 offset:20
	v_mul_f64 v[10:11], v[45:46], v[10:11]
	s_waitcnt lgkmcnt(0)
	v_fma_f64 v[1:2], v[6:7], v[8:9], v[1:2]
	v_add_f64 v[6:7], v[43:44], v[4:5]
	ds_bpermute_b32 v4, v3, v57 offset:24
	ds_bpermute_b32 v5, v3, v58 offset:24
	;; [unrolled: 1-line block ×4, first 2 shown]
	s_waitcnt lgkmcnt(2)
	v_fma_f64 v[4:5], v[10:11], v[4:5], v[1:2]
	v_add_f64 v[6:7], v[45:46], v[6:7]
	ds_bpermute_b32 v1, v3, v57 offset:28
	ds_bpermute_b32 v2, v3, v58 offset:28
	s_branch .LBB42_4
.LBB42_27:                              ;   in Loop: Header=BB42_5 Depth=1
                                        ; implicit-def: $vgpr1_vgpr2
                                        ; implicit-def: $vgpr17_vgpr18_vgpr19_vgpr20_vgpr21_vgpr22_vgpr23_vgpr24_vgpr25_vgpr26_vgpr27_vgpr28_vgpr29_vgpr30_vgpr31_vgpr32
                                        ; implicit-def: $vgpr33_vgpr34_vgpr35_vgpr36_vgpr37_vgpr38_vgpr39_vgpr40_vgpr41_vgpr42_vgpr43_vgpr44_vgpr45_vgpr46_vgpr47_vgpr48
                                        ; implicit-def: $vgpr8
                                        ; implicit-def: $vgpr6_vgpr7
                                        ; implicit-def: $vgpr4_vgpr5
	s_cbranch_execz .LBB42_4
; %bb.28:                               ;   in Loop: Header=BB42_5 Depth=1
	s_load_b32 s3, s[34:35], 0x0
	v_mov_b32_e32 v57, 0
	s_waitcnt lgkmcnt(0)
	s_cmp_lt_u32 s14, s3
	s_cselect_b32 s3, 12, 18
	s_delay_alu instid0(SALU_CYCLE_1)
	s_add_u32 s18, s34, s3
	s_addc_u32 s19, s35, 0
	s_mov_b32 s3, exec_lo
	global_load_u16 v1, v3, s[18:19]
	s_waitcnt vmcnt(0)
	v_mad_u32_u24 v1, v59, v1, v61
	s_delay_alu instid0(VALU_DEP_1) | instskip(NEXT) | instid1(VALU_DEP_1)
	v_dual_mov_b32 v58, 0 :: v_dual_and_b32 v1, 31, v1
	v_dual_mov_b32 v55, v57 :: v_dual_mov_b32 v56, v58
	s_delay_alu instid0(VALU_DEP_2)
	v_cmpx_gt_u32_e32 8, v1
	s_cbranch_execz .LBB42_32
; %bb.29:                               ;   in Loop: Header=BB42_5 Depth=1
	v_add_co_u32 v1, vcc_lo, v94, v1
	v_mov_b32_e32 v55, 0
	v_add_co_ci_u32_e32 v2, vcc_lo, 0, v95, vcc_lo
	v_mov_b32_e32 v56, 0
	s_delay_alu instid0(VALU_DEP_4) | instskip(NEXT) | instid1(VALU_DEP_3)
	v_add_co_u32 v1, vcc_lo, 0xffffffc1, v1
	v_add_co_ci_u32_e32 v2, vcc_lo, -1, v2, vcc_lo
	s_delay_alu instid0(VALU_DEP_3) | instskip(SKIP_1) | instid1(VALU_DEP_2)
	v_dual_mov_b32 v58, v56 :: v_dual_mov_b32 v57, v55
	s_mov_b32 s17, exec_lo
	v_cmpx_gt_i64_e64 s[4:5], v[1:2]
	s_cbranch_execz .LBB42_31
; %bb.30:                               ;   in Loop: Header=BB42_5 Depth=1
	v_lshlrev_b64 v[1:2], 3, v[1:2]
	s_delay_alu instid0(VALU_DEP_1) | instskip(NEXT) | instid1(VALU_DEP_2)
	v_add_co_u32 v4, vcc_lo, s36, v1
	v_add_co_ci_u32_e32 v5, vcc_lo, s37, v2, vcc_lo
	v_add_co_u32 v1, vcc_lo, s38, v1
	v_add_co_ci_u32_e32 v2, vcc_lo, s39, v2, vcc_lo
	global_load_b64 v[55:56], v[4:5], off
	global_load_b64 v[57:58], v[1:2], off
.LBB42_31:                              ;   in Loop: Header=BB42_5 Depth=1
	s_or_b32 exec_lo, exec_lo, s17
.LBB42_32:                              ;   in Loop: Header=BB42_5 Depth=1
	s_delay_alu instid0(SALU_CYCLE_1)
	s_or_b32 exec_lo, exec_lo, s3
	s_mov_b32 s31, s16
	s_mov_b32 s17, s16
	;; [unrolled: 1-line block ×15, first 2 shown]
	s_delay_alu instid0(SALU_CYCLE_1)
	v_dual_mov_b32 v32, s31 :: v_dual_mov_b32 v31, s30
	v_dual_mov_b32 v30, s29 :: v_dual_mov_b32 v29, s28
	;; [unrolled: 1-line block ×16, first 2 shown]
	s_and_saveexec_b32 s3, s2
	s_cbranch_execnz .LBB42_40
; %bb.33:                               ;   in Loop: Header=BB42_5 Depth=1
	s_or_b32 exec_lo, exec_lo, s3
	s_and_saveexec_b32 s3, s2
	s_cbranch_execnz .LBB42_41
.LBB42_34:                              ;   in Loop: Header=BB42_5 Depth=1
	s_or_b32 exec_lo, exec_lo, s3
	s_and_saveexec_b32 s3, s2
	s_cbranch_execnz .LBB42_42
.LBB42_35:                              ;   in Loop: Header=BB42_5 Depth=1
	s_or_b32 exec_lo, exec_lo, s3
	s_and_saveexec_b32 s3, s2
	s_cbranch_execnz .LBB42_43
.LBB42_36:                              ;   in Loop: Header=BB42_5 Depth=1
	s_or_b32 exec_lo, exec_lo, s3
	s_and_saveexec_b32 s3, s2
	s_cbranch_execnz .LBB42_44
.LBB42_37:                              ;   in Loop: Header=BB42_5 Depth=1
	s_or_b32 exec_lo, exec_lo, s3
	s_and_saveexec_b32 s3, s2
	s_cbranch_execnz .LBB42_45
.LBB42_38:                              ;   in Loop: Header=BB42_5 Depth=1
	s_or_b32 exec_lo, exec_lo, s3
	s_and_saveexec_b32 s3, s2
	s_cbranch_execnz .LBB42_46
.LBB42_39:                              ;   in Loop: Header=BB42_5 Depth=1
	s_or_b32 exec_lo, exec_lo, s3
	s_and_saveexec_b32 s3, s2
	s_cbranch_execz .LBB42_3
	s_branch .LBB42_47
.LBB42_40:                              ;   in Loop: Header=BB42_5 Depth=1
	v_add_co_u32 v1, vcc_lo, v90, v53
	v_add_co_ci_u32_e32 v2, vcc_lo, v91, v54, vcc_lo
	v_add_co_u32 v4, vcc_lo, v92, v53
	v_add_co_ci_u32_e32 v5, vcc_lo, v93, v54, vcc_lo
	global_load_b64 v[1:2], v[1:2], off
	v_mov_b32_e32 v16, v3
	v_mov_b32_e32 v6, v3
	global_load_b64 v[17:18], v[4:5], off
	v_mov_b32_e32 v4, v3
	v_mov_b32_e32 v5, v3
	;; [unrolled: 1-line block ×11, first 2 shown]
	s_waitcnt vmcnt(1)
	v_dual_mov_b32 v19, v3 :: v_dual_mov_b32 v48, v16
	v_dual_mov_b32 v20, v3 :: v_dual_mov_b32 v45, v13
	v_dual_mov_b32 v21, v3 :: v_dual_mov_b32 v46, v14
	v_dual_mov_b32 v22, v3 :: v_dual_mov_b32 v41, v9
	v_dual_mov_b32 v23, v3 :: v_dual_mov_b32 v44, v12
	v_dual_mov_b32 v24, v3 :: v_dual_mov_b32 v37, v5
	v_dual_mov_b32 v25, v3 :: v_dual_mov_b32 v42, v10
	v_mov_b32_e32 v26, v3
	v_dual_mov_b32 v27, v3 :: v_dual_mov_b32 v40, v8
	v_mov_b32_e32 v28, v3
	v_dual_mov_b32 v29, v3 :: v_dual_mov_b32 v38, v6
	;; [unrolled: 2-line block ×3, first 2 shown]
	v_mov_b32_e32 v47, v15
	v_mov_b32_e32 v43, v11
	;; [unrolled: 1-line block ×5, first 2 shown]
	v_dual_mov_b32 v34, v2 :: v_dual_mov_b32 v33, v1
	s_or_b32 exec_lo, exec_lo, s3
	s_and_saveexec_b32 s3, s2
	s_cbranch_execz .LBB42_34
.LBB42_41:                              ;   in Loop: Header=BB42_5 Depth=1
	v_add_co_u32 v1, vcc_lo, v86, v53
	v_add_co_ci_u32_e32 v2, vcc_lo, v87, v54, vcc_lo
	v_add_co_u32 v4, vcc_lo, v88, v53
	v_add_co_ci_u32_e32 v5, vcc_lo, v89, v54, vcc_lo
	global_load_b64 v[35:36], v[1:2], off
	global_load_b64 v[19:20], v[4:5], off
	s_or_b32 exec_lo, exec_lo, s3
	s_and_saveexec_b32 s3, s2
	s_cbranch_execz .LBB42_35
.LBB42_42:                              ;   in Loop: Header=BB42_5 Depth=1
	v_add_co_u32 v1, vcc_lo, v82, v53
	v_add_co_ci_u32_e32 v2, vcc_lo, v83, v54, vcc_lo
	v_add_co_u32 v4, vcc_lo, v84, v53
	v_add_co_ci_u32_e32 v5, vcc_lo, v85, v54, vcc_lo
	global_load_b64 v[37:38], v[1:2], off
	global_load_b64 v[21:22], v[4:5], off
	s_or_b32 exec_lo, exec_lo, s3
	s_and_saveexec_b32 s3, s2
	s_cbranch_execz .LBB42_36
.LBB42_43:                              ;   in Loop: Header=BB42_5 Depth=1
	v_add_co_u32 v1, vcc_lo, v78, v53
	v_add_co_ci_u32_e32 v2, vcc_lo, v79, v54, vcc_lo
	v_add_co_u32 v4, vcc_lo, v80, v53
	v_add_co_ci_u32_e32 v5, vcc_lo, v81, v54, vcc_lo
	global_load_b64 v[39:40], v[1:2], off
	global_load_b64 v[23:24], v[4:5], off
	s_or_b32 exec_lo, exec_lo, s3
	s_and_saveexec_b32 s3, s2
	s_cbranch_execz .LBB42_37
.LBB42_44:                              ;   in Loop: Header=BB42_5 Depth=1
	v_add_co_u32 v1, vcc_lo, v74, v53
	v_add_co_ci_u32_e32 v2, vcc_lo, v75, v54, vcc_lo
	v_add_co_u32 v4, vcc_lo, v76, v53
	v_add_co_ci_u32_e32 v5, vcc_lo, v77, v54, vcc_lo
	global_load_b64 v[41:42], v[1:2], off
	global_load_b64 v[25:26], v[4:5], off
	s_or_b32 exec_lo, exec_lo, s3
	s_and_saveexec_b32 s3, s2
	s_cbranch_execz .LBB42_38
.LBB42_45:                              ;   in Loop: Header=BB42_5 Depth=1
	v_add_co_u32 v1, vcc_lo, v70, v53
	v_add_co_ci_u32_e32 v2, vcc_lo, v71, v54, vcc_lo
	v_add_co_u32 v4, vcc_lo, v72, v53
	v_add_co_ci_u32_e32 v5, vcc_lo, v73, v54, vcc_lo
	global_load_b64 v[43:44], v[1:2], off
	global_load_b64 v[27:28], v[4:5], off
	s_or_b32 exec_lo, exec_lo, s3
	s_and_saveexec_b32 s3, s2
	s_cbranch_execz .LBB42_39
.LBB42_46:                              ;   in Loop: Header=BB42_5 Depth=1
	v_add_co_u32 v1, vcc_lo, v66, v53
	v_add_co_ci_u32_e32 v2, vcc_lo, v67, v54, vcc_lo
	v_add_co_u32 v4, vcc_lo, v68, v53
	v_add_co_ci_u32_e32 v5, vcc_lo, v69, v54, vcc_lo
	global_load_b64 v[45:46], v[1:2], off
	global_load_b64 v[29:30], v[4:5], off
	s_or_b32 exec_lo, exec_lo, s3
	s_and_saveexec_b32 s3, s2
	s_cbranch_execz .LBB42_3
.LBB42_47:                              ;   in Loop: Header=BB42_5 Depth=1
	v_add_co_u32 v1, vcc_lo, v62, v53
	v_add_co_ci_u32_e32 v2, vcc_lo, v63, v54, vcc_lo
	v_add_co_u32 v4, vcc_lo, v64, v53
	v_add_co_ci_u32_e32 v5, vcc_lo, v65, v54, vcc_lo
	global_load_b64 v[47:48], v[1:2], off
	global_load_b64 v[31:32], v[4:5], off
	s_branch .LBB42_3
.LBB42_48:
                                        ; implicit-def: $vgpr51_vgpr52
                                        ; implicit-def: $vgpr49_vgpr50
	s_branch .LBB42_50
.LBB42_49:
	s_cbranch_execnz .LBB42_81
.LBB42_50:
	v_mov_b32_e32 v51, 0
	v_mov_b32_e32 v52, 0
	s_delay_alu instid0(VALU_DEP_2) | instskip(SKIP_1) | instid1(VALU_DEP_2)
	v_mov_b32_e32 v49, v51
	s_and_not1_b32 vcc_lo, exec_lo, s15
	v_mov_b32_e32 v50, v52
	s_cbranch_vccnz .LBB42_81
; %bb.51:
	s_load_b32 s2, s[0:1], 0x44
	v_bfe_u32 v75, v0, 10, 10
	v_dual_mov_b32 v3, 0 :: v_dual_and_b32 v48, 0x3ff, v0
	s_add_u32 s34, s0, 64
	s_addc_u32 s35, s1, 0
	s_delay_alu instid0(VALU_DEP_2) | instskip(NEXT) | instid1(VALU_DEP_2)
	v_lshlrev_b32_e32 v1, 6, v75
	v_dual_mov_b32 v49, 0 :: v_dual_add_nc_u32 v2, s33, v48
	v_mov_b32_e32 v50, 0
	v_lshlrev_b32_e32 v76, 3, v75
	s_delay_alu instid0(VALU_DEP_3) | instskip(NEXT) | instid1(VALU_DEP_3)
	v_lshlrev_b64 v[36:37], 3, v[2:3]
	v_dual_mov_b32 v52, v50 :: v_dual_mov_b32 v51, v49
	s_waitcnt lgkmcnt(0)
	s_lshl_b32 s15, s2, 6
	s_add_u32 s40, s12, 63
	s_addc_u32 s41, 0, 0
	s_lshl_b64 s[2:3], s[12:13], 3
	s_mul_i32 s16, s7, s15
	v_add_co_u32 v1, s2, v1, s2
	s_delay_alu instid0(VALU_DEP_1) | instskip(SKIP_1) | instid1(VALU_DEP_3)
	v_add_co_ci_u32_e64 v2, null, 0, s3, s2
	v_add_co_u32 v24, s3, v76, s12
	v_add_co_u32 v6, vcc_lo, v1, 8
	s_delay_alu instid0(VALU_DEP_3) | instskip(SKIP_3) | instid1(VALU_DEP_4)
	v_add_co_ci_u32_e32 v4, vcc_lo, 0, v2, vcc_lo
	v_add_co_u32 v7, vcc_lo, v1, 16
	v_add_co_ci_u32_e32 v5, vcc_lo, 0, v2, vcc_lo
	v_add_co_u32 v10, vcc_lo, v1, 24
	v_mul_lo_u32 v8, s6, v4
	v_add_co_ci_u32_e32 v4, vcc_lo, 0, v2, vcc_lo
	v_add_co_u32 v13, vcc_lo, v1, 32
	v_mul_lo_u32 v11, s6, v5
	;; [unrolled: 3-line block ×4, first 2 shown]
	v_add_co_ci_u32_e32 v5, vcc_lo, 0, v2, vcc_lo
	v_add_co_ci_u32_e64 v25, null, 0, 0, s3
	v_add_co_u32 v26, vcc_lo, v1, 56
	v_mul_lo_u32 v20, s6, v4
	s_delay_alu instid0(VALU_DEP_4) | instskip(SKIP_4) | instid1(VALU_DEP_4)
	v_mul_lo_u32 v22, s6, v5
	v_add_co_ci_u32_e32 v4, vcc_lo, 0, v2, vcc_lo
	v_mul_lo_u32 v5, s7, v24
	v_mul_lo_u32 v27, s6, v25
	v_mad_u64_u32 v[1:2], null, s6, v24, 0
	v_mul_lo_u32 v28, s6, v4
	v_mad_u64_u32 v[38:39], null, s6, v6, s[8:9]
	;; [unrolled: 2-line block ×3, first 2 shown]
	v_add3_u32 v2, v2, v27, v5
	v_mad_u64_u32 v[40:41], null, s6, v7, s[8:9]
	v_mul_lo_u32 v12, s7, v7
	v_mad_u64_u32 v[59:60], null, s6, v7, s[10:11]
	s_delay_alu instid0(VALU_DEP_4)
	v_lshlrev_b64 v[4:5], 3, v[1:2]
	v_add3_u32 v39, v9, v39, v8
	v_add3_u32 v58, v9, v58, v8
	v_mad_u64_u32 v[42:43], null, s6, v10, s[8:9]
	v_mul_lo_u32 v15, s7, v10
	v_add_co_u32 v77, vcc_lo, s8, v4
	v_add_co_ci_u32_e32 v78, vcc_lo, s9, v5, vcc_lo
	v_add_co_u32 v8, vcc_lo, v24, 7
	v_add_co_ci_u32_e32 v6, vcc_lo, 0, v25, vcc_lo
	v_mad_u64_u32 v[61:62], null, s6, v10, s[10:11]
	v_add3_u32 v41, v12, v41, v11
	v_add3_u32 v60, v12, v60, v11
	v_add_co_u32 v12, vcc_lo, v24, 6
	v_mul_lo_u32 v10, s7, v8
	v_mul_lo_u32 v11, s6, v6
	v_mad_u64_u32 v[6:7], null, s6, v8, 0
	v_add_co_ci_u32_e32 v9, vcc_lo, 0, v25, vcc_lo
	v_mad_u64_u32 v[44:45], null, s6, v13, s[8:9]
	v_mul_lo_u32 v18, s7, v13
	v_add3_u32 v43, v15, v43, v14
	v_mad_u64_u32 v[63:64], null, s6, v13, s[10:11]
	v_add3_u32 v62, v15, v62, v14
	v_mul_lo_u32 v13, s7, v12
	v_mul_lo_u32 v14, s6, v9
	v_mad_u64_u32 v[8:9], null, s6, v12, 0
	v_add3_u32 v7, v7, v11, v10
	v_add_co_u32 v79, vcc_lo, s10, v4
	v_add_co_ci_u32_e32 v80, vcc_lo, s11, v5, vcc_lo
	s_delay_alu instid0(VALU_DEP_3) | instskip(SKIP_3) | instid1(VALU_DEP_4)
	v_lshlrev_b64 v[4:5], 3, v[6:7]
	v_add3_u32 v9, v9, v14, v13
	v_add_co_u32 v10, vcc_lo, v24, 5
	v_add_co_ci_u32_e32 v11, vcc_lo, 0, v25, vcc_lo
	v_add_co_u32 v81, vcc_lo, s8, v4
	s_delay_alu instid0(VALU_DEP_4)
	v_lshlrev_b64 v[6:7], 3, v[8:9]
	v_add_co_ci_u32_e32 v82, vcc_lo, s9, v5, vcc_lo
	v_mul_lo_u32 v12, s7, v10
	v_mul_lo_u32 v11, s6, v11
	v_mad_u64_u32 v[8:9], null, s6, v10, 0
	v_add_co_u32 v83, vcc_lo, s10, v4
	v_add_co_ci_u32_e32 v84, vcc_lo, s11, v5, vcc_lo
	v_add_co_u32 v85, vcc_lo, s8, v6
	v_add_co_ci_u32_e32 v86, vcc_lo, s9, v7, vcc_lo
	s_mul_hi_u32 s2, s6, s15
	v_add_co_u32 v10, vcc_lo, v24, 4
	v_add3_u32 v9, v9, v11, v12
	s_add_i32 s3, s2, s16
	v_add_co_u32 v87, s2, s10, v6
	v_add_co_ci_u32_e32 v6, vcc_lo, 0, v25, vcc_lo
	v_add_co_u32 v12, vcc_lo, v24, 3
	v_lshlrev_b64 v[4:5], 3, v[8:9]
	v_add_co_ci_u32_e32 v8, vcc_lo, 0, v25, vcc_lo
	v_add_co_ci_u32_e64 v88, s2, s11, v7, s2
	v_mul_lo_u32 v11, s7, v10
	v_mul_lo_u32 v13, s6, v6
	v_mad_u64_u32 v[6:7], null, s6, v10, 0
	v_mul_lo_u32 v10, s7, v12
	v_mul_lo_u32 v14, s6, v8
	v_mad_u64_u32 v[8:9], null, s6, v12, 0
	v_add_co_u32 v89, vcc_lo, s8, v4
	v_add_co_ci_u32_e32 v90, vcc_lo, s9, v5, vcc_lo
	v_add3_u32 v7, v7, v13, v11
	v_add_co_u32 v91, vcc_lo, s10, v4
	v_add_co_ci_u32_e32 v92, vcc_lo, s11, v5, vcc_lo
	v_add3_u32 v9, v9, v14, v10
	v_add_co_u32 v10, vcc_lo, v24, 2
	v_lshlrev_b64 v[4:5], 3, v[6:7]
	v_add_co_ci_u32_e32 v11, vcc_lo, 0, v25, vcc_lo
	s_delay_alu instid0(VALU_DEP_4) | instskip(NEXT) | instid1(VALU_DEP_4)
	v_lshlrev_b64 v[6:7], 3, v[8:9]
	v_mul_lo_u32 v12, s7, v10
	v_mad_u64_u32 v[8:9], null, s6, v10, 0
	v_add_co_u32 v93, vcc_lo, s8, v4
	v_mul_lo_u32 v11, s6, v11
	v_add_co_ci_u32_e32 v94, vcc_lo, s9, v5, vcc_lo
	v_add_co_u32 v95, vcc_lo, s10, v4
	v_add_co_ci_u32_e32 v96, vcc_lo, s11, v5, vcc_lo
	v_add_co_u32 v97, vcc_lo, s8, v6
	v_add_co_ci_u32_e32 v98, vcc_lo, s9, v7, vcc_lo
	v_add3_u32 v9, v9, v11, v12
	v_add_co_u32 v99, vcc_lo, s10, v6
	v_add_co_ci_u32_e32 v100, vcc_lo, s11, v7, vcc_lo
	v_add_co_u32 v1, vcc_lo, v1, s6
	s_delay_alu instid0(VALU_DEP_4) | instskip(SKIP_3) | instid1(VALU_DEP_4)
	v_lshlrev_b64 v[4:5], 3, v[8:9]
	v_add_co_ci_u32_e32 v2, vcc_lo, s7, v2, vcc_lo
	v_mad_u64_u32 v[46:47], null, s6, v17, s[8:9]
	v_mul_lo_u32 v21, s7, v17
	v_add_co_u32 v101, vcc_lo, s8, v4
	s_delay_alu instid0(VALU_DEP_4)
	v_lshlrev_b64 v[1:2], 3, v[1:2]
	v_add_co_ci_u32_e32 v102, vcc_lo, s9, v5, vcc_lo
	v_mad_u64_u32 v[53:54], null, s6, v19, s[8:9]
	v_mul_lo_u32 v23, s7, v19
	v_mad_u64_u32 v[55:56], null, s6, v26, s[8:9]
	v_mul_lo_u32 v29, s7, v26
	v_mad_u64_u32 v[65:66], null, s6, v17, s[10:11]
	v_mad_u64_u32 v[67:68], null, s6, v19, s[10:11]
	;; [unrolled: 1-line block ×3, first 2 shown]
	v_add_co_u32 v103, vcc_lo, s10, v4
	v_add_co_ci_u32_e32 v104, vcc_lo, s11, v5, vcc_lo
	v_add_co_u32 v105, vcc_lo, s8, v1
	v_add_co_ci_u32_e32 v106, vcc_lo, s9, v2, vcc_lo
	v_add_co_u32 v107, vcc_lo, s10, v1
	v_add3_u32 v45, v18, v45, v16
	v_add3_u32 v47, v21, v47, v20
	;; [unrolled: 1-line block ×8, first 2 shown]
	v_add_co_ci_u32_e32 v108, vcc_lo, s11, v2, vcc_lo
	s_mul_i32 s2, s6, s15
	s_mov_b32 s16, 0
	s_lshl_b64 s[2:3], s[2:3], 3
	s_branch .LBB42_55
.LBB42_52:                              ;   in Loop: Header=BB42_55 Depth=1
	s_or_b32 exec_lo, exec_lo, s9
.LBB42_53:                              ;   in Loop: Header=BB42_55 Depth=1
	s_delay_alu instid0(SALU_CYCLE_1)
	s_or_b32 exec_lo, exec_lo, s8
	v_add_co_u32 v6, vcc_lo, v79, v36
	v_add_co_ci_u32_e32 v7, vcc_lo, v80, v37, vcc_lo
	v_add_co_u32 v8, vcc_lo, v57, v36
	v_add_co_ci_u32_e32 v9, vcc_lo, v58, v37, vcc_lo
	global_load_b64 v[6:7], v[6:7], off
	v_add_co_u32 v10, vcc_lo, v77, v36
	v_add_co_ci_u32_e32 v11, vcc_lo, v78, v37, vcc_lo
	global_load_b64 v[8:9], v[8:9], off
	global_load_b64 v[10:11], v[10:11], off
	v_add_co_u32 v12, vcc_lo, v59, v36
	v_add_co_ci_u32_e32 v13, vcc_lo, v60, v37, vcc_lo
	v_add_co_u32 v14, vcc_lo, v38, v36
	v_add_co_ci_u32_e32 v15, vcc_lo, v39, v37, vcc_lo
	global_load_b64 v[12:13], v[12:13], off
	global_load_b64 v[14:15], v[14:15], off
	v_add_co_u32 v16, vcc_lo, v61, v36
	v_add_co_ci_u32_e32 v17, vcc_lo, v62, v37, vcc_lo
	;; [unrolled: 6-line block ×5, first 2 shown]
	v_add_co_u32 v30, vcc_lo, v67, v36
	v_add_co_ci_u32_e32 v31, vcc_lo, v68, v37, vcc_lo
	v_add_co_u32 v32, vcc_lo, v69, v36
	v_add_co_ci_u32_e32 v33, vcc_lo, v70, v37, vcc_lo
	global_load_b64 v[30:31], v[30:31], off
	global_load_b64 v[34:35], v[18:19], off
	;; [unrolled: 1-line block ×3, first 2 shown]
	v_add_co_u32 v18, vcc_lo, v53, v36
	v_add_co_ci_u32_e32 v19, vcc_lo, v54, v37, vcc_lo
	v_add_co_u32 v71, vcc_lo, v55, v36
	v_add_co_ci_u32_e32 v72, vcc_lo, v56, v37, vcc_lo
	global_load_b64 v[73:74], v[18:19], off
	global_load_b64 v[18:19], v[71:72], off
	s_waitcnt vmcnt(17)
	ds_bpermute_b32 v71, v3, v4
	ds_bpermute_b32 v72, v3, v5
	s_waitcnt vmcnt(16)
	ds_bpermute_b32 v109, v3, v1
	ds_bpermute_b32 v110, v3, v2
	s_waitcnt vmcnt(15) lgkmcnt(2)
	v_add_f64 v[6:7], v[6:7], -v[71:72]
	ds_bpermute_b32 v71, v3, v4 offset:4
	ds_bpermute_b32 v72, v3, v5 offset:4
	s_waitcnt vmcnt(14) lgkmcnt(0)
	v_add_f64 v[8:9], v[8:9], -v[71:72]
	ds_bpermute_b32 v71, v3, v4 offset:8
	ds_bpermute_b32 v72, v3, v5 offset:8
	s_waitcnt vmcnt(13)
	v_mul_f64 v[6:7], v[10:11], v[6:7]
	v_add_f64 v[10:11], v[51:52], v[10:11]
	ds_bpermute_b32 v51, v3, v1 offset:4
	ds_bpermute_b32 v52, v3, v2 offset:4
	s_waitcnt vmcnt(12) lgkmcnt(2)
	v_add_f64 v[12:13], v[12:13], -v[71:72]
	s_waitcnt vmcnt(11)
	v_mul_f64 v[8:9], v[14:15], v[8:9]
	v_fma_f64 v[6:7], v[6:7], v[109:110], v[49:50]
	ds_bpermute_b32 v49, v3, v4 offset:12
	ds_bpermute_b32 v50, v3, v5 offset:12
	v_add_f64 v[10:11], v[10:11], v[14:15]
	ds_bpermute_b32 v14, v3, v1 offset:8
	ds_bpermute_b32 v15, v3, v2 offset:8
	s_waitcnt vmcnt(9)
	v_mul_f64 v[12:13], v[20:21], v[12:13]
	s_waitcnt lgkmcnt(2)
	v_add_f64 v[16:17], v[16:17], -v[49:50]
	v_fma_f64 v[6:7], v[8:9], v[51:52], v[6:7]
	ds_bpermute_b32 v8, v3, v4 offset:16
	ds_bpermute_b32 v9, v3, v5 offset:16
	v_add_f64 v[10:11], v[10:11], v[20:21]
	s_waitcnt vmcnt(8) lgkmcnt(0)
	v_add_f64 v[8:9], v[24:25], -v[8:9]
	s_waitcnt vmcnt(7)
	v_mul_f64 v[16:17], v[22:23], v[16:17]
	v_fma_f64 v[6:7], v[12:13], v[14:15], v[6:7]
	ds_bpermute_b32 v12, v3, v4 offset:20
	ds_bpermute_b32 v13, v3, v5 offset:20
	;; [unrolled: 1-line block ×4, first 2 shown]
	v_add_f64 v[10:11], v[10:11], v[22:23]
	s_waitcnt vmcnt(6) lgkmcnt(2)
	v_add_f64 v[12:13], v[28:29], -v[12:13]
	s_waitcnt vmcnt(5)
	v_mul_f64 v[8:9], v[26:27], v[8:9]
	s_waitcnt lgkmcnt(0)
	v_fma_f64 v[6:7], v[16:17], v[14:15], v[6:7]
	ds_bpermute_b32 v14, v3, v4 offset:24
	ds_bpermute_b32 v15, v3, v5 offset:24
	;; [unrolled: 1-line block ×6, first 2 shown]
	v_add_f64 v[10:11], v[10:11], v[26:27]
	s_waitcnt vmcnt(4) lgkmcnt(4)
	v_add_f64 v[14:15], v[30:31], -v[14:15]
	s_waitcnt vmcnt(3)
	v_mul_f64 v[12:13], v[34:35], v[12:13]
	s_waitcnt vmcnt(2) lgkmcnt(0)
	v_add_f64 v[4:5], v[32:33], -v[4:5]
	v_fma_f64 v[6:7], v[8:9], v[16:17], v[6:7]
	ds_bpermute_b32 v8, v3, v1 offset:20
	ds_bpermute_b32 v9, v3, v2 offset:20
	v_add_f64 v[10:11], v[10:11], v[34:35]
	s_waitcnt vmcnt(1)
	v_mul_f64 v[14:15], v[73:74], v[14:15]
	s_waitcnt vmcnt(0)
	v_mul_f64 v[4:5], v[18:19], v[4:5]
	s_waitcnt lgkmcnt(0)
	v_fma_f64 v[6:7], v[12:13], v[8:9], v[6:7]
	ds_bpermute_b32 v8, v3, v1 offset:24
	ds_bpermute_b32 v9, v3, v2 offset:24
	;; [unrolled: 1-line block ×4, first 2 shown]
	v_add_f64 v[1:2], v[10:11], v[73:74]
	s_waitcnt lgkmcnt(0)
	v_mul_f64 v[4:5], v[4:5], v[12:13]
	v_fma_f64 v[6:7], v[14:15], v[8:9], v[6:7]
.LBB42_54:                              ;   in Loop: Header=BB42_55 Depth=1
	v_add_co_u32 v38, vcc_lo, v38, s2
	v_add_co_ci_u32_e32 v39, vcc_lo, s3, v39, vcc_lo
	v_add_co_u32 v40, vcc_lo, v40, s2
	v_add_co_ci_u32_e32 v41, vcc_lo, s3, v41, vcc_lo
	;; [unrolled: 2-line block ×18, first 2 shown]
	v_add_co_u32 v85, vcc_lo, v85, s2
	v_add_f64 v[49:50], v[6:7], v[4:5]
	v_add_f64 v[51:52], v[1:2], v[18:19]
	v_add_co_ci_u32_e32 v86, vcc_lo, s3, v86, vcc_lo
	v_add_co_u32 v87, vcc_lo, v87, s2
	v_add_co_ci_u32_e32 v88, vcc_lo, s3, v88, vcc_lo
	v_add_co_u32 v89, vcc_lo, v89, s2
	;; [unrolled: 2-line block ×9, first 2 shown]
	s_add_u32 s12, s12, s15
	v_add_co_ci_u32_e32 v104, vcc_lo, s3, v104, vcc_lo
	s_addc_u32 s13, s13, 0
	v_add_co_u32 v105, vcc_lo, v105, s2
	v_cmp_ge_i64_e64 s8, s[12:13], s[4:5]
	v_add_co_ci_u32_e32 v106, vcc_lo, s3, v106, vcc_lo
	v_add_co_u32 v107, vcc_lo, v107, s2
	v_add_co_ci_u32_e32 v108, vcc_lo, s3, v108, vcc_lo
	s_add_u32 s40, s40, s15
	s_addc_u32 s41, s41, 0
	s_and_b32 vcc_lo, exec_lo, s8
	s_cbranch_vccnz .LBB42_81
.LBB42_55:                              ; =>This Inner Loop Header: Depth=1
	v_cmp_ge_i64_e64 s8, s[40:41], s[4:5]
	v_add_co_u32 v109, s9, v76, s40
	s_delay_alu instid0(VALU_DEP_1) | instskip(NEXT) | instid1(VALU_DEP_3)
	v_add_co_ci_u32_e64 v110, null, 0, s41, s9
	s_and_b32 vcc_lo, exec_lo, s8
	s_cbranch_vccz .LBB42_77
; %bb.56:                               ;   in Loop: Header=BB42_55 Depth=1
	s_load_b32 s8, s[34:35], 0xc
	v_mov_b32_e32 v71, 0
	s_waitcnt lgkmcnt(0)
	s_and_b32 s8, s8, 0xffff
	s_delay_alu instid0(SALU_CYCLE_1) | instskip(SKIP_2) | instid1(VALU_DEP_1)
	v_mad_u32_u24 v1, v75, s8, v48
	v_mov_b32_e32 v72, 0
	s_mov_b32 s8, exec_lo
	v_dual_mov_b32 v74, v72 :: v_dual_and_b32 v1, 31, v1
	v_mov_b32_e32 v73, v71
	s_delay_alu instid0(VALU_DEP_2)
	v_cmpx_gt_u32_e32 8, v1
	s_cbranch_execz .LBB42_60
; %bb.57:                               ;   in Loop: Header=BB42_55 Depth=1
	v_add_co_u32 v1, vcc_lo, v109, v1
	v_mov_b32_e32 v73, 0
	v_add_co_ci_u32_e32 v2, vcc_lo, 0, v110, vcc_lo
	v_mov_b32_e32 v74, 0
	s_delay_alu instid0(VALU_DEP_4) | instskip(NEXT) | instid1(VALU_DEP_3)
	v_add_co_u32 v1, vcc_lo, 0xffffffc1, v1
	v_add_co_ci_u32_e32 v2, vcc_lo, -1, v2, vcc_lo
	s_delay_alu instid0(VALU_DEP_3) | instskip(SKIP_1) | instid1(VALU_DEP_2)
	v_dual_mov_b32 v71, v73 :: v_dual_mov_b32 v72, v74
	s_mov_b32 s9, exec_lo
	v_cmpx_gt_i64_e64 s[4:5], v[1:2]
	s_cbranch_execz .LBB42_59
; %bb.58:                               ;   in Loop: Header=BB42_55 Depth=1
	v_lshlrev_b64 v[1:2], 3, v[1:2]
	s_delay_alu instid0(VALU_DEP_1) | instskip(NEXT) | instid1(VALU_DEP_2)
	v_add_co_u32 v4, vcc_lo, s36, v1
	v_add_co_ci_u32_e32 v5, vcc_lo, s37, v2, vcc_lo
	v_add_co_u32 v1, vcc_lo, s38, v1
	v_add_co_ci_u32_e32 v2, vcc_lo, s39, v2, vcc_lo
	global_load_b64 v[73:74], v[4:5], off
	global_load_b64 v[71:72], v[1:2], off
.LBB42_59:                              ;   in Loop: Header=BB42_55 Depth=1
	s_or_b32 exec_lo, exec_lo, s9
.LBB42_60:                              ;   in Loop: Header=BB42_55 Depth=1
	s_delay_alu instid0(SALU_CYCLE_1)
	s_or_b32 exec_lo, exec_lo, s8
	s_mov_b32 s31, s16
	s_mov_b32 s17, s16
	;; [unrolled: 1-line block ×15, first 2 shown]
	s_delay_alu instid0(SALU_CYCLE_1)
	v_dual_mov_b32 v35, s31 :: v_dual_mov_b32 v34, s30
	v_dual_mov_b32 v21, s17 :: v_dual_mov_b32 v20, s16
	;; [unrolled: 1-line block ×8, first 2 shown]
	v_add_co_u32 v1, vcc_lo, 0xffffffc1, v109
	v_dual_mov_b32 v4, v20 :: v_dual_mov_b32 v5, v21
	v_add_co_ci_u32_e32 v2, vcc_lo, -1, v110, vcc_lo
	s_delay_alu instid0(VALU_DEP_4)
	v_dual_mov_b32 v6, v22 :: v_dual_mov_b32 v7, v23
	v_dual_mov_b32 v8, v24 :: v_dual_mov_b32 v9, v25
	;; [unrolled: 1-line block ×7, first 2 shown]
	s_mov_b32 s8, exec_lo
	v_cmpx_gt_i64_e64 s[4:5], v[1:2]
	s_cbranch_execz .LBB42_62
; %bb.61:                               ;   in Loop: Header=BB42_55 Depth=1
	v_add_co_u32 v1, vcc_lo, v77, v36
	v_add_co_ci_u32_e32 v2, vcc_lo, v78, v37, vcc_lo
	v_add_co_u32 v4, vcc_lo, v79, v36
	v_add_co_ci_u32_e32 v5, vcc_lo, v80, v37, vcc_lo
	global_load_b64 v[1:2], v[1:2], off
	v_mov_b32_e32 v16, v3
	v_mov_b32_e32 v6, v3
	global_load_b64 v[20:21], v[4:5], off
	v_mov_b32_e32 v4, v3
	v_mov_b32_e32 v5, v3
	;; [unrolled: 1-line block ×11, first 2 shown]
	s_waitcnt vmcnt(1)
	v_dual_mov_b32 v22, v3 :: v_dual_mov_b32 v19, v16
	v_mov_b32_e32 v23, v3
	v_dual_mov_b32 v24, v3 :: v_dual_mov_b32 v17, v14
	v_mov_b32_e32 v31, v3
	v_mov_b32_e32 v33, v3
	;; [unrolled: 1-line block ×4, first 2 shown]
	v_dual_mov_b32 v26, v3 :: v_dual_mov_b32 v15, v12
	v_mov_b32_e32 v14, v11
	v_dual_mov_b32 v28, v3 :: v_dual_mov_b32 v13, v10
	v_dual_mov_b32 v25, v3 :: v_dual_mov_b32 v12, v9
	v_dual_mov_b32 v30, v3 :: v_dual_mov_b32 v11, v8
	v_mov_b32_e32 v10, v7
	v_dual_mov_b32 v32, v3 :: v_dual_mov_b32 v9, v6
	v_dual_mov_b32 v27, v3 :: v_dual_mov_b32 v8, v5
	;; [unrolled: 1-line block ×3, first 2 shown]
	v_mov_b32_e32 v6, v3
	v_mov_b32_e32 v35, v3
	;; [unrolled: 1-line block ×3, first 2 shown]
	v_dual_mov_b32 v29, v3 :: v_dual_mov_b32 v4, v1
.LBB42_62:                              ;   in Loop: Header=BB42_55 Depth=1
	s_or_b32 exec_lo, exec_lo, s8
	v_add_co_u32 v1, vcc_lo, 0xffffffc2, v109
	v_add_co_ci_u32_e32 v2, vcc_lo, -1, v110, vcc_lo
	s_mov_b32 s8, exec_lo
	s_delay_alu instid0(VALU_DEP_1)
	v_cmpx_gt_i64_e64 s[4:5], v[1:2]
	s_cbranch_execz .LBB42_64
; %bb.63:                               ;   in Loop: Header=BB42_55 Depth=1
	v_add_co_u32 v1, vcc_lo, v105, v36
	v_add_co_ci_u32_e32 v2, vcc_lo, v106, v37, vcc_lo
	v_add_co_u32 v22, vcc_lo, v107, v36
	v_add_co_ci_u32_e32 v23, vcc_lo, v108, v37, vcc_lo
	global_load_b64 v[6:7], v[1:2], off
	global_load_b64 v[22:23], v[22:23], off
.LBB42_64:                              ;   in Loop: Header=BB42_55 Depth=1
	s_or_b32 exec_lo, exec_lo, s8
	v_add_co_u32 v1, vcc_lo, 0xffffffc3, v109
	v_add_co_ci_u32_e32 v2, vcc_lo, -1, v110, vcc_lo
	s_mov_b32 s8, exec_lo
	s_delay_alu instid0(VALU_DEP_1)
	v_cmpx_gt_i64_e64 s[4:5], v[1:2]
	s_cbranch_execz .LBB42_66
; %bb.65:                               ;   in Loop: Header=BB42_55 Depth=1
	v_add_co_u32 v1, vcc_lo, v101, v36
	v_add_co_ci_u32_e32 v2, vcc_lo, v102, v37, vcc_lo
	v_add_co_u32 v24, vcc_lo, v103, v36
	v_add_co_ci_u32_e32 v25, vcc_lo, v104, v37, vcc_lo
	global_load_b64 v[8:9], v[1:2], off
	global_load_b64 v[24:25], v[24:25], off
.LBB42_66:                              ;   in Loop: Header=BB42_55 Depth=1
	;; [unrolled: 15-line block ×7, first 2 shown]
	s_or_b32 exec_lo, exec_lo, s8
	s_waitcnt vmcnt(1)
	ds_bpermute_b32 v1, v3, v73
	ds_bpermute_b32 v2, v3, v74
	s_waitcnt vmcnt(0)
	ds_bpermute_b32 v111, v3, v71
	ds_bpermute_b32 v112, v3, v72
	s_waitcnt lgkmcnt(2)
	v_add_f64 v[1:2], v[20:21], -v[1:2]
	ds_bpermute_b32 v20, v3, v73 offset:4
	ds_bpermute_b32 v21, v3, v74 offset:4
	s_waitcnt lgkmcnt(0)
	v_add_f64 v[20:21], v[22:23], -v[20:21]
	ds_bpermute_b32 v22, v3, v73 offset:8
	ds_bpermute_b32 v23, v3, v74 offset:8
	v_mul_f64 v[1:2], v[4:5], v[1:2]
	v_add_f64 v[4:5], v[51:52], v[4:5]
	s_waitcnt lgkmcnt(0)
	v_add_f64 v[22:23], v[24:25], -v[22:23]
	ds_bpermute_b32 v24, v3, v73 offset:12
	ds_bpermute_b32 v25, v3, v74 offset:12
	v_mul_f64 v[20:21], v[6:7], v[20:21]
	s_waitcnt lgkmcnt(0)
	v_add_f64 v[24:25], v[26:27], -v[24:25]
	v_fma_f64 v[1:2], v[1:2], v[111:112], v[49:50]
	ds_bpermute_b32 v111, v3, v71 offset:4
	ds_bpermute_b32 v112, v3, v72 offset:4
	v_add_f64 v[4:5], v[6:7], v[4:5]
	v_mul_f64 v[6:7], v[8:9], v[22:23]
	ds_bpermute_b32 v22, v3, v71 offset:8
	ds_bpermute_b32 v23, v3, v72 offset:8
	v_mul_f64 v[24:25], v[10:11], v[24:25]
	s_waitcnt lgkmcnt(2)
	v_fma_f64 v[1:2], v[20:21], v[111:112], v[1:2]
	ds_bpermute_b32 v20, v3, v73 offset:16
	ds_bpermute_b32 v21, v3, v74 offset:16
	v_add_f64 v[4:5], v[8:9], v[4:5]
	ds_bpermute_b32 v8, v3, v71 offset:12
	ds_bpermute_b32 v9, v3, v72 offset:12
	s_waitcnt lgkmcnt(2)
	v_add_f64 v[20:21], v[28:29], -v[20:21]
	v_fma_f64 v[1:2], v[6:7], v[22:23], v[1:2]
	ds_bpermute_b32 v6, v3, v73 offset:20
	ds_bpermute_b32 v7, v3, v74 offset:20
	v_add_f64 v[4:5], v[10:11], v[4:5]
	ds_bpermute_b32 v10, v3, v71 offset:16
	ds_bpermute_b32 v11, v3, v72 offset:16
	;; [unrolled: 1-line block ×4, first 2 shown]
	s_waitcnt lgkmcnt(4)
	v_add_f64 v[6:7], v[30:31], -v[6:7]
	v_mul_f64 v[20:21], v[12:13], v[20:21]
	v_fma_f64 v[1:2], v[24:25], v[8:9], v[1:2]
	ds_bpermute_b32 v8, v3, v73 offset:24
	ds_bpermute_b32 v9, v3, v74 offset:24
	v_add_f64 v[4:5], v[12:13], v[4:5]
	ds_bpermute_b32 v12, v3, v71 offset:20
	ds_bpermute_b32 v13, v3, v72 offset:20
	s_waitcnt lgkmcnt(2)
	v_add_f64 v[8:9], v[32:33], -v[8:9]
	v_mul_f64 v[6:7], v[14:15], v[6:7]
	v_fma_f64 v[1:2], v[20:21], v[10:11], v[1:2]
	v_add_f64 v[10:11], v[34:35], -v[22:23]
	v_add_f64 v[4:5], v[14:15], v[4:5]
	ds_bpermute_b32 v14, v3, v71 offset:28
	ds_bpermute_b32 v15, v3, v72 offset:28
	v_mul_f64 v[8:9], v[16:17], v[8:9]
	s_waitcnt lgkmcnt(2)
	v_fma_f64 v[6:7], v[6:7], v[12:13], v[1:2]
	v_mul_f64 v[10:11], v[18:19], v[10:11]
	ds_bpermute_b32 v12, v3, v71 offset:24
	ds_bpermute_b32 v13, v3, v72 offset:24
	v_add_f64 v[1:2], v[16:17], v[4:5]
	s_waitcnt lgkmcnt(0)
	v_fma_f64 v[6:7], v[8:9], v[12:13], v[6:7]
	v_mul_f64 v[4:5], v[10:11], v[14:15]
	s_branch .LBB42_54
.LBB42_77:                              ;   in Loop: Header=BB42_55 Depth=1
                                        ; implicit-def: $vgpr18_vgpr19
                                        ; implicit-def: $vgpr4_vgpr5
                                        ; implicit-def: $vgpr1_vgpr2
                                        ; implicit-def: $vgpr6_vgpr7
	s_cbranch_execz .LBB42_54
; %bb.78:                               ;   in Loop: Header=BB42_55 Depth=1
	s_load_b32 s8, s[34:35], 0x0
	s_waitcnt lgkmcnt(0)
	s_cmp_lt_u32 s14, s8
	s_cselect_b32 s8, 12, 18
	s_delay_alu instid0(SALU_CYCLE_1)
	s_add_u32 s8, s34, s8
	s_addc_u32 s9, s35, 0
	global_load_u16 v1, v3, s[8:9]
	s_mov_b32 s8, exec_lo
	s_waitcnt vmcnt(0)
	v_mad_u32_u24 v4, v75, v1, v48
	v_mov_b32_e32 v1, 0
	v_mov_b32_e32 v2, 0
	s_delay_alu instid0(VALU_DEP_1) | instskip(NEXT) | instid1(VALU_DEP_3)
	v_dual_mov_b32 v5, v2 :: v_dual_and_b32 v6, 31, v4
	v_mov_b32_e32 v4, v1
	s_delay_alu instid0(VALU_DEP_2)
	v_cmpx_gt_u32_e32 8, v6
	s_cbranch_execz .LBB42_53
; %bb.79:                               ;   in Loop: Header=BB42_55 Depth=1
	v_add_co_u32 v1, vcc_lo, v109, v6
	v_mov_b32_e32 v4, 0
	v_add_co_ci_u32_e32 v2, vcc_lo, 0, v110, vcc_lo
	v_mov_b32_e32 v5, 0
	s_delay_alu instid0(VALU_DEP_4) | instskip(NEXT) | instid1(VALU_DEP_3)
	v_add_co_u32 v6, vcc_lo, 0xffffffc1, v1
	v_add_co_ci_u32_e32 v7, vcc_lo, -1, v2, vcc_lo
	s_delay_alu instid0(VALU_DEP_3) | instskip(SKIP_1) | instid1(VALU_DEP_2)
	v_dual_mov_b32 v1, v4 :: v_dual_mov_b32 v2, v5
	s_mov_b32 s9, exec_lo
	v_cmpx_gt_i64_e64 s[4:5], v[6:7]
	s_cbranch_execz .LBB42_52
; %bb.80:                               ;   in Loop: Header=BB42_55 Depth=1
	v_lshlrev_b64 v[1:2], 3, v[6:7]
	s_delay_alu instid0(VALU_DEP_1) | instskip(NEXT) | instid1(VALU_DEP_2)
	v_add_co_u32 v4, vcc_lo, s36, v1
	v_add_co_ci_u32_e32 v5, vcc_lo, s37, v2, vcc_lo
	v_add_co_u32 v1, vcc_lo, s38, v1
	v_add_co_ci_u32_e32 v2, vcc_lo, s39, v2, vcc_lo
	global_load_b64 v[4:5], v[4:5], off
	global_load_b64 v[1:2], v[1:2], off
	s_branch .LBB42_52
.LBB42_81:
	v_and_b32_e32 v1, 0x3ff, v0
	v_bfe_u32 v2, v0, 10, 10
	s_mov_b32 s15, 0
	s_mov_b32 s2, exec_lo
	s_delay_alu instid0(VALU_DEP_2) | instskip(NEXT) | instid1(VALU_DEP_2)
	v_lshrrev_b32_e32 v3, 5, v1
	v_mad_u32_u24 v0, v2, 33, v1
	s_delay_alu instid0(VALU_DEP_2) | instskip(NEXT) | instid1(VALU_DEP_2)
	v_add_nc_u32_e32 v4, v3, v2
	v_lshl_add_u32 v0, v0, 3, 0
	ds_store_b64 v0, v[49:50]
	ds_store_b64 v0, v[51:52] offset:2112
	s_waitcnt lgkmcnt(0)
	s_barrier
	buffer_gl0_inv
	v_cmpx_gt_u32_e32 32, v4
	s_cbranch_execz .LBB42_91
; %bb.82:
	v_mbcnt_lo_u32_b32 v4, -1, 0
	s_load_b128 s[8:11], s[0:1], 0x30
	v_add_co_u32 v8, s1, v3, v2
	s_delay_alu instid0(VALU_DEP_1) | instskip(NEXT) | instid1(VALU_DEP_3)
	v_add_co_ci_u32_e64 v9, null, 0, 0, s1
	v_xor_b32_e32 v7, 2, v4
	v_and_b32_e32 v0, 31, v1
	s_lshl_b64 s[4:5], s[14:15], 5
	v_xor_b32_e32 v5, 4, v4
	v_cmp_eq_u32_e64 s0, 0, v1
	v_xor_b32_e32 v10, 1, v4
	v_cmp_gt_u32_e64 s1, 8, v0
	v_mul_u32_u24_e32 v6, 33, v0
	v_add_co_u32 v0, vcc_lo, v8, s4
	v_add_co_ci_u32_e32 v1, vcc_lo, s5, v9, vcc_lo
	v_cmp_gt_i32_e32 vcc_lo, 32, v5
	s_delay_alu instid0(VALU_DEP_4)
	v_add3_u32 v6, v6, v2, v3
	s_waitcnt lgkmcnt(0)
	s_cmp_lg_u64 s[8:9], 0
	v_cndmask_b32_e32 v11, v4, v5, vcc_lo
	v_cmp_gt_i32_e32 vcc_lo, 32, v7
	v_lshl_add_u32 v13, v6, 3, 0
	s_cselect_b32 s3, -1, 0
	s_cmp_lg_u64 s[10:11], 0
	v_cndmask_b32_e32 v7, v4, v7, vcc_lo
	v_cmp_gt_i32_e32 vcc_lo, 32, v10
	v_cndmask_b32_e32 v12, v4, v10, vcc_lo
	v_lshlrev_b64 v[4:5], 3, v[0:1]
	s_delay_alu instid0(VALU_DEP_2) | instskip(SKIP_2) | instid1(VALU_DEP_4)
	v_lshlrev_b32_e32 v12, 2, v12
	v_lshlrev_b32_e32 v10, 2, v11
	;; [unrolled: 1-line block ×3, first 2 shown]
	v_add_co_u32 v0, vcc_lo, s10, v4
	v_add_co_ci_u32_e32 v1, vcc_lo, s11, v5, vcc_lo
	v_add_co_u32 v2, vcc_lo, s8, v4
	v_add_co_ci_u32_e32 v3, vcc_lo, s9, v5, vcc_lo
	s_cselect_b32 s8, -1, 0
                                        ; implicit-def: $vgpr4_vgpr5
                                        ; implicit-def: $vgpr6_vgpr7
	s_branch .LBB42_84
.LBB42_83:                              ;   in Loop: Header=BB42_84 Depth=1
	s_or_b32 exec_lo, exec_lo, s2
	v_add_co_u32 v8, vcc_lo, v8, 8
	v_add_co_ci_u32_e32 v9, vcc_lo, 0, v9, vcc_lo
	v_add_co_u32 v0, vcc_lo, v0, 64
	s_delay_alu instid0(VALU_DEP_3) | instskip(SKIP_2) | instid1(VALU_DEP_3)
	v_add_nc_u32_e32 v14, -8, v8
	v_add_co_ci_u32_e32 v1, vcc_lo, 0, v1, vcc_lo
	v_add_co_u32 v2, s2, v2, 64
	v_cmp_lt_u32_e32 vcc_lo, 23, v14
	v_add_co_ci_u32_e64 v3, s2, 0, v3, s2
	v_add_nc_u32_e32 v13, 64, v13
	s_or_b32 s15, vcc_lo, s15
	s_delay_alu instid0(SALU_CYCLE_1)
	s_and_not1_b32 exec_lo, exec_lo, s15
	s_cbranch_execz .LBB42_91
.LBB42_84:                              ; =>This Inner Loop Header: Depth=1
	s_and_saveexec_b32 s2, s1
	s_cbranch_execz .LBB42_86
; %bb.85:                               ;   in Loop: Header=BB42_84 Depth=1
	ds_load_b64 v[4:5], v13
	ds_load_b64 v[6:7], v13 offset:2112
.LBB42_86:                              ;   in Loop: Header=BB42_84 Depth=1
	s_or_b32 exec_lo, exec_lo, s2
	s_waitcnt lgkmcnt(1)
	ds_bpermute_b32 v14, v10, v4
	ds_bpermute_b32 v15, v10, v5
	s_waitcnt lgkmcnt(2)
	ds_bpermute_b32 v16, v10, v6
	ds_bpermute_b32 v17, v10, v7
	s_waitcnt lgkmcnt(2)
	v_add_f64 v[4:5], v[4:5], v[14:15]
	s_waitcnt lgkmcnt(0)
	v_add_f64 v[6:7], v[6:7], v[16:17]
	ds_bpermute_b32 v14, v11, v4
	ds_bpermute_b32 v15, v11, v5
	;; [unrolled: 1-line block ×4, first 2 shown]
	s_waitcnt lgkmcnt(2)
	v_add_f64 v[4:5], v[4:5], v[14:15]
	s_waitcnt lgkmcnt(0)
	v_add_f64 v[6:7], v[6:7], v[16:17]
	ds_bpermute_b32 v14, v12, v4
	ds_bpermute_b32 v15, v12, v5
	ds_bpermute_b32 v16, v12, v6
	ds_bpermute_b32 v17, v12, v7
	s_waitcnt lgkmcnt(2)
	v_add_f64 v[4:5], v[4:5], v[14:15]
	v_add_co_u32 v14, vcc_lo, s4, v8
	s_waitcnt lgkmcnt(0)
	v_add_f64 v[6:7], v[6:7], v[16:17]
	v_add_co_ci_u32_e32 v15, vcc_lo, s5, v9, vcc_lo
	s_delay_alu instid0(VALU_DEP_1) | instskip(SKIP_1) | instid1(SALU_CYCLE_1)
	v_cmp_gt_i64_e32 vcc_lo, s[6:7], v[14:15]
	s_and_b32 s9, s0, vcc_lo
	s_and_saveexec_b32 s2, s9
	s_cbranch_execz .LBB42_83
; %bb.87:                               ;   in Loop: Header=BB42_84 Depth=1
	s_and_not1_b32 vcc_lo, exec_lo, s3
	s_cbranch_vccnz .LBB42_89
; %bb.88:                               ;   in Loop: Header=BB42_84 Depth=1
	global_store_b64 v[2:3], v[4:5], off
.LBB42_89:                              ;   in Loop: Header=BB42_84 Depth=1
	s_and_not1_b32 vcc_lo, exec_lo, s8
	s_cbranch_vccnz .LBB42_83
; %bb.90:                               ;   in Loop: Header=BB42_84 Depth=1
	global_store_b64 v[0:1], v[6:7], off
	s_branch .LBB42_83
.LBB42_91:
	s_nop 0
	s_sendmsg sendmsg(MSG_DEALLOC_VGPRS)
	s_endpgm
	.section	.rodata,"a",@progbits
	.p2align	6, 0x0
	.amdhsa_kernel _ZN2at6native12_GLOBAL__N_135GammaBetaBackwardCUDAKernelTemplateIddLj32ELj8ELj64ELb0ELb0ELb0EEEvllPKT_S5_PKT0_S8_PS3_S9_
		.amdhsa_group_segment_fixed_size 0
		.amdhsa_private_segment_fixed_size 0
		.amdhsa_kernarg_size 320
		.amdhsa_user_sgpr_count 14
		.amdhsa_user_sgpr_dispatch_ptr 0
		.amdhsa_user_sgpr_queue_ptr 0
		.amdhsa_user_sgpr_kernarg_segment_ptr 1
		.amdhsa_user_sgpr_dispatch_id 0
		.amdhsa_user_sgpr_private_segment_size 0
		.amdhsa_wavefront_size32 1
		.amdhsa_uses_dynamic_stack 0
		.amdhsa_enable_private_segment 0
		.amdhsa_system_sgpr_workgroup_id_x 1
		.amdhsa_system_sgpr_workgroup_id_y 1
		.amdhsa_system_sgpr_workgroup_id_z 0
		.amdhsa_system_sgpr_workgroup_info 0
		.amdhsa_system_vgpr_workitem_id 1
		.amdhsa_next_free_vgpr 113
		.amdhsa_next_free_sgpr 47
		.amdhsa_reserve_vcc 1
		.amdhsa_float_round_mode_32 0
		.amdhsa_float_round_mode_16_64 0
		.amdhsa_float_denorm_mode_32 3
		.amdhsa_float_denorm_mode_16_64 3
		.amdhsa_dx10_clamp 1
		.amdhsa_ieee_mode 1
		.amdhsa_fp16_overflow 0
		.amdhsa_workgroup_processor_mode 1
		.amdhsa_memory_ordered 1
		.amdhsa_forward_progress 0
		.amdhsa_shared_vgpr_count 0
		.amdhsa_exception_fp_ieee_invalid_op 0
		.amdhsa_exception_fp_denorm_src 0
		.amdhsa_exception_fp_ieee_div_zero 0
		.amdhsa_exception_fp_ieee_overflow 0
		.amdhsa_exception_fp_ieee_underflow 0
		.amdhsa_exception_fp_ieee_inexact 0
		.amdhsa_exception_int_div_zero 0
	.end_amdhsa_kernel
	.section	.text._ZN2at6native12_GLOBAL__N_135GammaBetaBackwardCUDAKernelTemplateIddLj32ELj8ELj64ELb0ELb0ELb0EEEvllPKT_S5_PKT0_S8_PS3_S9_,"axG",@progbits,_ZN2at6native12_GLOBAL__N_135GammaBetaBackwardCUDAKernelTemplateIddLj32ELj8ELj64ELb0ELb0ELb0EEEvllPKT_S5_PKT0_S8_PS3_S9_,comdat
.Lfunc_end42:
	.size	_ZN2at6native12_GLOBAL__N_135GammaBetaBackwardCUDAKernelTemplateIddLj32ELj8ELj64ELb0ELb0ELb0EEEvllPKT_S5_PKT0_S8_PS3_S9_, .Lfunc_end42-_ZN2at6native12_GLOBAL__N_135GammaBetaBackwardCUDAKernelTemplateIddLj32ELj8ELj64ELb0ELb0ELb0EEEvllPKT_S5_PKT0_S8_PS3_S9_
                                        ; -- End function
	.section	.AMDGPU.csdata,"",@progbits
; Kernel info:
; codeLenInByte = 9836
; NumSgprs: 49
; NumVgprs: 113
; ScratchSize: 0
; MemoryBound: 1
; FloatMode: 240
; IeeeMode: 1
; LDSByteSize: 0 bytes/workgroup (compile time only)
; SGPRBlocks: 6
; VGPRBlocks: 14
; NumSGPRsForWavesPerEU: 49
; NumVGPRsForWavesPerEU: 113
; Occupancy: 12
; WaveLimiterHint : 0
; COMPUTE_PGM_RSRC2:SCRATCH_EN: 0
; COMPUTE_PGM_RSRC2:USER_SGPR: 14
; COMPUTE_PGM_RSRC2:TRAP_HANDLER: 0
; COMPUTE_PGM_RSRC2:TGID_X_EN: 1
; COMPUTE_PGM_RSRC2:TGID_Y_EN: 1
; COMPUTE_PGM_RSRC2:TGID_Z_EN: 0
; COMPUTE_PGM_RSRC2:TIDIG_COMP_CNT: 1
	.section	.text._ZN2at6native12_GLOBAL__N_135GammaBetaBackwardCUDAKernelTemplateIddLj32ELj16ELj128ELb0ELb1ELb0EEEvllPKT_S5_PKT0_S8_PS3_S9_,"axG",@progbits,_ZN2at6native12_GLOBAL__N_135GammaBetaBackwardCUDAKernelTemplateIddLj32ELj16ELj128ELb0ELb1ELb0EEEvllPKT_S5_PKT0_S8_PS3_S9_,comdat
	.globl	_ZN2at6native12_GLOBAL__N_135GammaBetaBackwardCUDAKernelTemplateIddLj32ELj16ELj128ELb0ELb1ELb0EEEvllPKT_S5_PKT0_S8_PS3_S9_ ; -- Begin function _ZN2at6native12_GLOBAL__N_135GammaBetaBackwardCUDAKernelTemplateIddLj32ELj16ELj128ELb0ELb1ELb0EEEvllPKT_S5_PKT0_S8_PS3_S9_
	.p2align	8
	.type	_ZN2at6native12_GLOBAL__N_135GammaBetaBackwardCUDAKernelTemplateIddLj32ELj16ELj128ELb0ELb1ELb0EEEvllPKT_S5_PKT0_S8_PS3_S9_,@function
_ZN2at6native12_GLOBAL__N_135GammaBetaBackwardCUDAKernelTemplateIddLj32ELj16ELj128ELb0ELb1ELb0EEEvllPKT_S5_PKT0_S8_PS3_S9_: ; @_ZN2at6native12_GLOBAL__N_135GammaBetaBackwardCUDAKernelTemplateIddLj32ELj16ELj128ELb0ELb1ELb0EEEvllPKT_S5_PKT0_S8_PS3_S9_
; %bb.0:
	s_load_b128 s[20:23], s[0:1], 0x0
	s_mov_b32 s3, 0
	s_lshl_b32 s2, s15, 7
	v_bfe_u32 v17, v0, 10, 10
	s_waitcnt lgkmcnt(0)
	v_cmp_lt_i64_e64 s4, s[2:3], s[20:21]
	s_delay_alu instid0(VALU_DEP_1)
	s_and_b32 vcc_lo, exec_lo, s4
	s_cbranch_vccnz .LBB43_2
; %bb.1:
	v_bfe_u32 v2, v0, 10, 10
	s_mov_b64 s[4:5], 0
	s_mov_b32 s6, s3
	s_branch .LBB43_3
.LBB43_2:
	s_mov_b32 s6, -1
                                        ; implicit-def: $sgpr4_sgpr5
                                        ; implicit-def: $vgpr2
.LBB43_3:
	s_load_b128 s[16:19], s[0:1], 0x30
	v_dual_mov_b32 v11, s5 :: v_dual_and_b32 v16, 0x3ff, v0
	v_dual_mov_b32 v9, s5 :: v_dual_mov_b32 v8, s4
	v_mov_b32_e32 v10, s4
	s_and_not1_b32 vcc_lo, exec_lo, s6
	s_cbranch_vccnz .LBB43_11
; %bb.4:
	s_clause 0x2
	s_load_b32 s12, s[0:1], 0x4c
	s_load_b32 s15, s[0:1], 0x44
	s_load_b256 s[4:11], s[0:1], 0x10
	v_dual_mov_b32 v19, 4 :: v_dual_lshlrev_b32 v2, 3, v17
	v_dual_mov_b32 v18, 8 :: v_dual_mov_b32 v1, 0
	v_lshl_add_u32 v0, s14, 5, v16
	s_delay_alu instid0(VALU_DEP_3) | instskip(NEXT) | instid1(VALU_DEP_1)
	v_add_co_u32 v4, s0, v2, s2
	v_add_co_ci_u32_e64 v5, null, 0, 0, s0
	v_mov_b32_e32 v2, 0
	s_delay_alu instid0(VALU_DEP_3) | instskip(SKIP_1) | instid1(VALU_DEP_4)
	v_mul_lo_u32 v10, s23, v4
	v_mad_u64_u32 v[6:7], null, s22, v4, 0
	v_mul_lo_u32 v11, s22, v5
	v_dual_mov_b32 v24, 28 :: v_dual_mov_b32 v3, 0
	v_dual_mov_b32 v20, 12 :: v_dual_mov_b32 v21, 16
	s_waitcnt lgkmcnt(0)
	s_and_b32 s0, s12, 0xffff
	s_lshl_b32 s12, s15, 7
	v_mad_u32_u24 v8, v17, s0, v16
	s_delay_alu instid0(VALU_DEP_4)
	v_add3_u32 v7, v7, v11, v10
	s_mul_i32 s1, s23, s12
	s_mul_hi_u32 s15, s22, s12
	v_dual_mov_b32 v22, 20 :: v_dual_mov_b32 v23, 24
	v_and_b32_e32 v12, 31, v8
	v_lshlrev_b64 v[8:9], 3, v[0:1]
	v_lshlrev_b64 v[10:11], 3, v[6:7]
	s_mov_b32 s13, 0
	s_add_i32 s27, s15, s1
	v_add_co_u32 v4, vcc_lo, v4, v12
	v_add_co_ci_u32_e32 v5, vcc_lo, 0, v5, vcc_lo
	s_delay_alu instid0(VALU_DEP_3) | instskip(SKIP_2) | instid1(VALU_DEP_4)
	v_add_co_u32 v0, vcc_lo, v10, v8
	v_add_co_ci_u32_e32 v25, vcc_lo, v11, v9, vcc_lo
	v_mov_b32_e32 v11, v3
	v_lshlrev_b64 v[6:7], 3, v[4:5]
	v_dual_mov_b32 v10, v2 :: v_dual_mov_b32 v9, v3
	v_cmp_gt_u32_e64 s0, 8, v12
	v_mov_b32_e32 v8, v2
	s_mul_i32 s26, s22, s12
	s_lshl_b64 s[24:25], s[12:13], 3
	s_lshl_b64 s[26:27], s[26:27], 3
	;; [unrolled: 1-line block ×3, first 2 shown]
	s_branch .LBB43_7
.LBB43_5:                               ;   in Loop: Header=BB43_7 Depth=1
	s_or_b32 exec_lo, exec_lo, s13
.LBB43_6:                               ;   in Loop: Header=BB43_7 Depth=1
	s_delay_alu instid0(SALU_CYCLE_1)
	s_or_b32 exec_lo, exec_lo, s1
	v_add_co_u32 v26, vcc_lo, s6, v0
	v_add_co_ci_u32_e32 v27, vcc_lo, s7, v25, vcc_lo
	s_waitcnt vmcnt(1)
	ds_bpermute_b32 v58, v1, v14
	ds_bpermute_b32 v59, v1, v15
	s_waitcnt vmcnt(0)
	ds_bpermute_b32 v60, v1, v12
	global_load_b64 v[28:29], v[26:27], off
	v_add_co_u32 v26, vcc_lo, v26, s22
	v_add_co_ci_u32_e32 v27, vcc_lo, s23, v27, vcc_lo
	v_add_co_u32 v30, vcc_lo, s4, v0
	v_add_co_ci_u32_e32 v31, vcc_lo, s5, v25, vcc_lo
	global_load_b64 v[32:33], v[26:27], off
	global_load_b64 v[34:35], v[30:31], off
	v_add_co_u32 v26, vcc_lo, v26, s22
	v_add_co_ci_u32_e32 v27, vcc_lo, s23, v27, vcc_lo
	v_add_co_u32 v30, vcc_lo, v30, s22
	v_add_co_ci_u32_e32 v31, vcc_lo, s23, v31, vcc_lo
	global_load_b64 v[36:37], v[26:27], off
	;; [unrolled: 6-line block ×7, first 2 shown]
	global_load_b64 v[56:57], v[30:31], off
	v_add_co_u32 v30, vcc_lo, v30, s22
	v_add_co_ci_u32_e32 v31, vcc_lo, s23, v31, vcc_lo
	ds_bpermute_b32 v61, v1, v13
	v_add_co_u32 v6, vcc_lo, v6, s24
	global_load_b64 v[30:31], v[30:31], off
	s_add_u32 s2, s2, s12
	v_add_co_ci_u32_e32 v7, vcc_lo, s25, v7, vcc_lo
	s_addc_u32 s3, s3, 0
	v_add_co_u32 v4, vcc_lo, v4, s12
	v_cmp_lt_i64_e64 s1, s[2:3], s[20:21]
	v_add_co_ci_u32_e32 v5, vcc_lo, 0, v5, vcc_lo
	v_add_co_u32 v0, vcc_lo, v0, s26
	v_add_co_ci_u32_e32 v25, vcc_lo, s27, v25, vcc_lo
	s_delay_alu instid0(VALU_DEP_4)
	s_and_b32 vcc_lo, exec_lo, s1
	s_waitcnt vmcnt(15) lgkmcnt(2)
	v_add_f64 v[28:29], v[28:29], -v[58:59]
	ds_bpermute_b32 v58, v19, v14
	ds_bpermute_b32 v59, v19, v15
	s_waitcnt vmcnt(13)
	v_add_f64 v[8:9], v[8:9], v[34:35]
	s_waitcnt lgkmcnt(0)
	v_add_f64 v[32:33], v[32:33], -v[58:59]
	ds_bpermute_b32 v58, v18, v14
	ds_bpermute_b32 v59, v18, v15
	v_mul_f64 v[28:29], v[34:35], v[28:29]
	ds_bpermute_b32 v34, v19, v12
	ds_bpermute_b32 v35, v19, v13
	s_waitcnt vmcnt(12) lgkmcnt(2)
	v_add_f64 v[36:37], v[36:37], -v[58:59]
	s_waitcnt vmcnt(11)
	v_add_f64 v[8:9], v[8:9], v[38:39]
	v_mul_f64 v[32:33], v[38:39], v[32:33]
	v_fma_f64 v[10:11], v[28:29], v[60:61], v[10:11]
	ds_bpermute_b32 v28, v20, v14
	ds_bpermute_b32 v29, v20, v15
	s_waitcnt vmcnt(9)
	v_mul_f64 v[36:37], v[42:43], v[36:37]
	v_add_f64 v[8:9], v[8:9], v[42:43]
	s_waitcnt lgkmcnt(0)
	v_add_f64 v[28:29], v[40:41], -v[28:29]
	v_fma_f64 v[10:11], v[32:33], v[34:35], v[10:11]
	ds_bpermute_b32 v32, v21, v14
	ds_bpermute_b32 v33, v21, v15
	;; [unrolled: 1-line block ×4, first 2 shown]
	s_waitcnt vmcnt(7)
	v_add_f64 v[8:9], v[8:9], v[46:47]
	s_waitcnt lgkmcnt(2)
	v_add_f64 v[32:33], v[44:45], -v[32:33]
	v_mul_f64 v[28:29], v[46:47], v[28:29]
	s_waitcnt lgkmcnt(0)
	v_fma_f64 v[10:11], v[36:37], v[34:35], v[10:11]
	ds_bpermute_b32 v34, v22, v14
	ds_bpermute_b32 v35, v22, v15
	;; [unrolled: 1-line block ×4, first 2 shown]
	s_waitcnt vmcnt(5)
	v_add_f64 v[8:9], v[8:9], v[50:51]
	s_waitcnt lgkmcnt(2)
	v_add_f64 v[34:35], v[48:49], -v[34:35]
	v_mul_f64 v[32:33], v[50:51], v[32:33]
	s_waitcnt lgkmcnt(0)
	v_fma_f64 v[10:11], v[28:29], v[36:37], v[10:11]
	ds_bpermute_b32 v28, v23, v14
	ds_bpermute_b32 v29, v23, v15
	;; [unrolled: 1-line block ×6, first 2 shown]
	s_waitcnt vmcnt(3)
	v_add_f64 v[8:9], v[8:9], v[54:55]
	s_waitcnt lgkmcnt(4)
	v_add_f64 v[28:29], v[52:53], -v[28:29]
	v_mul_f64 v[34:35], v[54:55], v[34:35]
	s_waitcnt vmcnt(2) lgkmcnt(0)
	v_add_f64 v[14:15], v[26:27], -v[14:15]
	v_fma_f64 v[10:11], v[32:33], v[36:37], v[10:11]
	ds_bpermute_b32 v32, v22, v12
	ds_bpermute_b32 v33, v22, v13
	s_waitcnt vmcnt(1)
	v_add_f64 v[8:9], v[8:9], v[56:57]
	v_mul_f64 v[26:27], v[56:57], v[28:29]
	ds_bpermute_b32 v28, v23, v12
	ds_bpermute_b32 v29, v23, v13
	;; [unrolled: 1-line block ×3, first 2 shown]
	s_waitcnt vmcnt(0)
	v_mul_f64 v[14:15], v[30:31], v[14:15]
	ds_bpermute_b32 v13, v24, v13
	s_waitcnt lgkmcnt(4)
	v_fma_f64 v[10:11], v[34:35], v[32:33], v[10:11]
	v_add_f64 v[8:9], v[8:9], v[30:31]
	s_waitcnt lgkmcnt(2)
	s_delay_alu instid0(VALU_DEP_2) | instskip(SKIP_1) | instid1(VALU_DEP_1)
	v_fma_f64 v[10:11], v[26:27], v[28:29], v[10:11]
	s_waitcnt lgkmcnt(0)
	v_fma_f64 v[10:11], v[14:15], v[12:13], v[10:11]
	s_cbranch_vccz .LBB43_10
.LBB43_7:                               ; =>This Inner Loop Header: Depth=1
	v_dual_mov_b32 v13, v3 :: v_dual_mov_b32 v12, v2
	v_dual_mov_b32 v15, v3 :: v_dual_mov_b32 v14, v2
	s_and_saveexec_b32 s1, s0
	s_cbranch_execz .LBB43_6
; %bb.8:                                ;   in Loop: Header=BB43_7 Depth=1
	v_mov_b32_e32 v14, 0
	v_mov_b32_e32 v15, 0
	s_delay_alu instid0(VALU_DEP_2) | instskip(SKIP_1) | instid1(VALU_DEP_2)
	v_mov_b32_e32 v12, v14
	s_mov_b32 s13, exec_lo
	v_mov_b32_e32 v13, v15
	v_cmpx_gt_i64_e64 s[20:21], v[4:5]
	s_cbranch_execz .LBB43_5
; %bb.9:                                ;   in Loop: Header=BB43_7 Depth=1
	v_add_co_u32 v12, vcc_lo, s8, v6
	v_add_co_ci_u32_e32 v13, vcc_lo, s9, v7, vcc_lo
	v_add_co_u32 v26, vcc_lo, s10, v6
	v_add_co_ci_u32_e32 v27, vcc_lo, s11, v7, vcc_lo
	global_load_b64 v[14:15], v[12:13], off
	global_load_b64 v[12:13], v[26:27], off
	s_branch .LBB43_5
.LBB43_10:
	v_mov_b32_e32 v2, v17
.LBB43_11:
	v_lshrrev_b32_e32 v3, 5, v16
	s_delay_alu instid0(VALU_DEP_2) | instskip(SKIP_2) | instid1(VALU_DEP_2)
	v_mad_u32_u24 v1, v2, 33, v16
	s_mov_b32 s15, 0
	s_mov_b32 s0, exec_lo
	v_add_nc_u32_e32 v0, v3, v2
	s_delay_alu instid0(VALU_DEP_2)
	v_lshl_add_u32 v1, v1, 3, 0
	ds_store_b64 v1, v[10:11]
	ds_store_b64 v1, v[8:9] offset:4224
	s_waitcnt lgkmcnt(0)
	s_barrier
	buffer_gl0_inv
	v_cmpx_gt_u32_e32 32, v0
	s_cbranch_execz .LBB43_21
; %bb.12:
	v_mbcnt_lo_u32_b32 v6, -1, 0
	s_lshl_b64 s[4:5], s[14:15], 5
	v_add_nc_u32_e32 v12, -16, v0
	v_or_b32_e32 v5, s4, v3
	s_cmp_lg_u64 s[16:17], 0
	v_xor_b32_e32 v10, 1, v6
	v_and_b32_e32 v1, 31, v16
	v_xor_b32_e32 v4, 4, v6
	v_xor_b32_e32 v8, 2, v6
	v_cmp_eq_u32_e64 s1, 0, v16
	s_cselect_b32 s2, -1, 0
	v_cmp_gt_u32_e64 s0, 16, v1
	v_mul_u32_u24_e32 v7, 33, v1
	v_xor_b32_e32 v1, 8, v6
	s_cmp_lg_u64 s[18:19], 0
	s_delay_alu instid0(VALU_DEP_1)
	v_cmp_gt_i32_e32 vcc_lo, 32, v1
	v_cndmask_b32_e32 v1, v6, v1, vcc_lo
	v_cmp_gt_i32_e32 vcc_lo, 32, v4
	v_cndmask_b32_e32 v9, v6, v4, vcc_lo
	v_cmp_gt_i32_e32 vcc_lo, 32, v8
	v_add_co_u32 v4, s3, v5, v2
	s_delay_alu instid0(VALU_DEP_1) | instskip(SKIP_3) | instid1(VALU_DEP_3)
	v_add_co_ci_u32_e64 v5, null, s5, 0, s3
	v_cndmask_b32_e32 v11, v6, v8, vcc_lo
	v_cmp_gt_i32_e32 vcc_lo, 32, v10
	s_cselect_b32 s3, -1, 0
	v_lshlrev_b64 v[4:5], 3, v[4:5]
	v_cndmask_b32_e32 v6, v6, v10, vcc_lo
	v_lshlrev_b32_e32 v10, 2, v11
	v_lshlrev_b32_e32 v8, 2, v1
	s_delay_alu instid0(VALU_DEP_4) | instskip(NEXT) | instid1(VALU_DEP_4)
	v_add_co_u32 v0, vcc_lo, s18, v4
	v_lshlrev_b32_e32 v11, 2, v6
	v_add3_u32 v6, v7, v2, v3
	v_add_co_ci_u32_e32 v1, vcc_lo, s19, v5, vcc_lo
	v_add_co_u32 v2, vcc_lo, s16, v4
	v_lshlrev_b32_e32 v9, 2, v9
	v_add_co_ci_u32_e32 v3, vcc_lo, s17, v5, vcc_lo
	v_lshl_add_u32 v13, v6, 3, 0
                                        ; implicit-def: $vgpr4_vgpr5
                                        ; implicit-def: $vgpr6_vgpr7
	s_branch .LBB43_14
.LBB43_13:                              ;   in Loop: Header=BB43_14 Depth=1
	s_or_b32 exec_lo, exec_lo, s4
	v_add_co_u32 v0, vcc_lo, 0x80, v0
	v_add_co_u32 v12, s4, v12, 16
	v_add_co_ci_u32_e32 v1, vcc_lo, 0, v1, vcc_lo
	v_add_co_u32 v2, vcc_lo, 0x80, v2
	s_xor_b32 s4, s4, -1
	v_add_co_ci_u32_e32 v3, vcc_lo, 0, v3, vcc_lo
	v_add_nc_u32_e32 v13, 0x80, v13
	s_and_b32 s4, exec_lo, s4
	s_delay_alu instid0(SALU_CYCLE_1) | instskip(NEXT) | instid1(SALU_CYCLE_1)
	s_or_b32 s15, s4, s15
	s_and_not1_b32 exec_lo, exec_lo, s15
	s_cbranch_execz .LBB43_21
.LBB43_14:                              ; =>This Inner Loop Header: Depth=1
	s_and_saveexec_b32 s4, s0
	s_cbranch_execz .LBB43_16
; %bb.15:                               ;   in Loop: Header=BB43_14 Depth=1
	ds_load_b64 v[4:5], v13
	ds_load_b64 v[6:7], v13 offset:4224
.LBB43_16:                              ;   in Loop: Header=BB43_14 Depth=1
	s_or_b32 exec_lo, exec_lo, s4
	s_waitcnt lgkmcnt(1)
	ds_bpermute_b32 v14, v8, v4
	ds_bpermute_b32 v15, v8, v5
	s_waitcnt lgkmcnt(2)
	ds_bpermute_b32 v16, v8, v6
	ds_bpermute_b32 v17, v8, v7
	s_waitcnt lgkmcnt(2)
	v_add_f64 v[4:5], v[4:5], v[14:15]
	s_waitcnt lgkmcnt(0)
	v_add_f64 v[6:7], v[6:7], v[16:17]
	ds_bpermute_b32 v14, v9, v4
	ds_bpermute_b32 v15, v9, v5
	ds_bpermute_b32 v16, v9, v6
	ds_bpermute_b32 v17, v9, v7
	s_waitcnt lgkmcnt(2)
	v_add_f64 v[4:5], v[4:5], v[14:15]
	s_waitcnt lgkmcnt(0)
	v_add_f64 v[6:7], v[6:7], v[16:17]
	ds_bpermute_b32 v14, v10, v4
	ds_bpermute_b32 v15, v10, v5
	;; [unrolled: 8-line block ×3, first 2 shown]
	ds_bpermute_b32 v16, v11, v6
	ds_bpermute_b32 v17, v11, v7
	s_waitcnt lgkmcnt(2)
	v_add_f64 v[4:5], v[4:5], v[14:15]
	s_waitcnt lgkmcnt(0)
	v_add_f64 v[6:7], v[6:7], v[16:17]
	s_and_saveexec_b32 s4, s1
	s_cbranch_execz .LBB43_13
; %bb.17:                               ;   in Loop: Header=BB43_14 Depth=1
	s_and_not1_b32 vcc_lo, exec_lo, s2
	s_cbranch_vccnz .LBB43_19
; %bb.18:                               ;   in Loop: Header=BB43_14 Depth=1
	global_store_b64 v[2:3], v[4:5], off
.LBB43_19:                              ;   in Loop: Header=BB43_14 Depth=1
	s_and_not1_b32 vcc_lo, exec_lo, s3
	s_cbranch_vccnz .LBB43_13
; %bb.20:                               ;   in Loop: Header=BB43_14 Depth=1
	global_store_b64 v[0:1], v[6:7], off
	s_branch .LBB43_13
.LBB43_21:
	s_nop 0
	s_sendmsg sendmsg(MSG_DEALLOC_VGPRS)
	s_endpgm
	.section	.rodata,"a",@progbits
	.p2align	6, 0x0
	.amdhsa_kernel _ZN2at6native12_GLOBAL__N_135GammaBetaBackwardCUDAKernelTemplateIddLj32ELj16ELj128ELb0ELb1ELb0EEEvllPKT_S5_PKT0_S8_PS3_S9_
		.amdhsa_group_segment_fixed_size 0
		.amdhsa_private_segment_fixed_size 0
		.amdhsa_kernarg_size 320
		.amdhsa_user_sgpr_count 14
		.amdhsa_user_sgpr_dispatch_ptr 0
		.amdhsa_user_sgpr_queue_ptr 0
		.amdhsa_user_sgpr_kernarg_segment_ptr 1
		.amdhsa_user_sgpr_dispatch_id 0
		.amdhsa_user_sgpr_private_segment_size 0
		.amdhsa_wavefront_size32 1
		.amdhsa_uses_dynamic_stack 0
		.amdhsa_enable_private_segment 0
		.amdhsa_system_sgpr_workgroup_id_x 1
		.amdhsa_system_sgpr_workgroup_id_y 1
		.amdhsa_system_sgpr_workgroup_id_z 0
		.amdhsa_system_sgpr_workgroup_info 0
		.amdhsa_system_vgpr_workitem_id 1
		.amdhsa_next_free_vgpr 62
		.amdhsa_next_free_sgpr 28
		.amdhsa_reserve_vcc 1
		.amdhsa_float_round_mode_32 0
		.amdhsa_float_round_mode_16_64 0
		.amdhsa_float_denorm_mode_32 3
		.amdhsa_float_denorm_mode_16_64 3
		.amdhsa_dx10_clamp 1
		.amdhsa_ieee_mode 1
		.amdhsa_fp16_overflow 0
		.amdhsa_workgroup_processor_mode 1
		.amdhsa_memory_ordered 1
		.amdhsa_forward_progress 0
		.amdhsa_shared_vgpr_count 0
		.amdhsa_exception_fp_ieee_invalid_op 0
		.amdhsa_exception_fp_denorm_src 0
		.amdhsa_exception_fp_ieee_div_zero 0
		.amdhsa_exception_fp_ieee_overflow 0
		.amdhsa_exception_fp_ieee_underflow 0
		.amdhsa_exception_fp_ieee_inexact 0
		.amdhsa_exception_int_div_zero 0
	.end_amdhsa_kernel
	.section	.text._ZN2at6native12_GLOBAL__N_135GammaBetaBackwardCUDAKernelTemplateIddLj32ELj16ELj128ELb0ELb1ELb0EEEvllPKT_S5_PKT0_S8_PS3_S9_,"axG",@progbits,_ZN2at6native12_GLOBAL__N_135GammaBetaBackwardCUDAKernelTemplateIddLj32ELj16ELj128ELb0ELb1ELb0EEEvllPKT_S5_PKT0_S8_PS3_S9_,comdat
.Lfunc_end43:
	.size	_ZN2at6native12_GLOBAL__N_135GammaBetaBackwardCUDAKernelTemplateIddLj32ELj16ELj128ELb0ELb1ELb0EEEvllPKT_S5_PKT0_S8_PS3_S9_, .Lfunc_end43-_ZN2at6native12_GLOBAL__N_135GammaBetaBackwardCUDAKernelTemplateIddLj32ELj16ELj128ELb0ELb1ELb0EEEvllPKT_S5_PKT0_S8_PS3_S9_
                                        ; -- End function
	.section	.AMDGPU.csdata,"",@progbits
; Kernel info:
; codeLenInByte = 2180
; NumSgprs: 30
; NumVgprs: 62
; ScratchSize: 0
; MemoryBound: 0
; FloatMode: 240
; IeeeMode: 1
; LDSByteSize: 0 bytes/workgroup (compile time only)
; SGPRBlocks: 3
; VGPRBlocks: 7
; NumSGPRsForWavesPerEU: 30
; NumVGPRsForWavesPerEU: 62
; Occupancy: 16
; WaveLimiterHint : 0
; COMPUTE_PGM_RSRC2:SCRATCH_EN: 0
; COMPUTE_PGM_RSRC2:USER_SGPR: 14
; COMPUTE_PGM_RSRC2:TRAP_HANDLER: 0
; COMPUTE_PGM_RSRC2:TGID_X_EN: 1
; COMPUTE_PGM_RSRC2:TGID_Y_EN: 1
; COMPUTE_PGM_RSRC2:TGID_Z_EN: 0
; COMPUTE_PGM_RSRC2:TIDIG_COMP_CNT: 1
	.section	.text._ZN2at6native12_GLOBAL__N_135GammaBetaBackwardCUDAKernelTemplateIddLj32ELj16ELj128ELb0ELb0ELb0EEEvllPKT_S5_PKT0_S8_PS3_S9_,"axG",@progbits,_ZN2at6native12_GLOBAL__N_135GammaBetaBackwardCUDAKernelTemplateIddLj32ELj16ELj128ELb0ELb0ELb0EEEvllPKT_S5_PKT0_S8_PS3_S9_,comdat
	.globl	_ZN2at6native12_GLOBAL__N_135GammaBetaBackwardCUDAKernelTemplateIddLj32ELj16ELj128ELb0ELb0ELb0EEEvllPKT_S5_PKT0_S8_PS3_S9_ ; -- Begin function _ZN2at6native12_GLOBAL__N_135GammaBetaBackwardCUDAKernelTemplateIddLj32ELj16ELj128ELb0ELb0ELb0EEEvllPKT_S5_PKT0_S8_PS3_S9_
	.p2align	8
	.type	_ZN2at6native12_GLOBAL__N_135GammaBetaBackwardCUDAKernelTemplateIddLj32ELj16ELj128ELb0ELb0ELb0EEEvllPKT_S5_PKT0_S8_PS3_S9_,@function
_ZN2at6native12_GLOBAL__N_135GammaBetaBackwardCUDAKernelTemplateIddLj32ELj16ELj128ELb0ELb0ELb0EEEvllPKT_S5_PKT0_S8_PS3_S9_: ; @_ZN2at6native12_GLOBAL__N_135GammaBetaBackwardCUDAKernelTemplateIddLj32ELj16ELj128ELb0ELb0ELb0EEEvllPKT_S5_PKT0_S8_PS3_S9_
; %bb.0:
	s_clause 0x1
	s_load_b256 s[4:11], s[0:1], 0x0
	s_load_b128 s[36:39], s[0:1], 0x20
	s_lshl_b32 s33, s14, 5
	s_mov_b32 s13, 0
	s_or_b32 s12, s33, 31
	s_waitcnt lgkmcnt(0)
	v_cmp_ge_i64_e64 s2, s[12:13], s[6:7]
	s_lshl_b32 s12, s15, 7
	s_delay_alu instid0(SALU_CYCLE_1) | instskip(NEXT) | instid1(VALU_DEP_2)
	v_cmp_lt_i64_e64 s15, s[12:13], s[4:5]
	s_and_b32 vcc_lo, exec_lo, s2
	s_delay_alu instid0(VALU_DEP_1) | instskip(NEXT) | instid1(VALU_DEP_1)
	v_cndmask_b32_e64 v1, 0, 1, s15
	v_cmp_ne_u32_e64 s2, 1, v1
	s_cbranch_vccz .LBB44_48
; %bb.1:
	v_mov_b32_e32 v51, 0
	v_mov_b32_e32 v52, 0
	s_delay_alu instid0(VALU_DEP_2) | instskip(SKIP_1) | instid1(VALU_DEP_2)
	v_mov_b32_e32 v49, v51
	s_and_b32 vcc_lo, exec_lo, s2
	v_mov_b32_e32 v50, v52
	s_cbranch_vccnz .LBB44_49
; %bb.2:
	v_bfe_u32 v59, v0, 10, 10
	s_load_b32 s3, s[0:1], 0x44
	v_and_b32_e32 v61, 0x3ff, v0
	v_mov_b32_e32 v49, 0
	v_mov_b32_e32 v50, 0
	v_dual_mov_b32 v3, 0 :: v_dual_lshlrev_b32 v60, 3, v59
	s_delay_alu instid0(VALU_DEP_4) | instskip(SKIP_1) | instid1(VALU_DEP_3)
	v_add_nc_u32_e32 v2, s33, v61
	s_add_u32 s34, s0, 64
	v_dual_mov_b32 v52, v50 :: v_dual_mov_b32 v51, v49
	s_delay_alu instid0(VALU_DEP_3) | instskip(NEXT) | instid1(VALU_DEP_1)
	v_add_co_u32 v8, s2, v60, s12
	v_add_co_ci_u32_e64 v9, null, 0, 0, s2
	v_cmp_gt_i64_e64 s2, s[6:7], v[2:3]
	s_delay_alu instid0(VALU_DEP_3) | instskip(NEXT) | instid1(VALU_DEP_3)
	v_add_co_u32 v1, vcc_lo, v8, 7
	v_add_co_ci_u32_e32 v4, vcc_lo, 0, v9, vcc_lo
	v_add_co_u32 v10, vcc_lo, v8, 6
	s_delay_alu instid0(VALU_DEP_3) | instskip(NEXT) | instid1(VALU_DEP_3)
	v_mul_lo_u32 v6, s7, v1
	v_mul_lo_u32 v7, s6, v4
	v_mad_u64_u32 v[4:5], null, s6, v1, 0
	v_add_co_ci_u32_e32 v1, vcc_lo, 0, v9, vcc_lo
	v_lshlrev_b64 v[53:54], 3, v[2:3]
	s_addc_u32 s35, s1, 0
	s_waitcnt lgkmcnt(0)
	s_lshl_b32 s46, s3, 7
	s_mov_b32 s16, 0
	s_delay_alu instid0(VALU_DEP_3) | instskip(SKIP_3) | instid1(VALU_DEP_4)
	v_add3_u32 v5, v5, v7, v6
	v_mul_lo_u32 v6, s7, v10
	v_mul_lo_u32 v7, s6, v1
	v_mad_u64_u32 v[1:2], null, s6, v10, 0
	v_lshlrev_b64 v[4:5], 3, v[4:5]
	s_mul_i32 s3, s7, s46
	s_mul_hi_u32 s17, s6, s46
	s_mul_i32 s18, s6, s46
	s_add_i32 s19, s17, s3
	s_mov_b64 s[44:45], s[12:13]
	v_add_co_u32 v62, vcc_lo, s8, v4
	v_add_co_ci_u32_e32 v63, vcc_lo, s9, v5, vcc_lo
	v_add3_u32 v2, v2, v7, v6
	v_add_co_u32 v6, vcc_lo, v8, 5
	v_add_co_u32 v64, s3, s10, v4
	v_add_co_ci_u32_e32 v4, vcc_lo, 0, v9, vcc_lo
	v_add_co_u32 v11, vcc_lo, v8, 4
	v_add_co_ci_u32_e64 v65, s3, s11, v5, s3
	v_mul_lo_u32 v10, s7, v6
	s_delay_alu instid0(VALU_DEP_4)
	v_mul_lo_u32 v12, s6, v4
	v_mad_u64_u32 v[4:5], null, s6, v6, 0
	v_add_co_ci_u32_e32 v7, vcc_lo, 0, v9, vcc_lo
	v_lshlrev_b64 v[1:2], 3, v[1:2]
	v_mul_lo_u32 v13, s7, v11
	s_lshl_b64 s[40:41], s[18:19], 3
	s_delay_alu instid0(VALU_DEP_3) | instskip(SKIP_1) | instid1(VALU_DEP_4)
	v_mul_lo_u32 v14, s6, v7
	v_mad_u64_u32 v[6:7], null, s6, v11, 0
	v_add_co_u32 v66, vcc_lo, s8, v1
	v_add3_u32 v5, v5, v12, v10
	v_add_co_ci_u32_e32 v67, vcc_lo, s9, v2, vcc_lo
	v_add_co_u32 v68, vcc_lo, s10, v1
	v_add_co_ci_u32_e32 v69, vcc_lo, s11, v2, vcc_lo
	s_delay_alu instid0(VALU_DEP_4) | instskip(SKIP_3) | instid1(VALU_DEP_4)
	v_lshlrev_b64 v[1:2], 3, v[4:5]
	v_add3_u32 v7, v7, v14, v13
	v_add_co_u32 v10, vcc_lo, v8, 3
	v_add_co_ci_u32_e32 v11, vcc_lo, 0, v9, vcc_lo
	v_add_co_u32 v70, vcc_lo, s8, v1
	s_delay_alu instid0(VALU_DEP_4)
	v_lshlrev_b64 v[4:5], 3, v[6:7]
	v_add_co_ci_u32_e32 v71, vcc_lo, s9, v2, vcc_lo
	v_mul_lo_u32 v12, s7, v10
	v_mul_lo_u32 v11, s6, v11
	v_mad_u64_u32 v[6:7], null, s6, v10, 0
	v_add_co_u32 v72, vcc_lo, s10, v1
	v_add_co_ci_u32_e32 v73, vcc_lo, s11, v2, vcc_lo
	v_add_co_u32 v74, vcc_lo, s8, v4
	v_add_co_ci_u32_e32 v75, vcc_lo, s9, v5, vcc_lo
	v_add_co_u32 v10, vcc_lo, v8, 2
	v_add3_u32 v7, v7, v11, v12
	v_add_co_ci_u32_e32 v11, vcc_lo, 0, v9, vcc_lo
	v_add_co_u32 v76, vcc_lo, s10, v4
	v_add_co_ci_u32_e32 v77, vcc_lo, s11, v5, vcc_lo
	v_mul_lo_u32 v12, s7, v10
	s_delay_alu instid0(VALU_DEP_4)
	v_mul_lo_u32 v11, s6, v11
	v_mad_u64_u32 v[4:5], null, s6, v10, 0
	v_lshlrev_b64 v[1:2], 3, v[6:7]
	v_mul_lo_u32 v10, s7, v8
	v_mul_lo_u32 v9, s6, v9
	v_mad_u64_u32 v[6:7], null, s6, v8, 0
	s_add_u32 s42, s12, 0x7f
	s_delay_alu instid0(VALU_DEP_4)
	v_add_co_u32 v78, vcc_lo, s8, v1
	v_add3_u32 v5, v5, v11, v12
	v_add_co_ci_u32_e32 v79, vcc_lo, s9, v2, vcc_lo
	v_add_co_u32 v80, vcc_lo, s10, v1
	v_add3_u32 v7, v7, v9, v10
	v_add_co_ci_u32_e32 v81, vcc_lo, s11, v2, vcc_lo
	v_lshlrev_b64 v[1:2], 3, v[4:5]
	v_add_co_u32 v4, vcc_lo, v6, s6
	s_delay_alu instid0(VALU_DEP_4) | instskip(SKIP_1) | instid1(VALU_DEP_3)
	v_add_co_ci_u32_e32 v5, vcc_lo, s7, v7, vcc_lo
	s_addc_u32 s43, 0, 0
	v_add_co_u32 v82, vcc_lo, s8, v1
	s_delay_alu instid0(VALU_DEP_2) | instskip(SKIP_3) | instid1(VALU_DEP_4)
	v_lshlrev_b64 v[4:5], 3, v[4:5]
	v_add_co_ci_u32_e32 v83, vcc_lo, s9, v2, vcc_lo
	v_add_co_u32 v84, vcc_lo, s10, v1
	v_add_co_ci_u32_e32 v85, vcc_lo, s11, v2, vcc_lo
	v_add_co_u32 v86, vcc_lo, s8, v4
	v_lshlrev_b64 v[1:2], 3, v[6:7]
	v_add_co_ci_u32_e32 v87, vcc_lo, s9, v5, vcc_lo
	v_add_co_u32 v88, vcc_lo, s10, v4
	v_add_co_ci_u32_e32 v89, vcc_lo, s11, v5, vcc_lo
	s_delay_alu instid0(VALU_DEP_4)
	v_add_co_u32 v90, vcc_lo, s8, v1
	v_add_co_ci_u32_e32 v91, vcc_lo, s9, v2, vcc_lo
	v_add_co_u32 v92, vcc_lo, s10, v1
	v_add_co_ci_u32_e32 v93, vcc_lo, s11, v2, vcc_lo
	s_branch .LBB44_5
.LBB44_3:                               ;   in Loop: Header=BB44_5 Depth=1
	s_or_b32 exec_lo, exec_lo, s3
	s_waitcnt vmcnt(1)
	ds_bpermute_b32 v1, v3, v55
	ds_bpermute_b32 v2, v3, v56
	ds_bpermute_b32 v4, v3, v55 offset:4
	ds_bpermute_b32 v5, v3, v56 offset:4
	;; [unrolled: 1-line block ×4, first 2 shown]
	s_waitcnt vmcnt(0)
	ds_bpermute_b32 v8, v3, v57
	ds_bpermute_b32 v9, v3, v58
	ds_bpermute_b32 v10, v3, v55 offset:12
	ds_bpermute_b32 v11, v3, v56 offset:12
	;; [unrolled: 1-line block ×4, first 2 shown]
	s_waitcnt lgkmcnt(10)
	v_add_f64 v[1:2], v[17:18], -v[1:2]
	s_waitcnt lgkmcnt(8)
	v_add_f64 v[4:5], v[19:20], -v[4:5]
	;; [unrolled: 2-line block ×4, first 2 shown]
	s_delay_alu instid0(VALU_DEP_4) | instskip(NEXT) | instid1(VALU_DEP_4)
	v_mul_f64 v[1:2], v[33:34], v[1:2]
	v_mul_f64 v[4:5], v[35:36], v[4:5]
	s_delay_alu instid0(VALU_DEP_4) | instskip(NEXT) | instid1(VALU_DEP_4)
	v_mul_f64 v[6:7], v[37:38], v[6:7]
	v_mul_f64 v[10:11], v[39:40], v[10:11]
	s_delay_alu instid0(VALU_DEP_4) | instskip(SKIP_2) | instid1(VALU_DEP_2)
	v_fma_f64 v[1:2], v[1:2], v[8:9], v[49:50]
	v_add_f64 v[8:9], v[51:52], v[33:34]
	s_waitcnt lgkmcnt(0)
	v_fma_f64 v[1:2], v[4:5], v[12:13], v[1:2]
	s_delay_alu instid0(VALU_DEP_2)
	v_add_f64 v[4:5], v[35:36], v[8:9]
	ds_bpermute_b32 v8, v3, v55 offset:16
	ds_bpermute_b32 v9, v3, v56 offset:16
	;; [unrolled: 1-line block ×4, first 2 shown]
	s_waitcnt lgkmcnt(2)
	v_add_f64 v[8:9], v[25:26], -v[8:9]
	s_waitcnt lgkmcnt(0)
	v_fma_f64 v[1:2], v[6:7], v[12:13], v[1:2]
	v_add_f64 v[4:5], v[37:38], v[4:5]
	ds_bpermute_b32 v6, v3, v55 offset:20
	ds_bpermute_b32 v7, v3, v56 offset:20
	ds_bpermute_b32 v12, v3, v57 offset:12
	ds_bpermute_b32 v13, v3, v58 offset:12
	s_waitcnt lgkmcnt(2)
	v_add_f64 v[6:7], v[27:28], -v[6:7]
	v_mul_f64 v[8:9], v[41:42], v[8:9]
	s_waitcnt lgkmcnt(0)
	v_fma_f64 v[1:2], v[10:11], v[12:13], v[1:2]
	v_add_f64 v[4:5], v[39:40], v[4:5]
	ds_bpermute_b32 v10, v3, v55 offset:24
	ds_bpermute_b32 v11, v3, v56 offset:24
	;; [unrolled: 1-line block ×4, first 2 shown]
	s_waitcnt lgkmcnt(2)
	v_add_f64 v[10:11], v[29:30], -v[10:11]
	v_mul_f64 v[6:7], v[43:44], v[6:7]
	s_waitcnt lgkmcnt(0)
	v_fma_f64 v[1:2], v[8:9], v[12:13], v[1:2]
	v_add_f64 v[4:5], v[41:42], v[4:5]
	ds_bpermute_b32 v8, v3, v57 offset:20
	ds_bpermute_b32 v9, v3, v58 offset:20
	v_mul_f64 v[10:11], v[45:46], v[10:11]
	s_waitcnt lgkmcnt(0)
	v_fma_f64 v[1:2], v[6:7], v[8:9], v[1:2]
	v_add_f64 v[6:7], v[43:44], v[4:5]
	ds_bpermute_b32 v4, v3, v57 offset:24
	ds_bpermute_b32 v5, v3, v58 offset:24
	ds_bpermute_b32 v8, v3, v55 offset:28
	ds_bpermute_b32 v9, v3, v56 offset:28
	s_waitcnt lgkmcnt(2)
	v_fma_f64 v[4:5], v[10:11], v[4:5], v[1:2]
	v_add_f64 v[6:7], v[45:46], v[6:7]
	ds_bpermute_b32 v1, v3, v57 offset:28
	ds_bpermute_b32 v2, v3, v58 offset:28
.LBB44_4:                               ;   in Loop: Header=BB44_5 Depth=1
	s_waitcnt lgkmcnt(2)
	v_add_f64 v[8:9], v[31:32], -v[8:9]
	v_add_co_u32 v62, vcc_lo, v62, s40
	v_add_co_ci_u32_e32 v63, vcc_lo, s41, v63, vcc_lo
	v_add_co_u32 v64, vcc_lo, v64, s40
	v_add_co_ci_u32_e32 v65, vcc_lo, s41, v65, vcc_lo
	v_add_co_u32 v66, vcc_lo, v66, s40
	v_add_co_ci_u32_e32 v67, vcc_lo, s41, v67, vcc_lo
	v_add_co_u32 v68, vcc_lo, v68, s40
	v_add_co_ci_u32_e32 v69, vcc_lo, s41, v69, vcc_lo
	v_add_co_u32 v70, vcc_lo, v70, s40
	v_add_f64 v[51:52], v[6:7], v[47:48]
	v_add_co_ci_u32_e32 v71, vcc_lo, s41, v71, vcc_lo
	v_add_co_u32 v72, vcc_lo, v72, s40
	v_add_co_ci_u32_e32 v73, vcc_lo, s41, v73, vcc_lo
	v_add_co_u32 v74, vcc_lo, v74, s40
	v_add_co_ci_u32_e32 v75, vcc_lo, s41, v75, vcc_lo
	v_add_co_u32 v76, vcc_lo, v76, s40
	v_add_co_ci_u32_e32 v77, vcc_lo, s41, v77, vcc_lo
	v_add_co_u32 v78, vcc_lo, v78, s40
	v_add_co_ci_u32_e32 v79, vcc_lo, s41, v79, vcc_lo
	v_mul_f64 v[8:9], v[47:48], v[8:9]
	v_add_co_u32 v80, vcc_lo, v80, s40
	v_add_co_ci_u32_e32 v81, vcc_lo, s41, v81, vcc_lo
	v_add_co_u32 v82, vcc_lo, v82, s40
	v_add_co_ci_u32_e32 v83, vcc_lo, s41, v83, vcc_lo
	;; [unrolled: 2-line block ×4, first 2 shown]
	v_add_co_u32 v88, vcc_lo, v88, s40
	s_add_u32 s44, s44, s46
	v_add_co_ci_u32_e32 v89, vcc_lo, s41, v89, vcc_lo
	s_addc_u32 s45, s45, 0
	v_add_co_u32 v90, vcc_lo, v90, s40
	v_cmp_lt_i64_e64 s3, s[44:45], s[4:5]
	v_add_co_ci_u32_e32 v91, vcc_lo, s41, v91, vcc_lo
	v_add_co_u32 v92, vcc_lo, v92, s40
	v_add_co_ci_u32_e32 v93, vcc_lo, s41, v93, vcc_lo
	s_add_u32 s42, s42, s46
	s_addc_u32 s43, s43, 0
	s_and_b32 vcc_lo, exec_lo, s3
	s_waitcnt lgkmcnt(0)
	v_fma_f64 v[49:50], v[8:9], v[1:2], v[4:5]
	s_cbranch_vccz .LBB44_49
.LBB44_5:                               ; =>This Inner Loop Header: Depth=1
	v_cmp_ge_i64_e64 s3, s[42:43], s[4:5]
	v_add_co_u32 v94, s17, v60, s42
	s_delay_alu instid0(VALU_DEP_1) | instskip(NEXT) | instid1(VALU_DEP_3)
	v_add_co_ci_u32_e64 v95, null, 0, s43, s17
	s_and_b32 vcc_lo, exec_lo, s3
	s_cbranch_vccz .LBB44_27
; %bb.6:                                ;   in Loop: Header=BB44_5 Depth=1
	s_load_b32 s3, s[34:35], 0xc
	v_mov_b32_e32 v57, 0
	s_waitcnt lgkmcnt(0)
	s_and_b32 s3, s3, 0xffff
	s_delay_alu instid0(SALU_CYCLE_1) | instskip(SKIP_2) | instid1(VALU_DEP_2)
	v_mad_u32_u24 v1, v59, s3, v61
	v_mov_b32_e32 v58, 0
	s_mov_b32 s3, exec_lo
	v_and_b32_e32 v1, 31, v1
	s_delay_alu instid0(VALU_DEP_2) | instskip(NEXT) | instid1(VALU_DEP_2)
	v_dual_mov_b32 v55, v57 :: v_dual_mov_b32 v56, v58
	v_cmpx_gt_u32_e32 8, v1
	s_cbranch_execz .LBB44_10
; %bb.7:                                ;   in Loop: Header=BB44_5 Depth=1
	v_add_co_u32 v1, vcc_lo, v94, v1
	v_mov_b32_e32 v55, 0
	v_add_co_ci_u32_e32 v2, vcc_lo, 0, v95, vcc_lo
	v_mov_b32_e32 v56, 0
	s_delay_alu instid0(VALU_DEP_4) | instskip(NEXT) | instid1(VALU_DEP_3)
	v_add_co_u32 v1, vcc_lo, 0xffffff81, v1
	v_add_co_ci_u32_e32 v2, vcc_lo, -1, v2, vcc_lo
	s_delay_alu instid0(VALU_DEP_3) | instskip(SKIP_1) | instid1(VALU_DEP_2)
	v_dual_mov_b32 v58, v56 :: v_dual_mov_b32 v57, v55
	s_mov_b32 s17, exec_lo
	v_cmpx_gt_i64_e64 s[4:5], v[1:2]
	s_cbranch_execz .LBB44_9
; %bb.8:                                ;   in Loop: Header=BB44_5 Depth=1
	v_lshlrev_b64 v[1:2], 3, v[1:2]
	s_delay_alu instid0(VALU_DEP_1) | instskip(NEXT) | instid1(VALU_DEP_2)
	v_add_co_u32 v4, vcc_lo, s36, v1
	v_add_co_ci_u32_e32 v5, vcc_lo, s37, v2, vcc_lo
	v_add_co_u32 v1, vcc_lo, s38, v1
	v_add_co_ci_u32_e32 v2, vcc_lo, s39, v2, vcc_lo
	global_load_b64 v[55:56], v[4:5], off
	global_load_b64 v[57:58], v[1:2], off
.LBB44_9:                               ;   in Loop: Header=BB44_5 Depth=1
	s_or_b32 exec_lo, exec_lo, s17
.LBB44_10:                              ;   in Loop: Header=BB44_5 Depth=1
	s_delay_alu instid0(SALU_CYCLE_1)
	s_or_b32 exec_lo, exec_lo, s3
	v_add_co_u32 v1, vcc_lo, 0xffffff81, v94
	s_mov_b32 s31, s16
	v_add_co_ci_u32_e32 v2, vcc_lo, -1, v95, vcc_lo
	s_mov_b32 s17, s16
	s_mov_b32 s18, s16
	s_mov_b32 s19, s16
	s_mov_b32 s20, s16
	s_mov_b32 s21, s16
	s_mov_b32 s22, s16
	s_mov_b32 s23, s16
	s_mov_b32 s24, s16
	s_mov_b32 s25, s16
	s_mov_b32 s26, s16
	s_mov_b32 s27, s16
	s_mov_b32 s28, s16
	s_mov_b32 s29, s16
	s_mov_b32 s30, s16
	s_delay_alu instid0(SALU_CYCLE_1)
	v_dual_mov_b32 v32, s31 :: v_dual_mov_b32 v31, s30
	v_dual_mov_b32 v30, s29 :: v_dual_mov_b32 v29, s28
	;; [unrolled: 1-line block ×8, first 2 shown]
	v_cmp_gt_i64_e32 vcc_lo, s[4:5], v[1:2]
	v_dual_mov_b32 v48, v32 :: v_dual_mov_b32 v47, v31
	v_dual_mov_b32 v46, v30 :: v_dual_mov_b32 v45, v29
	;; [unrolled: 1-line block ×8, first 2 shown]
	s_and_b32 s17, s2, vcc_lo
	s_delay_alu instid0(SALU_CYCLE_1)
	s_and_saveexec_b32 s3, s17
	s_cbranch_execz .LBB44_12
; %bb.11:                               ;   in Loop: Header=BB44_5 Depth=1
	v_add_co_u32 v1, vcc_lo, v90, v53
	v_add_co_ci_u32_e32 v2, vcc_lo, v91, v54, vcc_lo
	v_add_co_u32 v4, vcc_lo, v92, v53
	v_add_co_ci_u32_e32 v5, vcc_lo, v93, v54, vcc_lo
	global_load_b64 v[1:2], v[1:2], off
	v_mov_b32_e32 v16, v3
	v_mov_b32_e32 v6, v3
	global_load_b64 v[17:18], v[4:5], off
	v_mov_b32_e32 v4, v3
	v_mov_b32_e32 v5, v3
	;; [unrolled: 1-line block ×11, first 2 shown]
	s_waitcnt vmcnt(1)
	v_dual_mov_b32 v19, v3 :: v_dual_mov_b32 v48, v16
	v_dual_mov_b32 v20, v3 :: v_dual_mov_b32 v45, v13
	;; [unrolled: 1-line block ×7, first 2 shown]
	v_mov_b32_e32 v26, v3
	v_dual_mov_b32 v27, v3 :: v_dual_mov_b32 v40, v8
	v_mov_b32_e32 v28, v3
	v_dual_mov_b32 v29, v3 :: v_dual_mov_b32 v38, v6
	;; [unrolled: 2-line block ×3, first 2 shown]
	v_mov_b32_e32 v47, v15
	v_mov_b32_e32 v43, v11
	;; [unrolled: 1-line block ×5, first 2 shown]
	v_dual_mov_b32 v34, v2 :: v_dual_mov_b32 v33, v1
.LBB44_12:                              ;   in Loop: Header=BB44_5 Depth=1
	s_or_b32 exec_lo, exec_lo, s3
	v_add_co_u32 v1, vcc_lo, 0xffffff82, v94
	v_add_co_ci_u32_e32 v2, vcc_lo, -1, v95, vcc_lo
	s_delay_alu instid0(VALU_DEP_1) | instskip(SKIP_1) | instid1(SALU_CYCLE_1)
	v_cmp_gt_i64_e32 vcc_lo, s[4:5], v[1:2]
	s_and_b32 s17, s2, vcc_lo
	s_and_saveexec_b32 s3, s17
	s_cbranch_execz .LBB44_14
; %bb.13:                               ;   in Loop: Header=BB44_5 Depth=1
	v_add_co_u32 v1, vcc_lo, v86, v53
	v_add_co_ci_u32_e32 v2, vcc_lo, v87, v54, vcc_lo
	v_add_co_u32 v4, vcc_lo, v88, v53
	v_add_co_ci_u32_e32 v5, vcc_lo, v89, v54, vcc_lo
	global_load_b64 v[35:36], v[1:2], off
	global_load_b64 v[19:20], v[4:5], off
.LBB44_14:                              ;   in Loop: Header=BB44_5 Depth=1
	s_or_b32 exec_lo, exec_lo, s3
	v_add_co_u32 v1, vcc_lo, 0xffffff83, v94
	v_add_co_ci_u32_e32 v2, vcc_lo, -1, v95, vcc_lo
	s_delay_alu instid0(VALU_DEP_1) | instskip(SKIP_1) | instid1(SALU_CYCLE_1)
	v_cmp_gt_i64_e32 vcc_lo, s[4:5], v[1:2]
	s_and_b32 s17, s2, vcc_lo
	s_and_saveexec_b32 s3, s17
	s_cbranch_execz .LBB44_16
; %bb.15:                               ;   in Loop: Header=BB44_5 Depth=1
	v_add_co_u32 v1, vcc_lo, v82, v53
	v_add_co_ci_u32_e32 v2, vcc_lo, v83, v54, vcc_lo
	v_add_co_u32 v4, vcc_lo, v84, v53
	v_add_co_ci_u32_e32 v5, vcc_lo, v85, v54, vcc_lo
	global_load_b64 v[37:38], v[1:2], off
	global_load_b64 v[21:22], v[4:5], off
.LBB44_16:                              ;   in Loop: Header=BB44_5 Depth=1
	;; [unrolled: 16-line block ×7, first 2 shown]
	s_or_b32 exec_lo, exec_lo, s3
	s_waitcnt vmcnt(1)
	ds_bpermute_b32 v1, v3, v55
	ds_bpermute_b32 v2, v3, v56
	ds_bpermute_b32 v4, v3, v55 offset:4
	ds_bpermute_b32 v5, v3, v56 offset:4
	ds_bpermute_b32 v6, v3, v55 offset:8
	ds_bpermute_b32 v7, v3, v56 offset:8
	s_waitcnt vmcnt(0)
	ds_bpermute_b32 v8, v3, v57
	ds_bpermute_b32 v9, v3, v58
	ds_bpermute_b32 v10, v3, v55 offset:12
	ds_bpermute_b32 v11, v3, v56 offset:12
	;; [unrolled: 1-line block ×4, first 2 shown]
	s_waitcnt lgkmcnt(10)
	v_add_f64 v[1:2], v[17:18], -v[1:2]
	s_waitcnt lgkmcnt(8)
	v_add_f64 v[4:5], v[19:20], -v[4:5]
	;; [unrolled: 2-line block ×4, first 2 shown]
	s_delay_alu instid0(VALU_DEP_4) | instskip(NEXT) | instid1(VALU_DEP_4)
	v_mul_f64 v[1:2], v[33:34], v[1:2]
	v_mul_f64 v[4:5], v[35:36], v[4:5]
	s_delay_alu instid0(VALU_DEP_4) | instskip(NEXT) | instid1(VALU_DEP_4)
	v_mul_f64 v[6:7], v[37:38], v[6:7]
	v_mul_f64 v[10:11], v[39:40], v[10:11]
	s_delay_alu instid0(VALU_DEP_4) | instskip(SKIP_2) | instid1(VALU_DEP_2)
	v_fma_f64 v[1:2], v[1:2], v[8:9], v[49:50]
	v_add_f64 v[8:9], v[51:52], v[33:34]
	s_waitcnt lgkmcnt(0)
	v_fma_f64 v[1:2], v[4:5], v[12:13], v[1:2]
	s_delay_alu instid0(VALU_DEP_2)
	v_add_f64 v[4:5], v[35:36], v[8:9]
	ds_bpermute_b32 v8, v3, v55 offset:16
	ds_bpermute_b32 v9, v3, v56 offset:16
	ds_bpermute_b32 v12, v3, v57 offset:8
	ds_bpermute_b32 v13, v3, v58 offset:8
	s_waitcnt lgkmcnt(2)
	v_add_f64 v[8:9], v[25:26], -v[8:9]
	s_waitcnt lgkmcnt(0)
	v_fma_f64 v[1:2], v[6:7], v[12:13], v[1:2]
	v_add_f64 v[4:5], v[37:38], v[4:5]
	ds_bpermute_b32 v6, v3, v55 offset:20
	ds_bpermute_b32 v7, v3, v56 offset:20
	;; [unrolled: 1-line block ×4, first 2 shown]
	s_waitcnt lgkmcnt(2)
	v_add_f64 v[6:7], v[27:28], -v[6:7]
	v_mul_f64 v[8:9], v[41:42], v[8:9]
	s_waitcnt lgkmcnt(0)
	v_fma_f64 v[1:2], v[10:11], v[12:13], v[1:2]
	v_add_f64 v[4:5], v[39:40], v[4:5]
	ds_bpermute_b32 v10, v3, v55 offset:24
	ds_bpermute_b32 v11, v3, v56 offset:24
	;; [unrolled: 1-line block ×4, first 2 shown]
	s_waitcnt lgkmcnt(2)
	v_add_f64 v[10:11], v[29:30], -v[10:11]
	v_mul_f64 v[6:7], v[43:44], v[6:7]
	s_waitcnt lgkmcnt(0)
	v_fma_f64 v[1:2], v[8:9], v[12:13], v[1:2]
	v_add_f64 v[4:5], v[41:42], v[4:5]
	ds_bpermute_b32 v8, v3, v57 offset:20
	ds_bpermute_b32 v9, v3, v58 offset:20
	v_mul_f64 v[10:11], v[45:46], v[10:11]
	s_waitcnt lgkmcnt(0)
	v_fma_f64 v[1:2], v[6:7], v[8:9], v[1:2]
	v_add_f64 v[6:7], v[43:44], v[4:5]
	ds_bpermute_b32 v4, v3, v57 offset:24
	ds_bpermute_b32 v5, v3, v58 offset:24
	;; [unrolled: 1-line block ×4, first 2 shown]
	s_waitcnt lgkmcnt(2)
	v_fma_f64 v[4:5], v[10:11], v[4:5], v[1:2]
	v_add_f64 v[6:7], v[45:46], v[6:7]
	ds_bpermute_b32 v1, v3, v57 offset:28
	ds_bpermute_b32 v2, v3, v58 offset:28
	s_branch .LBB44_4
.LBB44_27:                              ;   in Loop: Header=BB44_5 Depth=1
                                        ; implicit-def: $vgpr1_vgpr2
                                        ; implicit-def: $vgpr17_vgpr18_vgpr19_vgpr20_vgpr21_vgpr22_vgpr23_vgpr24_vgpr25_vgpr26_vgpr27_vgpr28_vgpr29_vgpr30_vgpr31_vgpr32
                                        ; implicit-def: $vgpr33_vgpr34_vgpr35_vgpr36_vgpr37_vgpr38_vgpr39_vgpr40_vgpr41_vgpr42_vgpr43_vgpr44_vgpr45_vgpr46_vgpr47_vgpr48
                                        ; implicit-def: $vgpr8
                                        ; implicit-def: $vgpr6_vgpr7
                                        ; implicit-def: $vgpr4_vgpr5
	s_cbranch_execz .LBB44_4
; %bb.28:                               ;   in Loop: Header=BB44_5 Depth=1
	s_load_b32 s3, s[34:35], 0x0
	v_mov_b32_e32 v57, 0
	s_waitcnt lgkmcnt(0)
	s_cmp_lt_u32 s14, s3
	s_cselect_b32 s3, 12, 18
	s_delay_alu instid0(SALU_CYCLE_1)
	s_add_u32 s18, s34, s3
	s_addc_u32 s19, s35, 0
	s_mov_b32 s3, exec_lo
	global_load_u16 v1, v3, s[18:19]
	s_waitcnt vmcnt(0)
	v_mad_u32_u24 v1, v59, v1, v61
	s_delay_alu instid0(VALU_DEP_1) | instskip(NEXT) | instid1(VALU_DEP_1)
	v_dual_mov_b32 v58, 0 :: v_dual_and_b32 v1, 31, v1
	v_dual_mov_b32 v55, v57 :: v_dual_mov_b32 v56, v58
	s_delay_alu instid0(VALU_DEP_2)
	v_cmpx_gt_u32_e32 8, v1
	s_cbranch_execz .LBB44_32
; %bb.29:                               ;   in Loop: Header=BB44_5 Depth=1
	v_add_co_u32 v1, vcc_lo, v94, v1
	v_mov_b32_e32 v55, 0
	v_add_co_ci_u32_e32 v2, vcc_lo, 0, v95, vcc_lo
	v_mov_b32_e32 v56, 0
	s_delay_alu instid0(VALU_DEP_4) | instskip(NEXT) | instid1(VALU_DEP_3)
	v_add_co_u32 v1, vcc_lo, 0xffffff81, v1
	v_add_co_ci_u32_e32 v2, vcc_lo, -1, v2, vcc_lo
	s_delay_alu instid0(VALU_DEP_3) | instskip(SKIP_1) | instid1(VALU_DEP_2)
	v_dual_mov_b32 v58, v56 :: v_dual_mov_b32 v57, v55
	s_mov_b32 s17, exec_lo
	v_cmpx_gt_i64_e64 s[4:5], v[1:2]
	s_cbranch_execz .LBB44_31
; %bb.30:                               ;   in Loop: Header=BB44_5 Depth=1
	v_lshlrev_b64 v[1:2], 3, v[1:2]
	s_delay_alu instid0(VALU_DEP_1) | instskip(NEXT) | instid1(VALU_DEP_2)
	v_add_co_u32 v4, vcc_lo, s36, v1
	v_add_co_ci_u32_e32 v5, vcc_lo, s37, v2, vcc_lo
	v_add_co_u32 v1, vcc_lo, s38, v1
	v_add_co_ci_u32_e32 v2, vcc_lo, s39, v2, vcc_lo
	global_load_b64 v[55:56], v[4:5], off
	global_load_b64 v[57:58], v[1:2], off
.LBB44_31:                              ;   in Loop: Header=BB44_5 Depth=1
	s_or_b32 exec_lo, exec_lo, s17
.LBB44_32:                              ;   in Loop: Header=BB44_5 Depth=1
	s_delay_alu instid0(SALU_CYCLE_1)
	s_or_b32 exec_lo, exec_lo, s3
	s_mov_b32 s31, s16
	s_mov_b32 s17, s16
	;; [unrolled: 1-line block ×15, first 2 shown]
	s_delay_alu instid0(SALU_CYCLE_1)
	v_dual_mov_b32 v32, s31 :: v_dual_mov_b32 v31, s30
	v_dual_mov_b32 v30, s29 :: v_dual_mov_b32 v29, s28
	v_dual_mov_b32 v28, s27 :: v_dual_mov_b32 v27, s26
	v_dual_mov_b32 v26, s25 :: v_dual_mov_b32 v25, s24
	v_dual_mov_b32 v24, s23 :: v_dual_mov_b32 v23, s22
	v_dual_mov_b32 v22, s21 :: v_dual_mov_b32 v21, s20
	v_dual_mov_b32 v20, s19 :: v_dual_mov_b32 v19, s18
	v_dual_mov_b32 v18, s17 :: v_dual_mov_b32 v17, s16
	v_dual_mov_b32 v48, v32 :: v_dual_mov_b32 v47, v31
	v_dual_mov_b32 v46, v30 :: v_dual_mov_b32 v45, v29
	v_dual_mov_b32 v44, v28 :: v_dual_mov_b32 v43, v27
	v_dual_mov_b32 v42, v26 :: v_dual_mov_b32 v41, v25
	v_dual_mov_b32 v40, v24 :: v_dual_mov_b32 v39, v23
	v_dual_mov_b32 v38, v22 :: v_dual_mov_b32 v37, v21
	v_dual_mov_b32 v36, v20 :: v_dual_mov_b32 v35, v19
	v_dual_mov_b32 v34, v18 :: v_dual_mov_b32 v33, v17
	s_and_saveexec_b32 s3, s2
	s_cbranch_execnz .LBB44_40
; %bb.33:                               ;   in Loop: Header=BB44_5 Depth=1
	s_or_b32 exec_lo, exec_lo, s3
	s_and_saveexec_b32 s3, s2
	s_cbranch_execnz .LBB44_41
.LBB44_34:                              ;   in Loop: Header=BB44_5 Depth=1
	s_or_b32 exec_lo, exec_lo, s3
	s_and_saveexec_b32 s3, s2
	s_cbranch_execnz .LBB44_42
.LBB44_35:                              ;   in Loop: Header=BB44_5 Depth=1
	s_or_b32 exec_lo, exec_lo, s3
	s_and_saveexec_b32 s3, s2
	s_cbranch_execnz .LBB44_43
.LBB44_36:                              ;   in Loop: Header=BB44_5 Depth=1
	s_or_b32 exec_lo, exec_lo, s3
	s_and_saveexec_b32 s3, s2
	s_cbranch_execnz .LBB44_44
.LBB44_37:                              ;   in Loop: Header=BB44_5 Depth=1
	s_or_b32 exec_lo, exec_lo, s3
	s_and_saveexec_b32 s3, s2
	s_cbranch_execnz .LBB44_45
.LBB44_38:                              ;   in Loop: Header=BB44_5 Depth=1
	s_or_b32 exec_lo, exec_lo, s3
	s_and_saveexec_b32 s3, s2
	s_cbranch_execnz .LBB44_46
.LBB44_39:                              ;   in Loop: Header=BB44_5 Depth=1
	s_or_b32 exec_lo, exec_lo, s3
	s_and_saveexec_b32 s3, s2
	s_cbranch_execz .LBB44_3
	s_branch .LBB44_47
.LBB44_40:                              ;   in Loop: Header=BB44_5 Depth=1
	v_add_co_u32 v1, vcc_lo, v90, v53
	v_add_co_ci_u32_e32 v2, vcc_lo, v91, v54, vcc_lo
	v_add_co_u32 v4, vcc_lo, v92, v53
	v_add_co_ci_u32_e32 v5, vcc_lo, v93, v54, vcc_lo
	global_load_b64 v[1:2], v[1:2], off
	v_mov_b32_e32 v16, v3
	v_mov_b32_e32 v6, v3
	global_load_b64 v[17:18], v[4:5], off
	v_mov_b32_e32 v4, v3
	v_mov_b32_e32 v5, v3
	;; [unrolled: 1-line block ×11, first 2 shown]
	s_waitcnt vmcnt(1)
	v_dual_mov_b32 v19, v3 :: v_dual_mov_b32 v48, v16
	v_dual_mov_b32 v20, v3 :: v_dual_mov_b32 v45, v13
	;; [unrolled: 1-line block ×7, first 2 shown]
	v_mov_b32_e32 v26, v3
	v_dual_mov_b32 v27, v3 :: v_dual_mov_b32 v40, v8
	v_mov_b32_e32 v28, v3
	v_dual_mov_b32 v29, v3 :: v_dual_mov_b32 v38, v6
	;; [unrolled: 2-line block ×3, first 2 shown]
	v_mov_b32_e32 v47, v15
	v_mov_b32_e32 v43, v11
	;; [unrolled: 1-line block ×5, first 2 shown]
	v_dual_mov_b32 v34, v2 :: v_dual_mov_b32 v33, v1
	s_or_b32 exec_lo, exec_lo, s3
	s_and_saveexec_b32 s3, s2
	s_cbranch_execz .LBB44_34
.LBB44_41:                              ;   in Loop: Header=BB44_5 Depth=1
	v_add_co_u32 v1, vcc_lo, v86, v53
	v_add_co_ci_u32_e32 v2, vcc_lo, v87, v54, vcc_lo
	v_add_co_u32 v4, vcc_lo, v88, v53
	v_add_co_ci_u32_e32 v5, vcc_lo, v89, v54, vcc_lo
	global_load_b64 v[35:36], v[1:2], off
	global_load_b64 v[19:20], v[4:5], off
	s_or_b32 exec_lo, exec_lo, s3
	s_and_saveexec_b32 s3, s2
	s_cbranch_execz .LBB44_35
.LBB44_42:                              ;   in Loop: Header=BB44_5 Depth=1
	v_add_co_u32 v1, vcc_lo, v82, v53
	v_add_co_ci_u32_e32 v2, vcc_lo, v83, v54, vcc_lo
	v_add_co_u32 v4, vcc_lo, v84, v53
	v_add_co_ci_u32_e32 v5, vcc_lo, v85, v54, vcc_lo
	global_load_b64 v[37:38], v[1:2], off
	global_load_b64 v[21:22], v[4:5], off
	s_or_b32 exec_lo, exec_lo, s3
	s_and_saveexec_b32 s3, s2
	s_cbranch_execz .LBB44_36
.LBB44_43:                              ;   in Loop: Header=BB44_5 Depth=1
	v_add_co_u32 v1, vcc_lo, v78, v53
	v_add_co_ci_u32_e32 v2, vcc_lo, v79, v54, vcc_lo
	v_add_co_u32 v4, vcc_lo, v80, v53
	v_add_co_ci_u32_e32 v5, vcc_lo, v81, v54, vcc_lo
	global_load_b64 v[39:40], v[1:2], off
	global_load_b64 v[23:24], v[4:5], off
	s_or_b32 exec_lo, exec_lo, s3
	s_and_saveexec_b32 s3, s2
	s_cbranch_execz .LBB44_37
.LBB44_44:                              ;   in Loop: Header=BB44_5 Depth=1
	v_add_co_u32 v1, vcc_lo, v74, v53
	v_add_co_ci_u32_e32 v2, vcc_lo, v75, v54, vcc_lo
	v_add_co_u32 v4, vcc_lo, v76, v53
	v_add_co_ci_u32_e32 v5, vcc_lo, v77, v54, vcc_lo
	global_load_b64 v[41:42], v[1:2], off
	global_load_b64 v[25:26], v[4:5], off
	s_or_b32 exec_lo, exec_lo, s3
	s_and_saveexec_b32 s3, s2
	s_cbranch_execz .LBB44_38
.LBB44_45:                              ;   in Loop: Header=BB44_5 Depth=1
	v_add_co_u32 v1, vcc_lo, v70, v53
	v_add_co_ci_u32_e32 v2, vcc_lo, v71, v54, vcc_lo
	v_add_co_u32 v4, vcc_lo, v72, v53
	v_add_co_ci_u32_e32 v5, vcc_lo, v73, v54, vcc_lo
	global_load_b64 v[43:44], v[1:2], off
	global_load_b64 v[27:28], v[4:5], off
	s_or_b32 exec_lo, exec_lo, s3
	s_and_saveexec_b32 s3, s2
	s_cbranch_execz .LBB44_39
.LBB44_46:                              ;   in Loop: Header=BB44_5 Depth=1
	v_add_co_u32 v1, vcc_lo, v66, v53
	v_add_co_ci_u32_e32 v2, vcc_lo, v67, v54, vcc_lo
	v_add_co_u32 v4, vcc_lo, v68, v53
	v_add_co_ci_u32_e32 v5, vcc_lo, v69, v54, vcc_lo
	global_load_b64 v[45:46], v[1:2], off
	global_load_b64 v[29:30], v[4:5], off
	s_or_b32 exec_lo, exec_lo, s3
	s_and_saveexec_b32 s3, s2
	s_cbranch_execz .LBB44_3
.LBB44_47:                              ;   in Loop: Header=BB44_5 Depth=1
	v_add_co_u32 v1, vcc_lo, v62, v53
	v_add_co_ci_u32_e32 v2, vcc_lo, v63, v54, vcc_lo
	v_add_co_u32 v4, vcc_lo, v64, v53
	v_add_co_ci_u32_e32 v5, vcc_lo, v65, v54, vcc_lo
	global_load_b64 v[47:48], v[1:2], off
	global_load_b64 v[31:32], v[4:5], off
	s_branch .LBB44_3
.LBB44_48:
                                        ; implicit-def: $vgpr51_vgpr52
                                        ; implicit-def: $vgpr49_vgpr50
	s_branch .LBB44_50
.LBB44_49:
	s_cbranch_execnz .LBB44_81
.LBB44_50:
	v_mov_b32_e32 v51, 0
	v_mov_b32_e32 v52, 0
	s_delay_alu instid0(VALU_DEP_2) | instskip(SKIP_1) | instid1(VALU_DEP_2)
	v_mov_b32_e32 v49, v51
	s_and_not1_b32 vcc_lo, exec_lo, s15
	v_mov_b32_e32 v50, v52
	s_cbranch_vccnz .LBB44_81
; %bb.51:
	s_load_b32 s2, s[0:1], 0x44
	v_bfe_u32 v75, v0, 10, 10
	v_dual_mov_b32 v3, 0 :: v_dual_and_b32 v48, 0x3ff, v0
	s_add_u32 s34, s0, 64
	s_addc_u32 s35, s1, 0
	s_delay_alu instid0(VALU_DEP_2) | instskip(NEXT) | instid1(VALU_DEP_2)
	v_lshlrev_b32_e32 v1, 6, v75
	v_dual_mov_b32 v49, 0 :: v_dual_add_nc_u32 v2, s33, v48
	v_mov_b32_e32 v50, 0
	v_lshlrev_b32_e32 v76, 3, v75
	s_delay_alu instid0(VALU_DEP_3) | instskip(NEXT) | instid1(VALU_DEP_3)
	v_lshlrev_b64 v[36:37], 3, v[2:3]
	v_dual_mov_b32 v52, v50 :: v_dual_mov_b32 v51, v49
	s_waitcnt lgkmcnt(0)
	s_lshl_b32 s15, s2, 7
	s_add_u32 s40, s12, 0x7f
	s_addc_u32 s41, 0, 0
	s_lshl_b64 s[2:3], s[12:13], 3
	s_mul_i32 s16, s7, s15
	v_add_co_u32 v1, s2, v1, s2
	s_delay_alu instid0(VALU_DEP_1) | instskip(SKIP_1) | instid1(VALU_DEP_3)
	v_add_co_ci_u32_e64 v2, null, 0, s3, s2
	v_add_co_u32 v24, s3, v76, s12
	v_add_co_u32 v6, vcc_lo, v1, 8
	s_delay_alu instid0(VALU_DEP_3) | instskip(SKIP_3) | instid1(VALU_DEP_4)
	v_add_co_ci_u32_e32 v4, vcc_lo, 0, v2, vcc_lo
	v_add_co_u32 v7, vcc_lo, v1, 16
	v_add_co_ci_u32_e32 v5, vcc_lo, 0, v2, vcc_lo
	v_add_co_u32 v10, vcc_lo, v1, 24
	v_mul_lo_u32 v8, s6, v4
	v_add_co_ci_u32_e32 v4, vcc_lo, 0, v2, vcc_lo
	v_add_co_u32 v13, vcc_lo, v1, 32
	v_mul_lo_u32 v11, s6, v5
	;; [unrolled: 3-line block ×4, first 2 shown]
	v_add_co_ci_u32_e32 v5, vcc_lo, 0, v2, vcc_lo
	v_add_co_ci_u32_e64 v25, null, 0, 0, s3
	v_add_co_u32 v26, vcc_lo, v1, 56
	v_mul_lo_u32 v20, s6, v4
	s_delay_alu instid0(VALU_DEP_4) | instskip(SKIP_4) | instid1(VALU_DEP_4)
	v_mul_lo_u32 v22, s6, v5
	v_add_co_ci_u32_e32 v4, vcc_lo, 0, v2, vcc_lo
	v_mul_lo_u32 v5, s7, v24
	v_mul_lo_u32 v27, s6, v25
	v_mad_u64_u32 v[1:2], null, s6, v24, 0
	v_mul_lo_u32 v28, s6, v4
	v_mad_u64_u32 v[38:39], null, s6, v6, s[8:9]
	;; [unrolled: 2-line block ×3, first 2 shown]
	v_add3_u32 v2, v2, v27, v5
	v_mad_u64_u32 v[40:41], null, s6, v7, s[8:9]
	v_mul_lo_u32 v12, s7, v7
	v_mad_u64_u32 v[59:60], null, s6, v7, s[10:11]
	s_delay_alu instid0(VALU_DEP_4)
	v_lshlrev_b64 v[4:5], 3, v[1:2]
	v_add3_u32 v39, v9, v39, v8
	v_add3_u32 v58, v9, v58, v8
	v_mad_u64_u32 v[42:43], null, s6, v10, s[8:9]
	v_mul_lo_u32 v15, s7, v10
	v_add_co_u32 v77, vcc_lo, s8, v4
	v_add_co_ci_u32_e32 v78, vcc_lo, s9, v5, vcc_lo
	v_add_co_u32 v8, vcc_lo, v24, 7
	v_add_co_ci_u32_e32 v6, vcc_lo, 0, v25, vcc_lo
	v_mad_u64_u32 v[61:62], null, s6, v10, s[10:11]
	v_add3_u32 v41, v12, v41, v11
	v_add3_u32 v60, v12, v60, v11
	v_add_co_u32 v12, vcc_lo, v24, 6
	v_mul_lo_u32 v10, s7, v8
	v_mul_lo_u32 v11, s6, v6
	v_mad_u64_u32 v[6:7], null, s6, v8, 0
	v_add_co_ci_u32_e32 v9, vcc_lo, 0, v25, vcc_lo
	v_mad_u64_u32 v[44:45], null, s6, v13, s[8:9]
	v_mul_lo_u32 v18, s7, v13
	v_add3_u32 v43, v15, v43, v14
	v_mad_u64_u32 v[63:64], null, s6, v13, s[10:11]
	v_add3_u32 v62, v15, v62, v14
	v_mul_lo_u32 v13, s7, v12
	v_mul_lo_u32 v14, s6, v9
	v_mad_u64_u32 v[8:9], null, s6, v12, 0
	v_add3_u32 v7, v7, v11, v10
	v_add_co_u32 v79, vcc_lo, s10, v4
	v_add_co_ci_u32_e32 v80, vcc_lo, s11, v5, vcc_lo
	s_delay_alu instid0(VALU_DEP_3) | instskip(SKIP_3) | instid1(VALU_DEP_4)
	v_lshlrev_b64 v[4:5], 3, v[6:7]
	v_add3_u32 v9, v9, v14, v13
	v_add_co_u32 v10, vcc_lo, v24, 5
	v_add_co_ci_u32_e32 v11, vcc_lo, 0, v25, vcc_lo
	v_add_co_u32 v81, vcc_lo, s8, v4
	s_delay_alu instid0(VALU_DEP_4)
	v_lshlrev_b64 v[6:7], 3, v[8:9]
	v_add_co_ci_u32_e32 v82, vcc_lo, s9, v5, vcc_lo
	v_mul_lo_u32 v12, s7, v10
	v_mul_lo_u32 v11, s6, v11
	v_mad_u64_u32 v[8:9], null, s6, v10, 0
	v_add_co_u32 v83, vcc_lo, s10, v4
	v_add_co_ci_u32_e32 v84, vcc_lo, s11, v5, vcc_lo
	v_add_co_u32 v85, vcc_lo, s8, v6
	v_add_co_ci_u32_e32 v86, vcc_lo, s9, v7, vcc_lo
	s_mul_hi_u32 s2, s6, s15
	v_add_co_u32 v10, vcc_lo, v24, 4
	v_add3_u32 v9, v9, v11, v12
	s_add_i32 s3, s2, s16
	v_add_co_u32 v87, s2, s10, v6
	v_add_co_ci_u32_e32 v6, vcc_lo, 0, v25, vcc_lo
	v_add_co_u32 v12, vcc_lo, v24, 3
	v_lshlrev_b64 v[4:5], 3, v[8:9]
	v_add_co_ci_u32_e32 v8, vcc_lo, 0, v25, vcc_lo
	v_add_co_ci_u32_e64 v88, s2, s11, v7, s2
	v_mul_lo_u32 v11, s7, v10
	v_mul_lo_u32 v13, s6, v6
	v_mad_u64_u32 v[6:7], null, s6, v10, 0
	v_mul_lo_u32 v10, s7, v12
	v_mul_lo_u32 v14, s6, v8
	v_mad_u64_u32 v[8:9], null, s6, v12, 0
	v_add_co_u32 v89, vcc_lo, s8, v4
	v_add_co_ci_u32_e32 v90, vcc_lo, s9, v5, vcc_lo
	v_add3_u32 v7, v7, v13, v11
	v_add_co_u32 v91, vcc_lo, s10, v4
	v_add_co_ci_u32_e32 v92, vcc_lo, s11, v5, vcc_lo
	v_add3_u32 v9, v9, v14, v10
	v_add_co_u32 v10, vcc_lo, v24, 2
	v_lshlrev_b64 v[4:5], 3, v[6:7]
	v_add_co_ci_u32_e32 v11, vcc_lo, 0, v25, vcc_lo
	s_delay_alu instid0(VALU_DEP_4) | instskip(NEXT) | instid1(VALU_DEP_4)
	v_lshlrev_b64 v[6:7], 3, v[8:9]
	v_mul_lo_u32 v12, s7, v10
	v_mad_u64_u32 v[8:9], null, s6, v10, 0
	v_add_co_u32 v93, vcc_lo, s8, v4
	v_mul_lo_u32 v11, s6, v11
	v_add_co_ci_u32_e32 v94, vcc_lo, s9, v5, vcc_lo
	v_add_co_u32 v95, vcc_lo, s10, v4
	v_add_co_ci_u32_e32 v96, vcc_lo, s11, v5, vcc_lo
	v_add_co_u32 v97, vcc_lo, s8, v6
	v_add_co_ci_u32_e32 v98, vcc_lo, s9, v7, vcc_lo
	v_add3_u32 v9, v9, v11, v12
	v_add_co_u32 v99, vcc_lo, s10, v6
	v_add_co_ci_u32_e32 v100, vcc_lo, s11, v7, vcc_lo
	v_add_co_u32 v1, vcc_lo, v1, s6
	s_delay_alu instid0(VALU_DEP_4) | instskip(SKIP_3) | instid1(VALU_DEP_4)
	v_lshlrev_b64 v[4:5], 3, v[8:9]
	v_add_co_ci_u32_e32 v2, vcc_lo, s7, v2, vcc_lo
	v_mad_u64_u32 v[46:47], null, s6, v17, s[8:9]
	v_mul_lo_u32 v21, s7, v17
	v_add_co_u32 v101, vcc_lo, s8, v4
	s_delay_alu instid0(VALU_DEP_4)
	v_lshlrev_b64 v[1:2], 3, v[1:2]
	v_add_co_ci_u32_e32 v102, vcc_lo, s9, v5, vcc_lo
	v_mad_u64_u32 v[53:54], null, s6, v19, s[8:9]
	v_mul_lo_u32 v23, s7, v19
	v_mad_u64_u32 v[55:56], null, s6, v26, s[8:9]
	v_mul_lo_u32 v29, s7, v26
	v_mad_u64_u32 v[65:66], null, s6, v17, s[10:11]
	v_mad_u64_u32 v[67:68], null, s6, v19, s[10:11]
	;; [unrolled: 1-line block ×3, first 2 shown]
	v_add_co_u32 v103, vcc_lo, s10, v4
	v_add_co_ci_u32_e32 v104, vcc_lo, s11, v5, vcc_lo
	v_add_co_u32 v105, vcc_lo, s8, v1
	v_add_co_ci_u32_e32 v106, vcc_lo, s9, v2, vcc_lo
	v_add_co_u32 v107, vcc_lo, s10, v1
	v_add3_u32 v45, v18, v45, v16
	v_add3_u32 v47, v21, v47, v20
	;; [unrolled: 1-line block ×8, first 2 shown]
	v_add_co_ci_u32_e32 v108, vcc_lo, s11, v2, vcc_lo
	s_mul_i32 s2, s6, s15
	s_mov_b32 s16, 0
	s_lshl_b64 s[2:3], s[2:3], 3
	s_branch .LBB44_55
.LBB44_52:                              ;   in Loop: Header=BB44_55 Depth=1
	s_or_b32 exec_lo, exec_lo, s9
.LBB44_53:                              ;   in Loop: Header=BB44_55 Depth=1
	s_delay_alu instid0(SALU_CYCLE_1)
	s_or_b32 exec_lo, exec_lo, s8
	v_add_co_u32 v6, vcc_lo, v79, v36
	v_add_co_ci_u32_e32 v7, vcc_lo, v80, v37, vcc_lo
	v_add_co_u32 v8, vcc_lo, v57, v36
	v_add_co_ci_u32_e32 v9, vcc_lo, v58, v37, vcc_lo
	global_load_b64 v[6:7], v[6:7], off
	v_add_co_u32 v10, vcc_lo, v77, v36
	v_add_co_ci_u32_e32 v11, vcc_lo, v78, v37, vcc_lo
	global_load_b64 v[8:9], v[8:9], off
	global_load_b64 v[10:11], v[10:11], off
	v_add_co_u32 v12, vcc_lo, v59, v36
	v_add_co_ci_u32_e32 v13, vcc_lo, v60, v37, vcc_lo
	v_add_co_u32 v14, vcc_lo, v38, v36
	v_add_co_ci_u32_e32 v15, vcc_lo, v39, v37, vcc_lo
	global_load_b64 v[12:13], v[12:13], off
	global_load_b64 v[14:15], v[14:15], off
	v_add_co_u32 v16, vcc_lo, v61, v36
	v_add_co_ci_u32_e32 v17, vcc_lo, v62, v37, vcc_lo
	;; [unrolled: 6-line block ×5, first 2 shown]
	v_add_co_u32 v30, vcc_lo, v67, v36
	v_add_co_ci_u32_e32 v31, vcc_lo, v68, v37, vcc_lo
	v_add_co_u32 v32, vcc_lo, v69, v36
	v_add_co_ci_u32_e32 v33, vcc_lo, v70, v37, vcc_lo
	global_load_b64 v[30:31], v[30:31], off
	global_load_b64 v[34:35], v[18:19], off
	;; [unrolled: 1-line block ×3, first 2 shown]
	v_add_co_u32 v18, vcc_lo, v53, v36
	v_add_co_ci_u32_e32 v19, vcc_lo, v54, v37, vcc_lo
	v_add_co_u32 v71, vcc_lo, v55, v36
	v_add_co_ci_u32_e32 v72, vcc_lo, v56, v37, vcc_lo
	global_load_b64 v[73:74], v[18:19], off
	global_load_b64 v[18:19], v[71:72], off
	s_waitcnt vmcnt(17)
	ds_bpermute_b32 v71, v3, v4
	ds_bpermute_b32 v72, v3, v5
	s_waitcnt vmcnt(16)
	ds_bpermute_b32 v109, v3, v1
	ds_bpermute_b32 v110, v3, v2
	s_waitcnt vmcnt(15) lgkmcnt(2)
	v_add_f64 v[6:7], v[6:7], -v[71:72]
	ds_bpermute_b32 v71, v3, v4 offset:4
	ds_bpermute_b32 v72, v3, v5 offset:4
	s_waitcnt vmcnt(14) lgkmcnt(0)
	v_add_f64 v[8:9], v[8:9], -v[71:72]
	ds_bpermute_b32 v71, v3, v4 offset:8
	ds_bpermute_b32 v72, v3, v5 offset:8
	s_waitcnt vmcnt(13)
	v_mul_f64 v[6:7], v[10:11], v[6:7]
	v_add_f64 v[10:11], v[51:52], v[10:11]
	ds_bpermute_b32 v51, v3, v1 offset:4
	ds_bpermute_b32 v52, v3, v2 offset:4
	s_waitcnt vmcnt(12) lgkmcnt(2)
	v_add_f64 v[12:13], v[12:13], -v[71:72]
	s_waitcnt vmcnt(11)
	v_mul_f64 v[8:9], v[14:15], v[8:9]
	v_fma_f64 v[6:7], v[6:7], v[109:110], v[49:50]
	ds_bpermute_b32 v49, v3, v4 offset:12
	ds_bpermute_b32 v50, v3, v5 offset:12
	v_add_f64 v[10:11], v[10:11], v[14:15]
	ds_bpermute_b32 v14, v3, v1 offset:8
	ds_bpermute_b32 v15, v3, v2 offset:8
	s_waitcnt vmcnt(9)
	v_mul_f64 v[12:13], v[20:21], v[12:13]
	s_waitcnt lgkmcnt(2)
	v_add_f64 v[16:17], v[16:17], -v[49:50]
	v_fma_f64 v[6:7], v[8:9], v[51:52], v[6:7]
	ds_bpermute_b32 v8, v3, v4 offset:16
	ds_bpermute_b32 v9, v3, v5 offset:16
	v_add_f64 v[10:11], v[10:11], v[20:21]
	s_waitcnt vmcnt(8) lgkmcnt(0)
	v_add_f64 v[8:9], v[24:25], -v[8:9]
	s_waitcnt vmcnt(7)
	v_mul_f64 v[16:17], v[22:23], v[16:17]
	v_fma_f64 v[6:7], v[12:13], v[14:15], v[6:7]
	ds_bpermute_b32 v12, v3, v4 offset:20
	ds_bpermute_b32 v13, v3, v5 offset:20
	;; [unrolled: 1-line block ×4, first 2 shown]
	v_add_f64 v[10:11], v[10:11], v[22:23]
	s_waitcnt vmcnt(6) lgkmcnt(2)
	v_add_f64 v[12:13], v[28:29], -v[12:13]
	s_waitcnt vmcnt(5)
	v_mul_f64 v[8:9], v[26:27], v[8:9]
	s_waitcnt lgkmcnt(0)
	v_fma_f64 v[6:7], v[16:17], v[14:15], v[6:7]
	ds_bpermute_b32 v14, v3, v4 offset:24
	ds_bpermute_b32 v15, v3, v5 offset:24
	;; [unrolled: 1-line block ×6, first 2 shown]
	v_add_f64 v[10:11], v[10:11], v[26:27]
	s_waitcnt vmcnt(4) lgkmcnt(4)
	v_add_f64 v[14:15], v[30:31], -v[14:15]
	s_waitcnt vmcnt(3)
	v_mul_f64 v[12:13], v[34:35], v[12:13]
	s_waitcnt vmcnt(2) lgkmcnt(0)
	v_add_f64 v[4:5], v[32:33], -v[4:5]
	v_fma_f64 v[6:7], v[8:9], v[16:17], v[6:7]
	ds_bpermute_b32 v8, v3, v1 offset:20
	ds_bpermute_b32 v9, v3, v2 offset:20
	v_add_f64 v[10:11], v[10:11], v[34:35]
	s_waitcnt vmcnt(1)
	v_mul_f64 v[14:15], v[73:74], v[14:15]
	s_waitcnt vmcnt(0)
	v_mul_f64 v[4:5], v[18:19], v[4:5]
	s_waitcnt lgkmcnt(0)
	v_fma_f64 v[6:7], v[12:13], v[8:9], v[6:7]
	ds_bpermute_b32 v8, v3, v1 offset:24
	ds_bpermute_b32 v9, v3, v2 offset:24
	ds_bpermute_b32 v12, v3, v1 offset:28
	ds_bpermute_b32 v13, v3, v2 offset:28
	v_add_f64 v[1:2], v[10:11], v[73:74]
	s_waitcnt lgkmcnt(0)
	v_mul_f64 v[4:5], v[4:5], v[12:13]
	v_fma_f64 v[6:7], v[14:15], v[8:9], v[6:7]
.LBB44_54:                              ;   in Loop: Header=BB44_55 Depth=1
	v_add_co_u32 v38, vcc_lo, v38, s2
	v_add_co_ci_u32_e32 v39, vcc_lo, s3, v39, vcc_lo
	v_add_co_u32 v40, vcc_lo, v40, s2
	v_add_co_ci_u32_e32 v41, vcc_lo, s3, v41, vcc_lo
	;; [unrolled: 2-line block ×18, first 2 shown]
	v_add_co_u32 v85, vcc_lo, v85, s2
	v_add_f64 v[49:50], v[6:7], v[4:5]
	v_add_f64 v[51:52], v[1:2], v[18:19]
	v_add_co_ci_u32_e32 v86, vcc_lo, s3, v86, vcc_lo
	v_add_co_u32 v87, vcc_lo, v87, s2
	v_add_co_ci_u32_e32 v88, vcc_lo, s3, v88, vcc_lo
	v_add_co_u32 v89, vcc_lo, v89, s2
	;; [unrolled: 2-line block ×9, first 2 shown]
	s_add_u32 s12, s12, s15
	v_add_co_ci_u32_e32 v104, vcc_lo, s3, v104, vcc_lo
	s_addc_u32 s13, s13, 0
	v_add_co_u32 v105, vcc_lo, v105, s2
	v_cmp_ge_i64_e64 s8, s[12:13], s[4:5]
	v_add_co_ci_u32_e32 v106, vcc_lo, s3, v106, vcc_lo
	v_add_co_u32 v107, vcc_lo, v107, s2
	v_add_co_ci_u32_e32 v108, vcc_lo, s3, v108, vcc_lo
	s_add_u32 s40, s40, s15
	s_addc_u32 s41, s41, 0
	s_and_b32 vcc_lo, exec_lo, s8
	s_cbranch_vccnz .LBB44_81
.LBB44_55:                              ; =>This Inner Loop Header: Depth=1
	v_cmp_ge_i64_e64 s8, s[40:41], s[4:5]
	v_add_co_u32 v109, s9, v76, s40
	s_delay_alu instid0(VALU_DEP_1) | instskip(NEXT) | instid1(VALU_DEP_3)
	v_add_co_ci_u32_e64 v110, null, 0, s41, s9
	s_and_b32 vcc_lo, exec_lo, s8
	s_cbranch_vccz .LBB44_77
; %bb.56:                               ;   in Loop: Header=BB44_55 Depth=1
	s_load_b32 s8, s[34:35], 0xc
	v_mov_b32_e32 v71, 0
	s_waitcnt lgkmcnt(0)
	s_and_b32 s8, s8, 0xffff
	s_delay_alu instid0(SALU_CYCLE_1) | instskip(SKIP_2) | instid1(VALU_DEP_1)
	v_mad_u32_u24 v1, v75, s8, v48
	v_mov_b32_e32 v72, 0
	s_mov_b32 s8, exec_lo
	v_dual_mov_b32 v74, v72 :: v_dual_and_b32 v1, 31, v1
	v_mov_b32_e32 v73, v71
	s_delay_alu instid0(VALU_DEP_2)
	v_cmpx_gt_u32_e32 8, v1
	s_cbranch_execz .LBB44_60
; %bb.57:                               ;   in Loop: Header=BB44_55 Depth=1
	v_add_co_u32 v1, vcc_lo, v109, v1
	v_mov_b32_e32 v73, 0
	v_add_co_ci_u32_e32 v2, vcc_lo, 0, v110, vcc_lo
	v_mov_b32_e32 v74, 0
	s_delay_alu instid0(VALU_DEP_4) | instskip(NEXT) | instid1(VALU_DEP_3)
	v_add_co_u32 v1, vcc_lo, 0xffffff81, v1
	v_add_co_ci_u32_e32 v2, vcc_lo, -1, v2, vcc_lo
	s_delay_alu instid0(VALU_DEP_3) | instskip(SKIP_1) | instid1(VALU_DEP_2)
	v_dual_mov_b32 v71, v73 :: v_dual_mov_b32 v72, v74
	s_mov_b32 s9, exec_lo
	v_cmpx_gt_i64_e64 s[4:5], v[1:2]
	s_cbranch_execz .LBB44_59
; %bb.58:                               ;   in Loop: Header=BB44_55 Depth=1
	v_lshlrev_b64 v[1:2], 3, v[1:2]
	s_delay_alu instid0(VALU_DEP_1) | instskip(NEXT) | instid1(VALU_DEP_2)
	v_add_co_u32 v4, vcc_lo, s36, v1
	v_add_co_ci_u32_e32 v5, vcc_lo, s37, v2, vcc_lo
	v_add_co_u32 v1, vcc_lo, s38, v1
	v_add_co_ci_u32_e32 v2, vcc_lo, s39, v2, vcc_lo
	global_load_b64 v[73:74], v[4:5], off
	global_load_b64 v[71:72], v[1:2], off
.LBB44_59:                              ;   in Loop: Header=BB44_55 Depth=1
	s_or_b32 exec_lo, exec_lo, s9
.LBB44_60:                              ;   in Loop: Header=BB44_55 Depth=1
	s_delay_alu instid0(SALU_CYCLE_1)
	s_or_b32 exec_lo, exec_lo, s8
	s_mov_b32 s31, s16
	s_mov_b32 s17, s16
	;; [unrolled: 1-line block ×15, first 2 shown]
	s_delay_alu instid0(SALU_CYCLE_1)
	v_dual_mov_b32 v35, s31 :: v_dual_mov_b32 v34, s30
	v_dual_mov_b32 v21, s17 :: v_dual_mov_b32 v20, s16
	;; [unrolled: 1-line block ×8, first 2 shown]
	v_add_co_u32 v1, vcc_lo, 0xffffff81, v109
	v_dual_mov_b32 v4, v20 :: v_dual_mov_b32 v5, v21
	v_add_co_ci_u32_e32 v2, vcc_lo, -1, v110, vcc_lo
	s_delay_alu instid0(VALU_DEP_4)
	v_dual_mov_b32 v6, v22 :: v_dual_mov_b32 v7, v23
	v_dual_mov_b32 v8, v24 :: v_dual_mov_b32 v9, v25
	;; [unrolled: 1-line block ×7, first 2 shown]
	s_mov_b32 s8, exec_lo
	v_cmpx_gt_i64_e64 s[4:5], v[1:2]
	s_cbranch_execz .LBB44_62
; %bb.61:                               ;   in Loop: Header=BB44_55 Depth=1
	v_add_co_u32 v1, vcc_lo, v77, v36
	v_add_co_ci_u32_e32 v2, vcc_lo, v78, v37, vcc_lo
	v_add_co_u32 v4, vcc_lo, v79, v36
	v_add_co_ci_u32_e32 v5, vcc_lo, v80, v37, vcc_lo
	global_load_b64 v[1:2], v[1:2], off
	v_mov_b32_e32 v16, v3
	v_mov_b32_e32 v6, v3
	global_load_b64 v[20:21], v[4:5], off
	v_mov_b32_e32 v4, v3
	v_mov_b32_e32 v5, v3
	;; [unrolled: 1-line block ×11, first 2 shown]
	s_waitcnt vmcnt(1)
	v_dual_mov_b32 v22, v3 :: v_dual_mov_b32 v19, v16
	v_mov_b32_e32 v23, v3
	v_dual_mov_b32 v24, v3 :: v_dual_mov_b32 v17, v14
	v_mov_b32_e32 v31, v3
	v_mov_b32_e32 v33, v3
	;; [unrolled: 1-line block ×4, first 2 shown]
	v_dual_mov_b32 v26, v3 :: v_dual_mov_b32 v15, v12
	v_mov_b32_e32 v14, v11
	v_dual_mov_b32 v28, v3 :: v_dual_mov_b32 v13, v10
	v_dual_mov_b32 v25, v3 :: v_dual_mov_b32 v12, v9
	;; [unrolled: 1-line block ×3, first 2 shown]
	v_mov_b32_e32 v10, v7
	v_dual_mov_b32 v32, v3 :: v_dual_mov_b32 v9, v6
	v_dual_mov_b32 v27, v3 :: v_dual_mov_b32 v8, v5
	;; [unrolled: 1-line block ×3, first 2 shown]
	v_mov_b32_e32 v6, v3
	v_mov_b32_e32 v35, v3
	;; [unrolled: 1-line block ×3, first 2 shown]
	v_dual_mov_b32 v29, v3 :: v_dual_mov_b32 v4, v1
.LBB44_62:                              ;   in Loop: Header=BB44_55 Depth=1
	s_or_b32 exec_lo, exec_lo, s8
	v_add_co_u32 v1, vcc_lo, 0xffffff82, v109
	v_add_co_ci_u32_e32 v2, vcc_lo, -1, v110, vcc_lo
	s_mov_b32 s8, exec_lo
	s_delay_alu instid0(VALU_DEP_1)
	v_cmpx_gt_i64_e64 s[4:5], v[1:2]
	s_cbranch_execz .LBB44_64
; %bb.63:                               ;   in Loop: Header=BB44_55 Depth=1
	v_add_co_u32 v1, vcc_lo, v105, v36
	v_add_co_ci_u32_e32 v2, vcc_lo, v106, v37, vcc_lo
	v_add_co_u32 v22, vcc_lo, v107, v36
	v_add_co_ci_u32_e32 v23, vcc_lo, v108, v37, vcc_lo
	global_load_b64 v[6:7], v[1:2], off
	global_load_b64 v[22:23], v[22:23], off
.LBB44_64:                              ;   in Loop: Header=BB44_55 Depth=1
	s_or_b32 exec_lo, exec_lo, s8
	v_add_co_u32 v1, vcc_lo, 0xffffff83, v109
	v_add_co_ci_u32_e32 v2, vcc_lo, -1, v110, vcc_lo
	s_mov_b32 s8, exec_lo
	s_delay_alu instid0(VALU_DEP_1)
	v_cmpx_gt_i64_e64 s[4:5], v[1:2]
	s_cbranch_execz .LBB44_66
; %bb.65:                               ;   in Loop: Header=BB44_55 Depth=1
	v_add_co_u32 v1, vcc_lo, v101, v36
	v_add_co_ci_u32_e32 v2, vcc_lo, v102, v37, vcc_lo
	v_add_co_u32 v24, vcc_lo, v103, v36
	v_add_co_ci_u32_e32 v25, vcc_lo, v104, v37, vcc_lo
	global_load_b64 v[8:9], v[1:2], off
	global_load_b64 v[24:25], v[24:25], off
.LBB44_66:                              ;   in Loop: Header=BB44_55 Depth=1
	;; [unrolled: 15-line block ×7, first 2 shown]
	s_or_b32 exec_lo, exec_lo, s8
	s_waitcnt vmcnt(1)
	ds_bpermute_b32 v1, v3, v73
	ds_bpermute_b32 v2, v3, v74
	s_waitcnt vmcnt(0)
	ds_bpermute_b32 v111, v3, v71
	ds_bpermute_b32 v112, v3, v72
	s_waitcnt lgkmcnt(2)
	v_add_f64 v[1:2], v[20:21], -v[1:2]
	ds_bpermute_b32 v20, v3, v73 offset:4
	ds_bpermute_b32 v21, v3, v74 offset:4
	s_waitcnt lgkmcnt(0)
	v_add_f64 v[20:21], v[22:23], -v[20:21]
	ds_bpermute_b32 v22, v3, v73 offset:8
	ds_bpermute_b32 v23, v3, v74 offset:8
	v_mul_f64 v[1:2], v[4:5], v[1:2]
	v_add_f64 v[4:5], v[51:52], v[4:5]
	s_waitcnt lgkmcnt(0)
	v_add_f64 v[22:23], v[24:25], -v[22:23]
	ds_bpermute_b32 v24, v3, v73 offset:12
	ds_bpermute_b32 v25, v3, v74 offset:12
	v_mul_f64 v[20:21], v[6:7], v[20:21]
	s_waitcnt lgkmcnt(0)
	v_add_f64 v[24:25], v[26:27], -v[24:25]
	v_fma_f64 v[1:2], v[1:2], v[111:112], v[49:50]
	ds_bpermute_b32 v111, v3, v71 offset:4
	ds_bpermute_b32 v112, v3, v72 offset:4
	v_add_f64 v[4:5], v[6:7], v[4:5]
	v_mul_f64 v[6:7], v[8:9], v[22:23]
	ds_bpermute_b32 v22, v3, v71 offset:8
	ds_bpermute_b32 v23, v3, v72 offset:8
	v_mul_f64 v[24:25], v[10:11], v[24:25]
	s_waitcnt lgkmcnt(2)
	v_fma_f64 v[1:2], v[20:21], v[111:112], v[1:2]
	ds_bpermute_b32 v20, v3, v73 offset:16
	ds_bpermute_b32 v21, v3, v74 offset:16
	v_add_f64 v[4:5], v[8:9], v[4:5]
	ds_bpermute_b32 v8, v3, v71 offset:12
	ds_bpermute_b32 v9, v3, v72 offset:12
	s_waitcnt lgkmcnt(2)
	v_add_f64 v[20:21], v[28:29], -v[20:21]
	v_fma_f64 v[1:2], v[6:7], v[22:23], v[1:2]
	ds_bpermute_b32 v6, v3, v73 offset:20
	ds_bpermute_b32 v7, v3, v74 offset:20
	v_add_f64 v[4:5], v[10:11], v[4:5]
	ds_bpermute_b32 v10, v3, v71 offset:16
	ds_bpermute_b32 v11, v3, v72 offset:16
	;; [unrolled: 1-line block ×4, first 2 shown]
	s_waitcnt lgkmcnt(4)
	v_add_f64 v[6:7], v[30:31], -v[6:7]
	v_mul_f64 v[20:21], v[12:13], v[20:21]
	v_fma_f64 v[1:2], v[24:25], v[8:9], v[1:2]
	ds_bpermute_b32 v8, v3, v73 offset:24
	ds_bpermute_b32 v9, v3, v74 offset:24
	v_add_f64 v[4:5], v[12:13], v[4:5]
	ds_bpermute_b32 v12, v3, v71 offset:20
	ds_bpermute_b32 v13, v3, v72 offset:20
	s_waitcnt lgkmcnt(2)
	v_add_f64 v[8:9], v[32:33], -v[8:9]
	v_mul_f64 v[6:7], v[14:15], v[6:7]
	v_fma_f64 v[1:2], v[20:21], v[10:11], v[1:2]
	v_add_f64 v[10:11], v[34:35], -v[22:23]
	v_add_f64 v[4:5], v[14:15], v[4:5]
	ds_bpermute_b32 v14, v3, v71 offset:28
	ds_bpermute_b32 v15, v3, v72 offset:28
	v_mul_f64 v[8:9], v[16:17], v[8:9]
	s_waitcnt lgkmcnt(2)
	v_fma_f64 v[6:7], v[6:7], v[12:13], v[1:2]
	v_mul_f64 v[10:11], v[18:19], v[10:11]
	ds_bpermute_b32 v12, v3, v71 offset:24
	ds_bpermute_b32 v13, v3, v72 offset:24
	v_add_f64 v[1:2], v[16:17], v[4:5]
	s_waitcnt lgkmcnt(0)
	v_fma_f64 v[6:7], v[8:9], v[12:13], v[6:7]
	v_mul_f64 v[4:5], v[10:11], v[14:15]
	s_branch .LBB44_54
.LBB44_77:                              ;   in Loop: Header=BB44_55 Depth=1
                                        ; implicit-def: $vgpr18_vgpr19
                                        ; implicit-def: $vgpr4_vgpr5
                                        ; implicit-def: $vgpr1_vgpr2
                                        ; implicit-def: $vgpr6_vgpr7
	s_cbranch_execz .LBB44_54
; %bb.78:                               ;   in Loop: Header=BB44_55 Depth=1
	s_load_b32 s8, s[34:35], 0x0
	s_waitcnt lgkmcnt(0)
	s_cmp_lt_u32 s14, s8
	s_cselect_b32 s8, 12, 18
	s_delay_alu instid0(SALU_CYCLE_1)
	s_add_u32 s8, s34, s8
	s_addc_u32 s9, s35, 0
	global_load_u16 v1, v3, s[8:9]
	s_mov_b32 s8, exec_lo
	s_waitcnt vmcnt(0)
	v_mad_u32_u24 v4, v75, v1, v48
	v_mov_b32_e32 v1, 0
	v_mov_b32_e32 v2, 0
	s_delay_alu instid0(VALU_DEP_1) | instskip(NEXT) | instid1(VALU_DEP_3)
	v_dual_mov_b32 v5, v2 :: v_dual_and_b32 v6, 31, v4
	v_mov_b32_e32 v4, v1
	s_delay_alu instid0(VALU_DEP_2)
	v_cmpx_gt_u32_e32 8, v6
	s_cbranch_execz .LBB44_53
; %bb.79:                               ;   in Loop: Header=BB44_55 Depth=1
	v_add_co_u32 v1, vcc_lo, v109, v6
	v_mov_b32_e32 v4, 0
	v_add_co_ci_u32_e32 v2, vcc_lo, 0, v110, vcc_lo
	v_mov_b32_e32 v5, 0
	s_delay_alu instid0(VALU_DEP_4) | instskip(NEXT) | instid1(VALU_DEP_3)
	v_add_co_u32 v6, vcc_lo, 0xffffff81, v1
	v_add_co_ci_u32_e32 v7, vcc_lo, -1, v2, vcc_lo
	s_delay_alu instid0(VALU_DEP_3) | instskip(SKIP_1) | instid1(VALU_DEP_2)
	v_dual_mov_b32 v1, v4 :: v_dual_mov_b32 v2, v5
	s_mov_b32 s9, exec_lo
	v_cmpx_gt_i64_e64 s[4:5], v[6:7]
	s_cbranch_execz .LBB44_52
; %bb.80:                               ;   in Loop: Header=BB44_55 Depth=1
	v_lshlrev_b64 v[1:2], 3, v[6:7]
	s_delay_alu instid0(VALU_DEP_1) | instskip(NEXT) | instid1(VALU_DEP_2)
	v_add_co_u32 v4, vcc_lo, s36, v1
	v_add_co_ci_u32_e32 v5, vcc_lo, s37, v2, vcc_lo
	v_add_co_u32 v1, vcc_lo, s38, v1
	v_add_co_ci_u32_e32 v2, vcc_lo, s39, v2, vcc_lo
	global_load_b64 v[4:5], v[4:5], off
	global_load_b64 v[1:2], v[1:2], off
	s_branch .LBB44_52
.LBB44_81:
	v_and_b32_e32 v1, 0x3ff, v0
	v_bfe_u32 v2, v0, 10, 10
	s_mov_b32 s15, 0
	s_mov_b32 s2, exec_lo
	s_delay_alu instid0(VALU_DEP_2) | instskip(NEXT) | instid1(VALU_DEP_2)
	v_lshrrev_b32_e32 v3, 5, v1
	v_mad_u32_u24 v0, v2, 33, v1
	s_delay_alu instid0(VALU_DEP_2) | instskip(NEXT) | instid1(VALU_DEP_2)
	v_add_nc_u32_e32 v4, v3, v2
	v_lshl_add_u32 v0, v0, 3, 0
	ds_store_b64 v0, v[49:50]
	ds_store_b64 v0, v[51:52] offset:4224
	s_waitcnt lgkmcnt(0)
	s_barrier
	buffer_gl0_inv
	v_cmpx_gt_u32_e32 32, v4
	s_cbranch_execz .LBB44_91
; %bb.82:
	v_mbcnt_lo_u32_b32 v4, -1, 0
	s_load_b128 s[8:11], s[0:1], 0x30
	v_cmp_eq_u32_e64 s0, 0, v1
	v_add_co_u32 v8, s1, v3, v2
	s_delay_alu instid0(VALU_DEP_3) | instskip(SKIP_4) | instid1(VALU_DEP_3)
	v_xor_b32_e32 v7, 1, v4
	v_and_b32_e32 v0, 31, v1
	v_xor_b32_e32 v1, 8, v4
	v_add_co_ci_u32_e64 v9, null, 0, 0, s1
	s_lshl_b64 s[4:5], s[14:15], 5
	v_cmp_gt_u32_e64 s1, 16, v0
	v_mul_u32_u24_e32 v6, 33, v0
	v_xor_b32_e32 v0, 4, v4
	v_cmp_gt_i32_e32 vcc_lo, 32, v1
	v_xor_b32_e32 v5, 2, v4
	s_delay_alu instid0(VALU_DEP_4)
	v_add3_u32 v6, v6, v2, v3
	v_cndmask_b32_e32 v10, v4, v1, vcc_lo
	v_cmp_gt_i32_e32 vcc_lo, 32, v0
	s_waitcnt lgkmcnt(0)
	s_cmp_lg_u64 s[8:9], 0
	v_lshl_add_u32 v14, v6, 3, 0
	s_cselect_b32 s3, -1, 0
	s_cmp_lg_u64 s[10:11], 0
	v_cndmask_b32_e32 v11, v4, v0, vcc_lo
	v_add_co_u32 v0, vcc_lo, v8, s4
	v_add_co_ci_u32_e32 v1, vcc_lo, s5, v9, vcc_lo
	v_cmp_gt_i32_e32 vcc_lo, 32, v5
	s_delay_alu instid0(VALU_DEP_4)
	v_lshlrev_b32_e32 v11, 2, v11
	v_lshlrev_b32_e32 v10, 2, v10
	v_cndmask_b32_e32 v12, v4, v5, vcc_lo
	v_cmp_gt_i32_e32 vcc_lo, 32, v7
	v_cndmask_b32_e32 v7, v4, v7, vcc_lo
	v_lshlrev_b64 v[4:5], 3, v[0:1]
	s_delay_alu instid0(VALU_DEP_2) | instskip(SKIP_1) | instid1(VALU_DEP_3)
	v_lshlrev_b32_e32 v13, 2, v7
	v_lshlrev_b32_e32 v12, 2, v12
	v_add_co_u32 v0, vcc_lo, s10, v4
	s_delay_alu instid0(VALU_DEP_4)
	v_add_co_ci_u32_e32 v1, vcc_lo, s11, v5, vcc_lo
	v_add_co_u32 v2, vcc_lo, s8, v4
	v_add_co_ci_u32_e32 v3, vcc_lo, s9, v5, vcc_lo
	s_cselect_b32 s8, -1, 0
                                        ; implicit-def: $vgpr4_vgpr5
                                        ; implicit-def: $vgpr6_vgpr7
	s_branch .LBB44_84
.LBB44_83:                              ;   in Loop: Header=BB44_84 Depth=1
	s_or_b32 exec_lo, exec_lo, s2
	v_add_co_u32 v8, vcc_lo, v8, 16
	v_add_co_ci_u32_e32 v9, vcc_lo, 0, v9, vcc_lo
	v_add_co_u32 v0, vcc_lo, 0x80, v0
	s_delay_alu instid0(VALU_DEP_3) | instskip(SKIP_2) | instid1(VALU_DEP_3)
	v_add_nc_u32_e32 v15, -16, v8
	v_add_co_ci_u32_e32 v1, vcc_lo, 0, v1, vcc_lo
	v_add_co_u32 v2, s2, 0x80, v2
	v_cmp_lt_u32_e32 vcc_lo, 15, v15
	v_add_co_ci_u32_e64 v3, s2, 0, v3, s2
	v_add_nc_u32_e32 v14, 0x80, v14
	s_or_b32 s15, vcc_lo, s15
	s_delay_alu instid0(SALU_CYCLE_1)
	s_and_not1_b32 exec_lo, exec_lo, s15
	s_cbranch_execz .LBB44_91
.LBB44_84:                              ; =>This Inner Loop Header: Depth=1
	s_and_saveexec_b32 s2, s1
	s_cbranch_execz .LBB44_86
; %bb.85:                               ;   in Loop: Header=BB44_84 Depth=1
	ds_load_b64 v[4:5], v14
	ds_load_b64 v[6:7], v14 offset:4224
.LBB44_86:                              ;   in Loop: Header=BB44_84 Depth=1
	s_or_b32 exec_lo, exec_lo, s2
	s_waitcnt lgkmcnt(1)
	ds_bpermute_b32 v15, v10, v4
	ds_bpermute_b32 v16, v10, v5
	s_waitcnt lgkmcnt(2)
	ds_bpermute_b32 v17, v10, v6
	ds_bpermute_b32 v18, v10, v7
	s_waitcnt lgkmcnt(2)
	v_add_f64 v[4:5], v[4:5], v[15:16]
	s_waitcnt lgkmcnt(0)
	v_add_f64 v[6:7], v[6:7], v[17:18]
	ds_bpermute_b32 v15, v11, v4
	ds_bpermute_b32 v16, v11, v5
	ds_bpermute_b32 v17, v11, v6
	ds_bpermute_b32 v18, v11, v7
	s_waitcnt lgkmcnt(2)
	v_add_f64 v[4:5], v[4:5], v[15:16]
	s_waitcnt lgkmcnt(0)
	v_add_f64 v[6:7], v[6:7], v[17:18]
	ds_bpermute_b32 v15, v12, v4
	ds_bpermute_b32 v16, v12, v5
	;; [unrolled: 8-line block ×3, first 2 shown]
	ds_bpermute_b32 v17, v13, v6
	ds_bpermute_b32 v18, v13, v7
	s_waitcnt lgkmcnt(2)
	v_add_f64 v[4:5], v[4:5], v[15:16]
	v_add_co_u32 v15, vcc_lo, s4, v8
	s_waitcnt lgkmcnt(0)
	v_add_f64 v[6:7], v[6:7], v[17:18]
	v_add_co_ci_u32_e32 v16, vcc_lo, s5, v9, vcc_lo
	s_delay_alu instid0(VALU_DEP_1) | instskip(SKIP_1) | instid1(SALU_CYCLE_1)
	v_cmp_gt_i64_e32 vcc_lo, s[6:7], v[15:16]
	s_and_b32 s9, s0, vcc_lo
	s_and_saveexec_b32 s2, s9
	s_cbranch_execz .LBB44_83
; %bb.87:                               ;   in Loop: Header=BB44_84 Depth=1
	s_and_not1_b32 vcc_lo, exec_lo, s3
	s_cbranch_vccnz .LBB44_89
; %bb.88:                               ;   in Loop: Header=BB44_84 Depth=1
	global_store_b64 v[2:3], v[4:5], off
.LBB44_89:                              ;   in Loop: Header=BB44_84 Depth=1
	s_and_not1_b32 vcc_lo, exec_lo, s8
	s_cbranch_vccnz .LBB44_83
; %bb.90:                               ;   in Loop: Header=BB44_84 Depth=1
	global_store_b64 v[0:1], v[6:7], off
	s_branch .LBB44_83
.LBB44_91:
	s_nop 0
	s_sendmsg sendmsg(MSG_DEALLOC_VGPRS)
	s_endpgm
	.section	.rodata,"a",@progbits
	.p2align	6, 0x0
	.amdhsa_kernel _ZN2at6native12_GLOBAL__N_135GammaBetaBackwardCUDAKernelTemplateIddLj32ELj16ELj128ELb0ELb0ELb0EEEvllPKT_S5_PKT0_S8_PS3_S9_
		.amdhsa_group_segment_fixed_size 0
		.amdhsa_private_segment_fixed_size 0
		.amdhsa_kernarg_size 320
		.amdhsa_user_sgpr_count 14
		.amdhsa_user_sgpr_dispatch_ptr 0
		.amdhsa_user_sgpr_queue_ptr 0
		.amdhsa_user_sgpr_kernarg_segment_ptr 1
		.amdhsa_user_sgpr_dispatch_id 0
		.amdhsa_user_sgpr_private_segment_size 0
		.amdhsa_wavefront_size32 1
		.amdhsa_uses_dynamic_stack 0
		.amdhsa_enable_private_segment 0
		.amdhsa_system_sgpr_workgroup_id_x 1
		.amdhsa_system_sgpr_workgroup_id_y 1
		.amdhsa_system_sgpr_workgroup_id_z 0
		.amdhsa_system_sgpr_workgroup_info 0
		.amdhsa_system_vgpr_workitem_id 1
		.amdhsa_next_free_vgpr 113
		.amdhsa_next_free_sgpr 47
		.amdhsa_reserve_vcc 1
		.amdhsa_float_round_mode_32 0
		.amdhsa_float_round_mode_16_64 0
		.amdhsa_float_denorm_mode_32 3
		.amdhsa_float_denorm_mode_16_64 3
		.amdhsa_dx10_clamp 1
		.amdhsa_ieee_mode 1
		.amdhsa_fp16_overflow 0
		.amdhsa_workgroup_processor_mode 1
		.amdhsa_memory_ordered 1
		.amdhsa_forward_progress 0
		.amdhsa_shared_vgpr_count 0
		.amdhsa_exception_fp_ieee_invalid_op 0
		.amdhsa_exception_fp_denorm_src 0
		.amdhsa_exception_fp_ieee_div_zero 0
		.amdhsa_exception_fp_ieee_overflow 0
		.amdhsa_exception_fp_ieee_underflow 0
		.amdhsa_exception_fp_ieee_inexact 0
		.amdhsa_exception_int_div_zero 0
	.end_amdhsa_kernel
	.section	.text._ZN2at6native12_GLOBAL__N_135GammaBetaBackwardCUDAKernelTemplateIddLj32ELj16ELj128ELb0ELb0ELb0EEEvllPKT_S5_PKT0_S8_PS3_S9_,"axG",@progbits,_ZN2at6native12_GLOBAL__N_135GammaBetaBackwardCUDAKernelTemplateIddLj32ELj16ELj128ELb0ELb0ELb0EEEvllPKT_S5_PKT0_S8_PS3_S9_,comdat
.Lfunc_end44:
	.size	_ZN2at6native12_GLOBAL__N_135GammaBetaBackwardCUDAKernelTemplateIddLj32ELj16ELj128ELb0ELb0ELb0EEEvllPKT_S5_PKT0_S8_PS3_S9_, .Lfunc_end44-_ZN2at6native12_GLOBAL__N_135GammaBetaBackwardCUDAKernelTemplateIddLj32ELj16ELj128ELb0ELb0ELb0EEEvllPKT_S5_PKT0_S8_PS3_S9_
                                        ; -- End function
	.section	.AMDGPU.csdata,"",@progbits
; Kernel info:
; codeLenInByte = 9936
; NumSgprs: 49
; NumVgprs: 113
; ScratchSize: 0
; MemoryBound: 1
; FloatMode: 240
; IeeeMode: 1
; LDSByteSize: 0 bytes/workgroup (compile time only)
; SGPRBlocks: 6
; VGPRBlocks: 14
; NumSGPRsForWavesPerEU: 49
; NumVGPRsForWavesPerEU: 113
; Occupancy: 12
; WaveLimiterHint : 0
; COMPUTE_PGM_RSRC2:SCRATCH_EN: 0
; COMPUTE_PGM_RSRC2:USER_SGPR: 14
; COMPUTE_PGM_RSRC2:TRAP_HANDLER: 0
; COMPUTE_PGM_RSRC2:TGID_X_EN: 1
; COMPUTE_PGM_RSRC2:TGID_Y_EN: 1
; COMPUTE_PGM_RSRC2:TGID_Z_EN: 0
; COMPUTE_PGM_RSRC2:TIDIG_COMP_CNT: 1
	.section	.text._ZN2at6native12_GLOBAL__N_135GammaBetaBackwardCUDAKernelTemplateIddLj32ELj32ELj256ELb0ELb1ELb0EEEvllPKT_S5_PKT0_S8_PS3_S9_,"axG",@progbits,_ZN2at6native12_GLOBAL__N_135GammaBetaBackwardCUDAKernelTemplateIddLj32ELj32ELj256ELb0ELb1ELb0EEEvllPKT_S5_PKT0_S8_PS3_S9_,comdat
	.globl	_ZN2at6native12_GLOBAL__N_135GammaBetaBackwardCUDAKernelTemplateIddLj32ELj32ELj256ELb0ELb1ELb0EEEvllPKT_S5_PKT0_S8_PS3_S9_ ; -- Begin function _ZN2at6native12_GLOBAL__N_135GammaBetaBackwardCUDAKernelTemplateIddLj32ELj32ELj256ELb0ELb1ELb0EEEvllPKT_S5_PKT0_S8_PS3_S9_
	.p2align	8
	.type	_ZN2at6native12_GLOBAL__N_135GammaBetaBackwardCUDAKernelTemplateIddLj32ELj32ELj256ELb0ELb1ELb0EEEvllPKT_S5_PKT0_S8_PS3_S9_,@function
_ZN2at6native12_GLOBAL__N_135GammaBetaBackwardCUDAKernelTemplateIddLj32ELj32ELj256ELb0ELb1ELb0EEEvllPKT_S5_PKT0_S8_PS3_S9_: ; @_ZN2at6native12_GLOBAL__N_135GammaBetaBackwardCUDAKernelTemplateIddLj32ELj32ELj256ELb0ELb1ELb0EEEvllPKT_S5_PKT0_S8_PS3_S9_
; %bb.0:
	s_load_b128 s[20:23], s[0:1], 0x0
	s_mov_b32 s3, 0
	s_lshl_b32 s2, s15, 8
	v_bfe_u32 v17, v0, 10, 10
	s_waitcnt lgkmcnt(0)
	v_cmp_lt_i64_e64 s4, s[2:3], s[20:21]
	s_delay_alu instid0(VALU_DEP_1)
	s_and_b32 vcc_lo, exec_lo, s4
	s_cbranch_vccnz .LBB45_2
; %bb.1:
	v_bfe_u32 v1, v0, 10, 10
	s_mov_b64 s[4:5], 0
	s_mov_b32 s6, s3
	s_branch .LBB45_3
.LBB45_2:
	s_mov_b32 s6, -1
                                        ; implicit-def: $sgpr4_sgpr5
                                        ; implicit-def: $vgpr1
.LBB45_3:
	s_load_b128 s[16:19], s[0:1], 0x30
	v_dual_mov_b32 v11, s5 :: v_dual_and_b32 v16, 0x3ff, v0
	v_dual_mov_b32 v9, s5 :: v_dual_mov_b32 v8, s4
	v_mov_b32_e32 v10, s4
	s_and_not1_b32 vcc_lo, exec_lo, s6
	s_cbranch_vccnz .LBB45_11
; %bb.4:
	s_clause 0x2
	s_load_b32 s12, s[0:1], 0x4c
	s_load_b32 s15, s[0:1], 0x44
	s_load_b256 s[4:11], s[0:1], 0x10
	v_dual_mov_b32 v1, 0 :: v_dual_lshlrev_b32 v2, 3, v17
	v_lshl_add_u32 v0, s14, 5, v16
	v_mov_b32_e32 v24, 28
	v_dual_mov_b32 v18, 4 :: v_dual_mov_b32 v19, 8
	s_delay_alu instid0(VALU_DEP_4) | instskip(NEXT) | instid1(VALU_DEP_1)
	v_add_co_u32 v4, s0, v2, s2
	v_add_co_ci_u32_e64 v5, null, 0, 0, s0
	v_mov_b32_e32 v2, 0
	s_delay_alu instid0(VALU_DEP_3) | instskip(SKIP_1) | instid1(VALU_DEP_4)
	v_mul_lo_u32 v10, s23, v4
	v_mad_u64_u32 v[6:7], null, s22, v4, 0
	v_mul_lo_u32 v11, s22, v5
	v_dual_mov_b32 v3, 0 :: v_dual_mov_b32 v20, 12
	v_mov_b32_e32 v21, 16
	s_waitcnt lgkmcnt(0)
	s_and_b32 s0, s12, 0xffff
	s_lshl_b32 s12, s15, 8
	v_mad_u32_u24 v8, v17, s0, v16
	s_mul_i32 s1, s23, s12
	v_add3_u32 v7, v7, v11, v10
	s_mul_hi_u32 s15, s22, s12
	v_dual_mov_b32 v22, 20 :: v_dual_mov_b32 v23, 24
	v_and_b32_e32 v12, 31, v8
	v_lshlrev_b64 v[8:9], 3, v[0:1]
	v_lshlrev_b64 v[10:11], 3, v[6:7]
	s_mov_b32 s13, 0
	s_add_i32 s27, s15, s1
	v_add_co_u32 v4, vcc_lo, v4, v12
	v_add_co_ci_u32_e32 v5, vcc_lo, 0, v5, vcc_lo
	s_delay_alu instid0(VALU_DEP_3) | instskip(SKIP_2) | instid1(VALU_DEP_4)
	v_add_co_u32 v0, vcc_lo, v10, v8
	v_add_co_ci_u32_e32 v25, vcc_lo, v11, v9, vcc_lo
	v_mov_b32_e32 v11, v3
	v_lshlrev_b64 v[6:7], 3, v[4:5]
	v_dual_mov_b32 v10, v2 :: v_dual_mov_b32 v9, v3
	v_cmp_gt_u32_e64 s0, 8, v12
	v_mov_b32_e32 v8, v2
	s_mul_i32 s26, s22, s12
	s_lshl_b64 s[24:25], s[12:13], 3
	s_lshl_b64 s[26:27], s[26:27], 3
	;; [unrolled: 1-line block ×3, first 2 shown]
	s_branch .LBB45_7
.LBB45_5:                               ;   in Loop: Header=BB45_7 Depth=1
	s_or_b32 exec_lo, exec_lo, s13
.LBB45_6:                               ;   in Loop: Header=BB45_7 Depth=1
	s_delay_alu instid0(SALU_CYCLE_1)
	s_or_b32 exec_lo, exec_lo, s1
	v_add_co_u32 v26, vcc_lo, s6, v0
	v_add_co_ci_u32_e32 v27, vcc_lo, s7, v25, vcc_lo
	s_waitcnt vmcnt(1)
	ds_bpermute_b32 v58, v1, v14
	ds_bpermute_b32 v59, v1, v15
	s_waitcnt vmcnt(0)
	ds_bpermute_b32 v60, v1, v12
	global_load_b64 v[28:29], v[26:27], off
	v_add_co_u32 v26, vcc_lo, v26, s22
	v_add_co_ci_u32_e32 v27, vcc_lo, s23, v27, vcc_lo
	v_add_co_u32 v30, vcc_lo, s4, v0
	v_add_co_ci_u32_e32 v31, vcc_lo, s5, v25, vcc_lo
	global_load_b64 v[32:33], v[26:27], off
	global_load_b64 v[34:35], v[30:31], off
	v_add_co_u32 v26, vcc_lo, v26, s22
	v_add_co_ci_u32_e32 v27, vcc_lo, s23, v27, vcc_lo
	v_add_co_u32 v30, vcc_lo, v30, s22
	v_add_co_ci_u32_e32 v31, vcc_lo, s23, v31, vcc_lo
	global_load_b64 v[36:37], v[26:27], off
	;; [unrolled: 6-line block ×7, first 2 shown]
	global_load_b64 v[56:57], v[30:31], off
	v_add_co_u32 v30, vcc_lo, v30, s22
	v_add_co_ci_u32_e32 v31, vcc_lo, s23, v31, vcc_lo
	ds_bpermute_b32 v61, v1, v13
	v_add_co_u32 v6, vcc_lo, v6, s24
	global_load_b64 v[30:31], v[30:31], off
	s_add_u32 s2, s2, s12
	v_add_co_ci_u32_e32 v7, vcc_lo, s25, v7, vcc_lo
	s_addc_u32 s3, s3, 0
	v_add_co_u32 v4, vcc_lo, v4, s12
	v_cmp_lt_i64_e64 s1, s[2:3], s[20:21]
	v_add_co_ci_u32_e32 v5, vcc_lo, 0, v5, vcc_lo
	v_add_co_u32 v0, vcc_lo, v0, s26
	v_add_co_ci_u32_e32 v25, vcc_lo, s27, v25, vcc_lo
	s_delay_alu instid0(VALU_DEP_4)
	s_and_b32 vcc_lo, exec_lo, s1
	s_waitcnt vmcnt(15) lgkmcnt(2)
	v_add_f64 v[28:29], v[28:29], -v[58:59]
	ds_bpermute_b32 v58, v18, v14
	ds_bpermute_b32 v59, v18, v15
	s_waitcnt vmcnt(13)
	v_add_f64 v[8:9], v[8:9], v[34:35]
	s_waitcnt lgkmcnt(0)
	v_add_f64 v[32:33], v[32:33], -v[58:59]
	ds_bpermute_b32 v58, v19, v14
	ds_bpermute_b32 v59, v19, v15
	v_mul_f64 v[28:29], v[34:35], v[28:29]
	ds_bpermute_b32 v34, v18, v12
	ds_bpermute_b32 v35, v18, v13
	s_waitcnt vmcnt(12) lgkmcnt(2)
	v_add_f64 v[36:37], v[36:37], -v[58:59]
	s_waitcnt vmcnt(11)
	v_add_f64 v[8:9], v[8:9], v[38:39]
	v_mul_f64 v[32:33], v[38:39], v[32:33]
	v_fma_f64 v[10:11], v[28:29], v[60:61], v[10:11]
	ds_bpermute_b32 v28, v20, v14
	ds_bpermute_b32 v29, v20, v15
	s_waitcnt vmcnt(9)
	v_mul_f64 v[36:37], v[42:43], v[36:37]
	v_add_f64 v[8:9], v[8:9], v[42:43]
	s_waitcnt lgkmcnt(0)
	v_add_f64 v[28:29], v[40:41], -v[28:29]
	v_fma_f64 v[10:11], v[32:33], v[34:35], v[10:11]
	ds_bpermute_b32 v32, v21, v14
	ds_bpermute_b32 v33, v21, v15
	;; [unrolled: 1-line block ×4, first 2 shown]
	s_waitcnt vmcnt(7)
	v_add_f64 v[8:9], v[8:9], v[46:47]
	s_waitcnt lgkmcnt(2)
	v_add_f64 v[32:33], v[44:45], -v[32:33]
	v_mul_f64 v[28:29], v[46:47], v[28:29]
	s_waitcnt lgkmcnt(0)
	v_fma_f64 v[10:11], v[36:37], v[34:35], v[10:11]
	ds_bpermute_b32 v34, v22, v14
	ds_bpermute_b32 v35, v22, v15
	;; [unrolled: 1-line block ×4, first 2 shown]
	s_waitcnt vmcnt(5)
	v_add_f64 v[8:9], v[8:9], v[50:51]
	s_waitcnt lgkmcnt(2)
	v_add_f64 v[34:35], v[48:49], -v[34:35]
	v_mul_f64 v[32:33], v[50:51], v[32:33]
	s_waitcnt lgkmcnt(0)
	v_fma_f64 v[10:11], v[28:29], v[36:37], v[10:11]
	ds_bpermute_b32 v28, v23, v14
	ds_bpermute_b32 v29, v23, v15
	;; [unrolled: 1-line block ×6, first 2 shown]
	s_waitcnt vmcnt(3)
	v_add_f64 v[8:9], v[8:9], v[54:55]
	s_waitcnt lgkmcnt(4)
	v_add_f64 v[28:29], v[52:53], -v[28:29]
	v_mul_f64 v[34:35], v[54:55], v[34:35]
	s_waitcnt vmcnt(2) lgkmcnt(0)
	v_add_f64 v[14:15], v[26:27], -v[14:15]
	v_fma_f64 v[10:11], v[32:33], v[36:37], v[10:11]
	ds_bpermute_b32 v32, v22, v12
	ds_bpermute_b32 v33, v22, v13
	s_waitcnt vmcnt(1)
	v_add_f64 v[8:9], v[8:9], v[56:57]
	v_mul_f64 v[26:27], v[56:57], v[28:29]
	ds_bpermute_b32 v28, v23, v12
	ds_bpermute_b32 v29, v23, v13
	;; [unrolled: 1-line block ×3, first 2 shown]
	s_waitcnt vmcnt(0)
	v_mul_f64 v[14:15], v[30:31], v[14:15]
	ds_bpermute_b32 v13, v24, v13
	s_waitcnt lgkmcnt(4)
	v_fma_f64 v[10:11], v[34:35], v[32:33], v[10:11]
	v_add_f64 v[8:9], v[8:9], v[30:31]
	s_waitcnt lgkmcnt(2)
	s_delay_alu instid0(VALU_DEP_2) | instskip(SKIP_1) | instid1(VALU_DEP_1)
	v_fma_f64 v[10:11], v[26:27], v[28:29], v[10:11]
	s_waitcnt lgkmcnt(0)
	v_fma_f64 v[10:11], v[14:15], v[12:13], v[10:11]
	s_cbranch_vccz .LBB45_10
.LBB45_7:                               ; =>This Inner Loop Header: Depth=1
	v_dual_mov_b32 v13, v3 :: v_dual_mov_b32 v12, v2
	v_dual_mov_b32 v15, v3 :: v_dual_mov_b32 v14, v2
	s_and_saveexec_b32 s1, s0
	s_cbranch_execz .LBB45_6
; %bb.8:                                ;   in Loop: Header=BB45_7 Depth=1
	v_mov_b32_e32 v14, 0
	v_mov_b32_e32 v15, 0
	s_delay_alu instid0(VALU_DEP_2) | instskip(SKIP_1) | instid1(VALU_DEP_2)
	v_mov_b32_e32 v12, v14
	s_mov_b32 s13, exec_lo
	v_mov_b32_e32 v13, v15
	v_cmpx_gt_i64_e64 s[20:21], v[4:5]
	s_cbranch_execz .LBB45_5
; %bb.9:                                ;   in Loop: Header=BB45_7 Depth=1
	v_add_co_u32 v12, vcc_lo, s8, v6
	v_add_co_ci_u32_e32 v13, vcc_lo, s9, v7, vcc_lo
	v_add_co_u32 v26, vcc_lo, s10, v6
	v_add_co_ci_u32_e32 v27, vcc_lo, s11, v7, vcc_lo
	global_load_b64 v[14:15], v[12:13], off
	global_load_b64 v[12:13], v[26:27], off
	s_branch .LBB45_5
.LBB45_10:
	v_mov_b32_e32 v1, v17
.LBB45_11:
	v_lshrrev_b32_e32 v0, 5, v16
	s_delay_alu instid0(VALU_DEP_2) | instskip(SKIP_1) | instid1(VALU_DEP_2)
	v_mad_u32_u24 v2, v1, 33, v16
	s_mov_b32 s0, exec_lo
	v_add_nc_u32_e32 v12, v0, v1
	s_delay_alu instid0(VALU_DEP_2)
	v_lshl_add_u32 v0, v2, 3, 0
	ds_store_b64 v0, v[10:11]
	ds_store_b64 v0, v[8:9] offset:8448
	s_waitcnt lgkmcnt(0)
	s_barrier
	buffer_gl0_inv
	v_cmpx_gt_u32_e32 32, v12
	s_cbranch_execz .LBB45_17
; %bb.12:
	v_and_b32_e32 v0, 31, v16
	v_mbcnt_lo_u32_b32 v8, -1, 0
	s_delay_alu instid0(VALU_DEP_2) | instskip(NEXT) | instid1(VALU_DEP_2)
	v_mad_u32_u24 v0, v0, 33, v12
	v_xor_b32_e32 v4, 16, v8
	s_delay_alu instid0(VALU_DEP_2) | instskip(NEXT) | instid1(VALU_DEP_2)
	v_lshl_add_u32 v2, v0, 3, 0
	v_cmp_gt_i32_e32 vcc_lo, 32, v4
	ds_load_b64 v[0:1], v2
	ds_load_b64 v[2:3], v2 offset:8448
	v_cndmask_b32_e32 v4, v8, v4, vcc_lo
	s_delay_alu instid0(VALU_DEP_1)
	v_lshlrev_b32_e32 v7, 2, v4
	s_waitcnt lgkmcnt(1)
	ds_bpermute_b32 v4, v7, v0
	ds_bpermute_b32 v5, v7, v1
	s_waitcnt lgkmcnt(2)
	ds_bpermute_b32 v6, v7, v2
	ds_bpermute_b32 v7, v7, v3
	s_waitcnt lgkmcnt(2)
	v_add_f64 v[0:1], v[0:1], v[4:5]
	v_xor_b32_e32 v4, 8, v8
	s_waitcnt lgkmcnt(0)
	v_add_f64 v[2:3], v[2:3], v[6:7]
	s_delay_alu instid0(VALU_DEP_2) | instskip(SKIP_1) | instid1(VALU_DEP_1)
	v_cmp_gt_i32_e32 vcc_lo, 32, v4
	v_cndmask_b32_e32 v4, v8, v4, vcc_lo
	v_lshlrev_b32_e32 v7, 2, v4
	ds_bpermute_b32 v4, v7, v0
	ds_bpermute_b32 v5, v7, v1
	ds_bpermute_b32 v6, v7, v2
	ds_bpermute_b32 v7, v7, v3
	s_waitcnt lgkmcnt(2)
	v_add_f64 v[0:1], v[0:1], v[4:5]
	v_xor_b32_e32 v4, 4, v8
	s_waitcnt lgkmcnt(0)
	v_add_f64 v[2:3], v[2:3], v[6:7]
	s_delay_alu instid0(VALU_DEP_2) | instskip(SKIP_1) | instid1(VALU_DEP_1)
	v_cmp_gt_i32_e32 vcc_lo, 32, v4
	v_cndmask_b32_e32 v4, v8, v4, vcc_lo
	v_lshlrev_b32_e32 v7, 2, v4
	ds_bpermute_b32 v4, v7, v0
	ds_bpermute_b32 v5, v7, v1
	;; [unrolled: 13-line block ×3, first 2 shown]
	ds_bpermute_b32 v6, v7, v2
	ds_bpermute_b32 v7, v7, v3
	s_waitcnt lgkmcnt(2)
	v_add_f64 v[4:5], v[0:1], v[4:5]
	s_waitcnt lgkmcnt(0)
	v_add_f64 v[0:1], v[2:3], v[6:7]
	v_xor_b32_e32 v2, 1, v8
	s_delay_alu instid0(VALU_DEP_1) | instskip(SKIP_2) | instid1(VALU_DEP_2)
	v_cmp_gt_i32_e32 vcc_lo, 32, v2
	v_cndmask_b32_e32 v2, v8, v2, vcc_lo
	v_cmp_eq_u32_e32 vcc_lo, 0, v16
	v_lshlrev_b32_e32 v3, 2, v2
	ds_bpermute_b32 v6, v3, v4
	ds_bpermute_b32 v7, v3, v5
	;; [unrolled: 1-line block ×4, first 2 shown]
	s_and_b32 exec_lo, exec_lo, vcc_lo
	s_cbranch_execz .LBB45_17
; %bb.13:
	s_mov_b32 s15, 0
	s_delay_alu instid0(SALU_CYCLE_1) | instskip(SKIP_3) | instid1(VALU_DEP_1)
	s_lshl_b64 s[0:1], s[14:15], 5
	s_cmp_eq_u64 s[16:17], 0
	v_or_b32_e32 v8, s0, v12
	v_mov_b32_e32 v9, s1
	v_lshlrev_b64 v[8:9], 3, v[8:9]
	s_cbranch_scc1 .LBB45_15
; %bb.14:
	s_waitcnt lgkmcnt(2)
	v_add_f64 v[4:5], v[4:5], v[6:7]
	s_delay_alu instid0(VALU_DEP_2) | instskip(NEXT) | instid1(VALU_DEP_3)
	v_add_co_u32 v6, vcc_lo, s16, v8
	v_add_co_ci_u32_e32 v7, vcc_lo, s17, v9, vcc_lo
	global_store_b64 v[6:7], v[4:5], off
.LBB45_15:
	s_cmp_eq_u64 s[18:19], 0
	s_cbranch_scc1 .LBB45_17
; %bb.16:
	s_waitcnt lgkmcnt(0)
	v_add_f64 v[0:1], v[0:1], v[2:3]
	v_add_co_u32 v2, vcc_lo, s18, v8
	v_add_co_ci_u32_e32 v3, vcc_lo, s19, v9, vcc_lo
	global_store_b64 v[2:3], v[0:1], off
.LBB45_17:
	s_nop 0
	s_sendmsg sendmsg(MSG_DEALLOC_VGPRS)
	s_endpgm
	.section	.rodata,"a",@progbits
	.p2align	6, 0x0
	.amdhsa_kernel _ZN2at6native12_GLOBAL__N_135GammaBetaBackwardCUDAKernelTemplateIddLj32ELj32ELj256ELb0ELb1ELb0EEEvllPKT_S5_PKT0_S8_PS3_S9_
		.amdhsa_group_segment_fixed_size 0
		.amdhsa_private_segment_fixed_size 0
		.amdhsa_kernarg_size 320
		.amdhsa_user_sgpr_count 14
		.amdhsa_user_sgpr_dispatch_ptr 0
		.amdhsa_user_sgpr_queue_ptr 0
		.amdhsa_user_sgpr_kernarg_segment_ptr 1
		.amdhsa_user_sgpr_dispatch_id 0
		.amdhsa_user_sgpr_private_segment_size 0
		.amdhsa_wavefront_size32 1
		.amdhsa_uses_dynamic_stack 0
		.amdhsa_enable_private_segment 0
		.amdhsa_system_sgpr_workgroup_id_x 1
		.amdhsa_system_sgpr_workgroup_id_y 1
		.amdhsa_system_sgpr_workgroup_id_z 0
		.amdhsa_system_sgpr_workgroup_info 0
		.amdhsa_system_vgpr_workitem_id 1
		.amdhsa_next_free_vgpr 62
		.amdhsa_next_free_sgpr 28
		.amdhsa_reserve_vcc 1
		.amdhsa_float_round_mode_32 0
		.amdhsa_float_round_mode_16_64 0
		.amdhsa_float_denorm_mode_32 3
		.amdhsa_float_denorm_mode_16_64 3
		.amdhsa_dx10_clamp 1
		.amdhsa_ieee_mode 1
		.amdhsa_fp16_overflow 0
		.amdhsa_workgroup_processor_mode 1
		.amdhsa_memory_ordered 1
		.amdhsa_forward_progress 0
		.amdhsa_shared_vgpr_count 0
		.amdhsa_exception_fp_ieee_invalid_op 0
		.amdhsa_exception_fp_denorm_src 0
		.amdhsa_exception_fp_ieee_div_zero 0
		.amdhsa_exception_fp_ieee_overflow 0
		.amdhsa_exception_fp_ieee_underflow 0
		.amdhsa_exception_fp_ieee_inexact 0
		.amdhsa_exception_int_div_zero 0
	.end_amdhsa_kernel
	.section	.text._ZN2at6native12_GLOBAL__N_135GammaBetaBackwardCUDAKernelTemplateIddLj32ELj32ELj256ELb0ELb1ELb0EEEvllPKT_S5_PKT0_S8_PS3_S9_,"axG",@progbits,_ZN2at6native12_GLOBAL__N_135GammaBetaBackwardCUDAKernelTemplateIddLj32ELj32ELj256ELb0ELb1ELb0EEEvllPKT_S5_PKT0_S8_PS3_S9_,comdat
.Lfunc_end45:
	.size	_ZN2at6native12_GLOBAL__N_135GammaBetaBackwardCUDAKernelTemplateIddLj32ELj32ELj256ELb0ELb1ELb0EEEvllPKT_S5_PKT0_S8_PS3_S9_, .Lfunc_end45-_ZN2at6native12_GLOBAL__N_135GammaBetaBackwardCUDAKernelTemplateIddLj32ELj32ELj256ELb0ELb1ELb0EEEvllPKT_S5_PKT0_S8_PS3_S9_
                                        ; -- End function
	.section	.AMDGPU.csdata,"",@progbits
; Kernel info:
; codeLenInByte = 2128
; NumSgprs: 30
; NumVgprs: 62
; ScratchSize: 0
; MemoryBound: 0
; FloatMode: 240
; IeeeMode: 1
; LDSByteSize: 0 bytes/workgroup (compile time only)
; SGPRBlocks: 3
; VGPRBlocks: 7
; NumSGPRsForWavesPerEU: 30
; NumVGPRsForWavesPerEU: 62
; Occupancy: 16
; WaveLimiterHint : 0
; COMPUTE_PGM_RSRC2:SCRATCH_EN: 0
; COMPUTE_PGM_RSRC2:USER_SGPR: 14
; COMPUTE_PGM_RSRC2:TRAP_HANDLER: 0
; COMPUTE_PGM_RSRC2:TGID_X_EN: 1
; COMPUTE_PGM_RSRC2:TGID_Y_EN: 1
; COMPUTE_PGM_RSRC2:TGID_Z_EN: 0
; COMPUTE_PGM_RSRC2:TIDIG_COMP_CNT: 1
	.section	.text._ZN2at6native12_GLOBAL__N_135GammaBetaBackwardCUDAKernelTemplateIddLj32ELj32ELj256ELb0ELb0ELb0EEEvllPKT_S5_PKT0_S8_PS3_S9_,"axG",@progbits,_ZN2at6native12_GLOBAL__N_135GammaBetaBackwardCUDAKernelTemplateIddLj32ELj32ELj256ELb0ELb0ELb0EEEvllPKT_S5_PKT0_S8_PS3_S9_,comdat
	.globl	_ZN2at6native12_GLOBAL__N_135GammaBetaBackwardCUDAKernelTemplateIddLj32ELj32ELj256ELb0ELb0ELb0EEEvllPKT_S5_PKT0_S8_PS3_S9_ ; -- Begin function _ZN2at6native12_GLOBAL__N_135GammaBetaBackwardCUDAKernelTemplateIddLj32ELj32ELj256ELb0ELb0ELb0EEEvllPKT_S5_PKT0_S8_PS3_S9_
	.p2align	8
	.type	_ZN2at6native12_GLOBAL__N_135GammaBetaBackwardCUDAKernelTemplateIddLj32ELj32ELj256ELb0ELb0ELb0EEEvllPKT_S5_PKT0_S8_PS3_S9_,@function
_ZN2at6native12_GLOBAL__N_135GammaBetaBackwardCUDAKernelTemplateIddLj32ELj32ELj256ELb0ELb0ELb0EEEvllPKT_S5_PKT0_S8_PS3_S9_: ; @_ZN2at6native12_GLOBAL__N_135GammaBetaBackwardCUDAKernelTemplateIddLj32ELj32ELj256ELb0ELb0ELb0EEEvllPKT_S5_PKT0_S8_PS3_S9_
; %bb.0:
	s_clause 0x1
	s_load_b256 s[4:11], s[0:1], 0x0
	s_load_b128 s[36:39], s[0:1], 0x20
	s_lshl_b32 s33, s14, 5
	s_mov_b32 s13, 0
	s_or_b32 s12, s33, 31
	s_waitcnt lgkmcnt(0)
	v_cmp_ge_i64_e64 s2, s[12:13], s[6:7]
	s_lshl_b32 s12, s15, 8
	s_delay_alu instid0(SALU_CYCLE_1) | instskip(NEXT) | instid1(VALU_DEP_2)
	v_cmp_lt_i64_e64 s15, s[12:13], s[4:5]
	s_and_b32 vcc_lo, exec_lo, s2
	s_delay_alu instid0(VALU_DEP_1) | instskip(NEXT) | instid1(VALU_DEP_1)
	v_cndmask_b32_e64 v1, 0, 1, s15
	v_cmp_ne_u32_e64 s2, 1, v1
	s_cbranch_vccz .LBB46_48
; %bb.1:
	v_mov_b32_e32 v51, 0
	v_mov_b32_e32 v52, 0
	s_delay_alu instid0(VALU_DEP_2) | instskip(SKIP_1) | instid1(VALU_DEP_2)
	v_mov_b32_e32 v49, v51
	s_and_b32 vcc_lo, exec_lo, s2
	v_mov_b32_e32 v50, v52
	s_cbranch_vccnz .LBB46_49
; %bb.2:
	v_bfe_u32 v59, v0, 10, 10
	s_load_b32 s3, s[0:1], 0x44
	v_and_b32_e32 v61, 0x3ff, v0
	v_mov_b32_e32 v49, 0
	v_mov_b32_e32 v50, 0
	v_dual_mov_b32 v3, 0 :: v_dual_lshlrev_b32 v60, 3, v59
	s_delay_alu instid0(VALU_DEP_4) | instskip(SKIP_1) | instid1(VALU_DEP_3)
	v_add_nc_u32_e32 v2, s33, v61
	s_add_u32 s34, s0, 64
	v_dual_mov_b32 v52, v50 :: v_dual_mov_b32 v51, v49
	s_delay_alu instid0(VALU_DEP_3) | instskip(NEXT) | instid1(VALU_DEP_1)
	v_add_co_u32 v8, s2, v60, s12
	v_add_co_ci_u32_e64 v9, null, 0, 0, s2
	v_cmp_gt_i64_e64 s2, s[6:7], v[2:3]
	s_delay_alu instid0(VALU_DEP_3) | instskip(NEXT) | instid1(VALU_DEP_3)
	v_add_co_u32 v1, vcc_lo, v8, 7
	v_add_co_ci_u32_e32 v4, vcc_lo, 0, v9, vcc_lo
	v_add_co_u32 v10, vcc_lo, v8, 6
	s_delay_alu instid0(VALU_DEP_3) | instskip(NEXT) | instid1(VALU_DEP_3)
	v_mul_lo_u32 v6, s7, v1
	v_mul_lo_u32 v7, s6, v4
	v_mad_u64_u32 v[4:5], null, s6, v1, 0
	v_add_co_ci_u32_e32 v1, vcc_lo, 0, v9, vcc_lo
	v_lshlrev_b64 v[53:54], 3, v[2:3]
	s_addc_u32 s35, s1, 0
	s_waitcnt lgkmcnt(0)
	s_lshl_b32 s46, s3, 8
	s_mov_b32 s16, 0
	s_delay_alu instid0(VALU_DEP_3) | instskip(SKIP_3) | instid1(VALU_DEP_4)
	v_add3_u32 v5, v5, v7, v6
	v_mul_lo_u32 v6, s7, v10
	v_mul_lo_u32 v7, s6, v1
	v_mad_u64_u32 v[1:2], null, s6, v10, 0
	v_lshlrev_b64 v[4:5], 3, v[4:5]
	s_mul_i32 s3, s7, s46
	s_mul_hi_u32 s17, s6, s46
	s_mul_i32 s18, s6, s46
	s_add_i32 s19, s17, s3
	s_mov_b64 s[44:45], s[12:13]
	v_add_co_u32 v62, vcc_lo, s8, v4
	v_add_co_ci_u32_e32 v63, vcc_lo, s9, v5, vcc_lo
	v_add3_u32 v2, v2, v7, v6
	v_add_co_u32 v6, vcc_lo, v8, 5
	v_add_co_u32 v64, s3, s10, v4
	v_add_co_ci_u32_e32 v4, vcc_lo, 0, v9, vcc_lo
	v_add_co_u32 v11, vcc_lo, v8, 4
	v_add_co_ci_u32_e64 v65, s3, s11, v5, s3
	v_mul_lo_u32 v10, s7, v6
	s_delay_alu instid0(VALU_DEP_4)
	v_mul_lo_u32 v12, s6, v4
	v_mad_u64_u32 v[4:5], null, s6, v6, 0
	v_add_co_ci_u32_e32 v7, vcc_lo, 0, v9, vcc_lo
	v_lshlrev_b64 v[1:2], 3, v[1:2]
	v_mul_lo_u32 v13, s7, v11
	s_lshl_b64 s[40:41], s[18:19], 3
	s_delay_alu instid0(VALU_DEP_3) | instskip(SKIP_1) | instid1(VALU_DEP_4)
	v_mul_lo_u32 v14, s6, v7
	v_mad_u64_u32 v[6:7], null, s6, v11, 0
	v_add_co_u32 v66, vcc_lo, s8, v1
	v_add3_u32 v5, v5, v12, v10
	v_add_co_ci_u32_e32 v67, vcc_lo, s9, v2, vcc_lo
	v_add_co_u32 v68, vcc_lo, s10, v1
	v_add_co_ci_u32_e32 v69, vcc_lo, s11, v2, vcc_lo
	s_delay_alu instid0(VALU_DEP_4) | instskip(SKIP_3) | instid1(VALU_DEP_4)
	v_lshlrev_b64 v[1:2], 3, v[4:5]
	v_add3_u32 v7, v7, v14, v13
	v_add_co_u32 v10, vcc_lo, v8, 3
	v_add_co_ci_u32_e32 v11, vcc_lo, 0, v9, vcc_lo
	v_add_co_u32 v70, vcc_lo, s8, v1
	s_delay_alu instid0(VALU_DEP_4)
	v_lshlrev_b64 v[4:5], 3, v[6:7]
	v_add_co_ci_u32_e32 v71, vcc_lo, s9, v2, vcc_lo
	v_mul_lo_u32 v12, s7, v10
	v_mul_lo_u32 v11, s6, v11
	v_mad_u64_u32 v[6:7], null, s6, v10, 0
	v_add_co_u32 v72, vcc_lo, s10, v1
	v_add_co_ci_u32_e32 v73, vcc_lo, s11, v2, vcc_lo
	v_add_co_u32 v74, vcc_lo, s8, v4
	v_add_co_ci_u32_e32 v75, vcc_lo, s9, v5, vcc_lo
	v_add_co_u32 v10, vcc_lo, v8, 2
	v_add3_u32 v7, v7, v11, v12
	v_add_co_ci_u32_e32 v11, vcc_lo, 0, v9, vcc_lo
	v_add_co_u32 v76, vcc_lo, s10, v4
	v_add_co_ci_u32_e32 v77, vcc_lo, s11, v5, vcc_lo
	v_mul_lo_u32 v12, s7, v10
	s_delay_alu instid0(VALU_DEP_4)
	v_mul_lo_u32 v11, s6, v11
	v_mad_u64_u32 v[4:5], null, s6, v10, 0
	v_lshlrev_b64 v[1:2], 3, v[6:7]
	v_mul_lo_u32 v10, s7, v8
	v_mul_lo_u32 v9, s6, v9
	v_mad_u64_u32 v[6:7], null, s6, v8, 0
	s_add_u32 s42, s12, 0xff
	s_delay_alu instid0(VALU_DEP_4)
	v_add_co_u32 v78, vcc_lo, s8, v1
	v_add3_u32 v5, v5, v11, v12
	v_add_co_ci_u32_e32 v79, vcc_lo, s9, v2, vcc_lo
	v_add_co_u32 v80, vcc_lo, s10, v1
	v_add3_u32 v7, v7, v9, v10
	v_add_co_ci_u32_e32 v81, vcc_lo, s11, v2, vcc_lo
	v_lshlrev_b64 v[1:2], 3, v[4:5]
	v_add_co_u32 v4, vcc_lo, v6, s6
	s_delay_alu instid0(VALU_DEP_4) | instskip(SKIP_1) | instid1(VALU_DEP_3)
	v_add_co_ci_u32_e32 v5, vcc_lo, s7, v7, vcc_lo
	s_addc_u32 s43, 0, 0
	v_add_co_u32 v82, vcc_lo, s8, v1
	s_delay_alu instid0(VALU_DEP_2) | instskip(SKIP_3) | instid1(VALU_DEP_4)
	v_lshlrev_b64 v[4:5], 3, v[4:5]
	v_add_co_ci_u32_e32 v83, vcc_lo, s9, v2, vcc_lo
	v_add_co_u32 v84, vcc_lo, s10, v1
	v_add_co_ci_u32_e32 v85, vcc_lo, s11, v2, vcc_lo
	v_add_co_u32 v86, vcc_lo, s8, v4
	v_lshlrev_b64 v[1:2], 3, v[6:7]
	v_add_co_ci_u32_e32 v87, vcc_lo, s9, v5, vcc_lo
	v_add_co_u32 v88, vcc_lo, s10, v4
	v_add_co_ci_u32_e32 v89, vcc_lo, s11, v5, vcc_lo
	s_delay_alu instid0(VALU_DEP_4)
	v_add_co_u32 v90, vcc_lo, s8, v1
	v_add_co_ci_u32_e32 v91, vcc_lo, s9, v2, vcc_lo
	v_add_co_u32 v92, vcc_lo, s10, v1
	v_add_co_ci_u32_e32 v93, vcc_lo, s11, v2, vcc_lo
	s_branch .LBB46_5
.LBB46_3:                               ;   in Loop: Header=BB46_5 Depth=1
	s_or_b32 exec_lo, exec_lo, s3
	s_waitcnt vmcnt(1)
	ds_bpermute_b32 v1, v3, v55
	ds_bpermute_b32 v2, v3, v56
	ds_bpermute_b32 v4, v3, v55 offset:4
	ds_bpermute_b32 v5, v3, v56 offset:4
	;; [unrolled: 1-line block ×4, first 2 shown]
	s_waitcnt vmcnt(0)
	ds_bpermute_b32 v8, v3, v57
	ds_bpermute_b32 v9, v3, v58
	ds_bpermute_b32 v10, v3, v55 offset:12
	ds_bpermute_b32 v11, v3, v56 offset:12
	;; [unrolled: 1-line block ×4, first 2 shown]
	s_waitcnt lgkmcnt(10)
	v_add_f64 v[1:2], v[17:18], -v[1:2]
	s_waitcnt lgkmcnt(8)
	v_add_f64 v[4:5], v[19:20], -v[4:5]
	;; [unrolled: 2-line block ×4, first 2 shown]
	s_delay_alu instid0(VALU_DEP_4) | instskip(NEXT) | instid1(VALU_DEP_4)
	v_mul_f64 v[1:2], v[33:34], v[1:2]
	v_mul_f64 v[4:5], v[35:36], v[4:5]
	s_delay_alu instid0(VALU_DEP_4) | instskip(NEXT) | instid1(VALU_DEP_4)
	v_mul_f64 v[6:7], v[37:38], v[6:7]
	v_mul_f64 v[10:11], v[39:40], v[10:11]
	s_delay_alu instid0(VALU_DEP_4) | instskip(SKIP_2) | instid1(VALU_DEP_2)
	v_fma_f64 v[1:2], v[1:2], v[8:9], v[49:50]
	v_add_f64 v[8:9], v[51:52], v[33:34]
	s_waitcnt lgkmcnt(0)
	v_fma_f64 v[1:2], v[4:5], v[12:13], v[1:2]
	s_delay_alu instid0(VALU_DEP_2)
	v_add_f64 v[4:5], v[35:36], v[8:9]
	ds_bpermute_b32 v8, v3, v55 offset:16
	ds_bpermute_b32 v9, v3, v56 offset:16
	;; [unrolled: 1-line block ×4, first 2 shown]
	s_waitcnt lgkmcnt(2)
	v_add_f64 v[8:9], v[25:26], -v[8:9]
	s_waitcnt lgkmcnt(0)
	v_fma_f64 v[1:2], v[6:7], v[12:13], v[1:2]
	v_add_f64 v[4:5], v[37:38], v[4:5]
	ds_bpermute_b32 v6, v3, v55 offset:20
	ds_bpermute_b32 v7, v3, v56 offset:20
	;; [unrolled: 1-line block ×4, first 2 shown]
	s_waitcnt lgkmcnt(2)
	v_add_f64 v[6:7], v[27:28], -v[6:7]
	v_mul_f64 v[8:9], v[41:42], v[8:9]
	s_waitcnt lgkmcnt(0)
	v_fma_f64 v[1:2], v[10:11], v[12:13], v[1:2]
	v_add_f64 v[4:5], v[39:40], v[4:5]
	ds_bpermute_b32 v10, v3, v55 offset:24
	ds_bpermute_b32 v11, v3, v56 offset:24
	ds_bpermute_b32 v12, v3, v57 offset:16
	ds_bpermute_b32 v13, v3, v58 offset:16
	s_waitcnt lgkmcnt(2)
	v_add_f64 v[10:11], v[29:30], -v[10:11]
	v_mul_f64 v[6:7], v[43:44], v[6:7]
	s_waitcnt lgkmcnt(0)
	v_fma_f64 v[1:2], v[8:9], v[12:13], v[1:2]
	v_add_f64 v[4:5], v[41:42], v[4:5]
	ds_bpermute_b32 v8, v3, v57 offset:20
	ds_bpermute_b32 v9, v3, v58 offset:20
	v_mul_f64 v[10:11], v[45:46], v[10:11]
	s_waitcnt lgkmcnt(0)
	v_fma_f64 v[1:2], v[6:7], v[8:9], v[1:2]
	v_add_f64 v[6:7], v[43:44], v[4:5]
	ds_bpermute_b32 v4, v3, v57 offset:24
	ds_bpermute_b32 v5, v3, v58 offset:24
	;; [unrolled: 1-line block ×4, first 2 shown]
	s_waitcnt lgkmcnt(2)
	v_fma_f64 v[4:5], v[10:11], v[4:5], v[1:2]
	v_add_f64 v[6:7], v[45:46], v[6:7]
	ds_bpermute_b32 v1, v3, v57 offset:28
	ds_bpermute_b32 v2, v3, v58 offset:28
.LBB46_4:                               ;   in Loop: Header=BB46_5 Depth=1
	s_waitcnt lgkmcnt(2)
	v_add_f64 v[8:9], v[31:32], -v[8:9]
	v_add_co_u32 v62, vcc_lo, v62, s40
	v_add_co_ci_u32_e32 v63, vcc_lo, s41, v63, vcc_lo
	v_add_co_u32 v64, vcc_lo, v64, s40
	v_add_co_ci_u32_e32 v65, vcc_lo, s41, v65, vcc_lo
	;; [unrolled: 2-line block ×4, first 2 shown]
	v_add_co_u32 v70, vcc_lo, v70, s40
	v_add_f64 v[51:52], v[6:7], v[47:48]
	v_add_co_ci_u32_e32 v71, vcc_lo, s41, v71, vcc_lo
	v_add_co_u32 v72, vcc_lo, v72, s40
	v_add_co_ci_u32_e32 v73, vcc_lo, s41, v73, vcc_lo
	v_add_co_u32 v74, vcc_lo, v74, s40
	v_add_co_ci_u32_e32 v75, vcc_lo, s41, v75, vcc_lo
	v_add_co_u32 v76, vcc_lo, v76, s40
	v_add_co_ci_u32_e32 v77, vcc_lo, s41, v77, vcc_lo
	v_add_co_u32 v78, vcc_lo, v78, s40
	v_add_co_ci_u32_e32 v79, vcc_lo, s41, v79, vcc_lo
	v_mul_f64 v[8:9], v[47:48], v[8:9]
	v_add_co_u32 v80, vcc_lo, v80, s40
	v_add_co_ci_u32_e32 v81, vcc_lo, s41, v81, vcc_lo
	v_add_co_u32 v82, vcc_lo, v82, s40
	v_add_co_ci_u32_e32 v83, vcc_lo, s41, v83, vcc_lo
	;; [unrolled: 2-line block ×4, first 2 shown]
	v_add_co_u32 v88, vcc_lo, v88, s40
	s_add_u32 s44, s44, s46
	v_add_co_ci_u32_e32 v89, vcc_lo, s41, v89, vcc_lo
	s_addc_u32 s45, s45, 0
	v_add_co_u32 v90, vcc_lo, v90, s40
	v_cmp_lt_i64_e64 s3, s[44:45], s[4:5]
	v_add_co_ci_u32_e32 v91, vcc_lo, s41, v91, vcc_lo
	v_add_co_u32 v92, vcc_lo, v92, s40
	v_add_co_ci_u32_e32 v93, vcc_lo, s41, v93, vcc_lo
	s_add_u32 s42, s42, s46
	s_addc_u32 s43, s43, 0
	s_and_b32 vcc_lo, exec_lo, s3
	s_waitcnt lgkmcnt(0)
	v_fma_f64 v[49:50], v[8:9], v[1:2], v[4:5]
	s_cbranch_vccz .LBB46_49
.LBB46_5:                               ; =>This Inner Loop Header: Depth=1
	v_cmp_ge_i64_e64 s3, s[42:43], s[4:5]
	v_add_co_u32 v94, s17, v60, s42
	s_delay_alu instid0(VALU_DEP_1) | instskip(NEXT) | instid1(VALU_DEP_3)
	v_add_co_ci_u32_e64 v95, null, 0, s43, s17
	s_and_b32 vcc_lo, exec_lo, s3
	s_cbranch_vccz .LBB46_27
; %bb.6:                                ;   in Loop: Header=BB46_5 Depth=1
	s_load_b32 s3, s[34:35], 0xc
	v_mov_b32_e32 v57, 0
	s_waitcnt lgkmcnt(0)
	s_and_b32 s3, s3, 0xffff
	s_delay_alu instid0(SALU_CYCLE_1) | instskip(SKIP_2) | instid1(VALU_DEP_2)
	v_mad_u32_u24 v1, v59, s3, v61
	v_mov_b32_e32 v58, 0
	s_mov_b32 s3, exec_lo
	v_and_b32_e32 v1, 31, v1
	s_delay_alu instid0(VALU_DEP_2) | instskip(NEXT) | instid1(VALU_DEP_2)
	v_dual_mov_b32 v55, v57 :: v_dual_mov_b32 v56, v58
	v_cmpx_gt_u32_e32 8, v1
	s_cbranch_execz .LBB46_10
; %bb.7:                                ;   in Loop: Header=BB46_5 Depth=1
	v_add_co_u32 v1, vcc_lo, v94, v1
	v_mov_b32_e32 v55, 0
	v_add_co_ci_u32_e32 v2, vcc_lo, 0, v95, vcc_lo
	v_mov_b32_e32 v56, 0
	s_delay_alu instid0(VALU_DEP_4) | instskip(NEXT) | instid1(VALU_DEP_3)
	v_add_co_u32 v1, vcc_lo, 0xffffff01, v1
	v_add_co_ci_u32_e32 v2, vcc_lo, -1, v2, vcc_lo
	s_delay_alu instid0(VALU_DEP_3) | instskip(SKIP_1) | instid1(VALU_DEP_2)
	v_dual_mov_b32 v58, v56 :: v_dual_mov_b32 v57, v55
	s_mov_b32 s17, exec_lo
	v_cmpx_gt_i64_e64 s[4:5], v[1:2]
	s_cbranch_execz .LBB46_9
; %bb.8:                                ;   in Loop: Header=BB46_5 Depth=1
	v_lshlrev_b64 v[1:2], 3, v[1:2]
	s_delay_alu instid0(VALU_DEP_1) | instskip(NEXT) | instid1(VALU_DEP_2)
	v_add_co_u32 v4, vcc_lo, s36, v1
	v_add_co_ci_u32_e32 v5, vcc_lo, s37, v2, vcc_lo
	v_add_co_u32 v1, vcc_lo, s38, v1
	v_add_co_ci_u32_e32 v2, vcc_lo, s39, v2, vcc_lo
	global_load_b64 v[55:56], v[4:5], off
	global_load_b64 v[57:58], v[1:2], off
.LBB46_9:                               ;   in Loop: Header=BB46_5 Depth=1
	s_or_b32 exec_lo, exec_lo, s17
.LBB46_10:                              ;   in Loop: Header=BB46_5 Depth=1
	s_delay_alu instid0(SALU_CYCLE_1)
	s_or_b32 exec_lo, exec_lo, s3
	v_add_co_u32 v1, vcc_lo, 0xffffff01, v94
	s_mov_b32 s31, s16
	v_add_co_ci_u32_e32 v2, vcc_lo, -1, v95, vcc_lo
	s_mov_b32 s17, s16
	s_mov_b32 s18, s16
	;; [unrolled: 1-line block ×14, first 2 shown]
	s_delay_alu instid0(SALU_CYCLE_1)
	v_dual_mov_b32 v32, s31 :: v_dual_mov_b32 v31, s30
	v_dual_mov_b32 v30, s29 :: v_dual_mov_b32 v29, s28
	;; [unrolled: 1-line block ×8, first 2 shown]
	v_cmp_gt_i64_e32 vcc_lo, s[4:5], v[1:2]
	v_dual_mov_b32 v48, v32 :: v_dual_mov_b32 v47, v31
	v_dual_mov_b32 v46, v30 :: v_dual_mov_b32 v45, v29
	;; [unrolled: 1-line block ×8, first 2 shown]
	s_and_b32 s17, s2, vcc_lo
	s_delay_alu instid0(SALU_CYCLE_1)
	s_and_saveexec_b32 s3, s17
	s_cbranch_execz .LBB46_12
; %bb.11:                               ;   in Loop: Header=BB46_5 Depth=1
	v_add_co_u32 v1, vcc_lo, v90, v53
	v_add_co_ci_u32_e32 v2, vcc_lo, v91, v54, vcc_lo
	v_add_co_u32 v4, vcc_lo, v92, v53
	v_add_co_ci_u32_e32 v5, vcc_lo, v93, v54, vcc_lo
	global_load_b64 v[1:2], v[1:2], off
	v_mov_b32_e32 v16, v3
	v_mov_b32_e32 v6, v3
	global_load_b64 v[17:18], v[4:5], off
	v_mov_b32_e32 v4, v3
	v_mov_b32_e32 v5, v3
	;; [unrolled: 1-line block ×11, first 2 shown]
	s_waitcnt vmcnt(1)
	v_dual_mov_b32 v19, v3 :: v_dual_mov_b32 v48, v16
	v_dual_mov_b32 v20, v3 :: v_dual_mov_b32 v45, v13
	;; [unrolled: 1-line block ×7, first 2 shown]
	v_mov_b32_e32 v26, v3
	v_dual_mov_b32 v27, v3 :: v_dual_mov_b32 v40, v8
	v_mov_b32_e32 v28, v3
	v_dual_mov_b32 v29, v3 :: v_dual_mov_b32 v38, v6
	;; [unrolled: 2-line block ×3, first 2 shown]
	v_mov_b32_e32 v47, v15
	v_mov_b32_e32 v43, v11
	;; [unrolled: 1-line block ×5, first 2 shown]
	v_dual_mov_b32 v34, v2 :: v_dual_mov_b32 v33, v1
.LBB46_12:                              ;   in Loop: Header=BB46_5 Depth=1
	s_or_b32 exec_lo, exec_lo, s3
	v_add_co_u32 v1, vcc_lo, 0xffffff02, v94
	v_add_co_ci_u32_e32 v2, vcc_lo, -1, v95, vcc_lo
	s_delay_alu instid0(VALU_DEP_1) | instskip(SKIP_1) | instid1(SALU_CYCLE_1)
	v_cmp_gt_i64_e32 vcc_lo, s[4:5], v[1:2]
	s_and_b32 s17, s2, vcc_lo
	s_and_saveexec_b32 s3, s17
	s_cbranch_execz .LBB46_14
; %bb.13:                               ;   in Loop: Header=BB46_5 Depth=1
	v_add_co_u32 v1, vcc_lo, v86, v53
	v_add_co_ci_u32_e32 v2, vcc_lo, v87, v54, vcc_lo
	v_add_co_u32 v4, vcc_lo, v88, v53
	v_add_co_ci_u32_e32 v5, vcc_lo, v89, v54, vcc_lo
	global_load_b64 v[35:36], v[1:2], off
	global_load_b64 v[19:20], v[4:5], off
.LBB46_14:                              ;   in Loop: Header=BB46_5 Depth=1
	s_or_b32 exec_lo, exec_lo, s3
	v_add_co_u32 v1, vcc_lo, 0xffffff03, v94
	v_add_co_ci_u32_e32 v2, vcc_lo, -1, v95, vcc_lo
	s_delay_alu instid0(VALU_DEP_1) | instskip(SKIP_1) | instid1(SALU_CYCLE_1)
	v_cmp_gt_i64_e32 vcc_lo, s[4:5], v[1:2]
	s_and_b32 s17, s2, vcc_lo
	s_and_saveexec_b32 s3, s17
	s_cbranch_execz .LBB46_16
; %bb.15:                               ;   in Loop: Header=BB46_5 Depth=1
	v_add_co_u32 v1, vcc_lo, v82, v53
	v_add_co_ci_u32_e32 v2, vcc_lo, v83, v54, vcc_lo
	v_add_co_u32 v4, vcc_lo, v84, v53
	v_add_co_ci_u32_e32 v5, vcc_lo, v85, v54, vcc_lo
	global_load_b64 v[37:38], v[1:2], off
	global_load_b64 v[21:22], v[4:5], off
.LBB46_16:                              ;   in Loop: Header=BB46_5 Depth=1
	;; [unrolled: 16-line block ×7, first 2 shown]
	s_or_b32 exec_lo, exec_lo, s3
	s_waitcnt vmcnt(1)
	ds_bpermute_b32 v1, v3, v55
	ds_bpermute_b32 v2, v3, v56
	ds_bpermute_b32 v4, v3, v55 offset:4
	ds_bpermute_b32 v5, v3, v56 offset:4
	;; [unrolled: 1-line block ×4, first 2 shown]
	s_waitcnt vmcnt(0)
	ds_bpermute_b32 v8, v3, v57
	ds_bpermute_b32 v9, v3, v58
	ds_bpermute_b32 v10, v3, v55 offset:12
	ds_bpermute_b32 v11, v3, v56 offset:12
	;; [unrolled: 1-line block ×4, first 2 shown]
	s_waitcnt lgkmcnt(10)
	v_add_f64 v[1:2], v[17:18], -v[1:2]
	s_waitcnt lgkmcnt(8)
	v_add_f64 v[4:5], v[19:20], -v[4:5]
	;; [unrolled: 2-line block ×4, first 2 shown]
	s_delay_alu instid0(VALU_DEP_4) | instskip(NEXT) | instid1(VALU_DEP_4)
	v_mul_f64 v[1:2], v[33:34], v[1:2]
	v_mul_f64 v[4:5], v[35:36], v[4:5]
	s_delay_alu instid0(VALU_DEP_4) | instskip(NEXT) | instid1(VALU_DEP_4)
	v_mul_f64 v[6:7], v[37:38], v[6:7]
	v_mul_f64 v[10:11], v[39:40], v[10:11]
	s_delay_alu instid0(VALU_DEP_4) | instskip(SKIP_2) | instid1(VALU_DEP_2)
	v_fma_f64 v[1:2], v[1:2], v[8:9], v[49:50]
	v_add_f64 v[8:9], v[51:52], v[33:34]
	s_waitcnt lgkmcnt(0)
	v_fma_f64 v[1:2], v[4:5], v[12:13], v[1:2]
	s_delay_alu instid0(VALU_DEP_2)
	v_add_f64 v[4:5], v[35:36], v[8:9]
	ds_bpermute_b32 v8, v3, v55 offset:16
	ds_bpermute_b32 v9, v3, v56 offset:16
	;; [unrolled: 1-line block ×4, first 2 shown]
	s_waitcnt lgkmcnt(2)
	v_add_f64 v[8:9], v[25:26], -v[8:9]
	s_waitcnt lgkmcnt(0)
	v_fma_f64 v[1:2], v[6:7], v[12:13], v[1:2]
	v_add_f64 v[4:5], v[37:38], v[4:5]
	ds_bpermute_b32 v6, v3, v55 offset:20
	ds_bpermute_b32 v7, v3, v56 offset:20
	;; [unrolled: 1-line block ×4, first 2 shown]
	s_waitcnt lgkmcnt(2)
	v_add_f64 v[6:7], v[27:28], -v[6:7]
	v_mul_f64 v[8:9], v[41:42], v[8:9]
	s_waitcnt lgkmcnt(0)
	v_fma_f64 v[1:2], v[10:11], v[12:13], v[1:2]
	v_add_f64 v[4:5], v[39:40], v[4:5]
	ds_bpermute_b32 v10, v3, v55 offset:24
	ds_bpermute_b32 v11, v3, v56 offset:24
	;; [unrolled: 1-line block ×4, first 2 shown]
	s_waitcnt lgkmcnt(2)
	v_add_f64 v[10:11], v[29:30], -v[10:11]
	v_mul_f64 v[6:7], v[43:44], v[6:7]
	s_waitcnt lgkmcnt(0)
	v_fma_f64 v[1:2], v[8:9], v[12:13], v[1:2]
	v_add_f64 v[4:5], v[41:42], v[4:5]
	ds_bpermute_b32 v8, v3, v57 offset:20
	ds_bpermute_b32 v9, v3, v58 offset:20
	v_mul_f64 v[10:11], v[45:46], v[10:11]
	s_waitcnt lgkmcnt(0)
	v_fma_f64 v[1:2], v[6:7], v[8:9], v[1:2]
	v_add_f64 v[6:7], v[43:44], v[4:5]
	ds_bpermute_b32 v4, v3, v57 offset:24
	ds_bpermute_b32 v5, v3, v58 offset:24
	ds_bpermute_b32 v8, v3, v55 offset:28
	ds_bpermute_b32 v9, v3, v56 offset:28
	s_waitcnt lgkmcnt(2)
	v_fma_f64 v[4:5], v[10:11], v[4:5], v[1:2]
	v_add_f64 v[6:7], v[45:46], v[6:7]
	ds_bpermute_b32 v1, v3, v57 offset:28
	ds_bpermute_b32 v2, v3, v58 offset:28
	s_branch .LBB46_4
.LBB46_27:                              ;   in Loop: Header=BB46_5 Depth=1
                                        ; implicit-def: $vgpr1_vgpr2
                                        ; implicit-def: $vgpr17_vgpr18_vgpr19_vgpr20_vgpr21_vgpr22_vgpr23_vgpr24_vgpr25_vgpr26_vgpr27_vgpr28_vgpr29_vgpr30_vgpr31_vgpr32
                                        ; implicit-def: $vgpr33_vgpr34_vgpr35_vgpr36_vgpr37_vgpr38_vgpr39_vgpr40_vgpr41_vgpr42_vgpr43_vgpr44_vgpr45_vgpr46_vgpr47_vgpr48
                                        ; implicit-def: $vgpr8
                                        ; implicit-def: $vgpr6_vgpr7
                                        ; implicit-def: $vgpr4_vgpr5
	s_cbranch_execz .LBB46_4
; %bb.28:                               ;   in Loop: Header=BB46_5 Depth=1
	s_load_b32 s3, s[34:35], 0x0
	v_mov_b32_e32 v57, 0
	s_waitcnt lgkmcnt(0)
	s_cmp_lt_u32 s14, s3
	s_cselect_b32 s3, 12, 18
	s_delay_alu instid0(SALU_CYCLE_1)
	s_add_u32 s18, s34, s3
	s_addc_u32 s19, s35, 0
	s_mov_b32 s3, exec_lo
	global_load_u16 v1, v3, s[18:19]
	s_waitcnt vmcnt(0)
	v_mad_u32_u24 v1, v59, v1, v61
	s_delay_alu instid0(VALU_DEP_1) | instskip(NEXT) | instid1(VALU_DEP_1)
	v_dual_mov_b32 v58, 0 :: v_dual_and_b32 v1, 31, v1
	v_dual_mov_b32 v55, v57 :: v_dual_mov_b32 v56, v58
	s_delay_alu instid0(VALU_DEP_2)
	v_cmpx_gt_u32_e32 8, v1
	s_cbranch_execz .LBB46_32
; %bb.29:                               ;   in Loop: Header=BB46_5 Depth=1
	v_add_co_u32 v1, vcc_lo, v94, v1
	v_mov_b32_e32 v55, 0
	v_add_co_ci_u32_e32 v2, vcc_lo, 0, v95, vcc_lo
	v_mov_b32_e32 v56, 0
	s_delay_alu instid0(VALU_DEP_4) | instskip(NEXT) | instid1(VALU_DEP_3)
	v_add_co_u32 v1, vcc_lo, 0xffffff01, v1
	v_add_co_ci_u32_e32 v2, vcc_lo, -1, v2, vcc_lo
	s_delay_alu instid0(VALU_DEP_3) | instskip(SKIP_1) | instid1(VALU_DEP_2)
	v_dual_mov_b32 v58, v56 :: v_dual_mov_b32 v57, v55
	s_mov_b32 s17, exec_lo
	v_cmpx_gt_i64_e64 s[4:5], v[1:2]
	s_cbranch_execz .LBB46_31
; %bb.30:                               ;   in Loop: Header=BB46_5 Depth=1
	v_lshlrev_b64 v[1:2], 3, v[1:2]
	s_delay_alu instid0(VALU_DEP_1) | instskip(NEXT) | instid1(VALU_DEP_2)
	v_add_co_u32 v4, vcc_lo, s36, v1
	v_add_co_ci_u32_e32 v5, vcc_lo, s37, v2, vcc_lo
	v_add_co_u32 v1, vcc_lo, s38, v1
	v_add_co_ci_u32_e32 v2, vcc_lo, s39, v2, vcc_lo
	global_load_b64 v[55:56], v[4:5], off
	global_load_b64 v[57:58], v[1:2], off
.LBB46_31:                              ;   in Loop: Header=BB46_5 Depth=1
	s_or_b32 exec_lo, exec_lo, s17
.LBB46_32:                              ;   in Loop: Header=BB46_5 Depth=1
	s_delay_alu instid0(SALU_CYCLE_1)
	s_or_b32 exec_lo, exec_lo, s3
	s_mov_b32 s31, s16
	s_mov_b32 s17, s16
	;; [unrolled: 1-line block ×15, first 2 shown]
	s_delay_alu instid0(SALU_CYCLE_1)
	v_dual_mov_b32 v32, s31 :: v_dual_mov_b32 v31, s30
	v_dual_mov_b32 v30, s29 :: v_dual_mov_b32 v29, s28
	;; [unrolled: 1-line block ×16, first 2 shown]
	s_and_saveexec_b32 s3, s2
	s_cbranch_execz .LBB46_40
; %bb.33:                               ;   in Loop: Header=BB46_5 Depth=1
	v_add_co_u32 v1, vcc_lo, v90, v53
	v_add_co_ci_u32_e32 v2, vcc_lo, v91, v54, vcc_lo
	v_add_co_u32 v4, vcc_lo, v92, v53
	v_add_co_ci_u32_e32 v5, vcc_lo, v93, v54, vcc_lo
	global_load_b64 v[1:2], v[1:2], off
	v_mov_b32_e32 v16, v3
	v_mov_b32_e32 v6, v3
	global_load_b64 v[17:18], v[4:5], off
	v_mov_b32_e32 v4, v3
	v_mov_b32_e32 v5, v3
	;; [unrolled: 1-line block ×11, first 2 shown]
	s_waitcnt vmcnt(1)
	v_dual_mov_b32 v19, v3 :: v_dual_mov_b32 v48, v16
	v_dual_mov_b32 v20, v3 :: v_dual_mov_b32 v45, v13
	;; [unrolled: 1-line block ×7, first 2 shown]
	v_mov_b32_e32 v26, v3
	v_dual_mov_b32 v27, v3 :: v_dual_mov_b32 v40, v8
	v_mov_b32_e32 v28, v3
	v_dual_mov_b32 v29, v3 :: v_dual_mov_b32 v38, v6
	;; [unrolled: 2-line block ×3, first 2 shown]
	v_mov_b32_e32 v47, v15
	v_mov_b32_e32 v43, v11
	;; [unrolled: 1-line block ×5, first 2 shown]
	v_dual_mov_b32 v34, v2 :: v_dual_mov_b32 v33, v1
	s_or_b32 exec_lo, exec_lo, s3
	s_and_saveexec_b32 s3, s2
	s_cbranch_execnz .LBB46_41
.LBB46_34:                              ;   in Loop: Header=BB46_5 Depth=1
	s_or_b32 exec_lo, exec_lo, s3
	s_and_saveexec_b32 s3, s2
	s_cbranch_execz .LBB46_42
.LBB46_35:                              ;   in Loop: Header=BB46_5 Depth=1
	v_add_co_u32 v1, vcc_lo, v82, v53
	v_add_co_ci_u32_e32 v2, vcc_lo, v83, v54, vcc_lo
	v_add_co_u32 v4, vcc_lo, v84, v53
	v_add_co_ci_u32_e32 v5, vcc_lo, v85, v54, vcc_lo
	global_load_b64 v[37:38], v[1:2], off
	global_load_b64 v[21:22], v[4:5], off
	s_or_b32 exec_lo, exec_lo, s3
	s_and_saveexec_b32 s3, s2
	s_cbranch_execnz .LBB46_43
.LBB46_36:                              ;   in Loop: Header=BB46_5 Depth=1
	s_or_b32 exec_lo, exec_lo, s3
	s_and_saveexec_b32 s3, s2
	s_cbranch_execz .LBB46_44
.LBB46_37:                              ;   in Loop: Header=BB46_5 Depth=1
	v_add_co_u32 v1, vcc_lo, v74, v53
	v_add_co_ci_u32_e32 v2, vcc_lo, v75, v54, vcc_lo
	v_add_co_u32 v4, vcc_lo, v76, v53
	v_add_co_ci_u32_e32 v5, vcc_lo, v77, v54, vcc_lo
	global_load_b64 v[41:42], v[1:2], off
	global_load_b64 v[25:26], v[4:5], off
	s_or_b32 exec_lo, exec_lo, s3
	s_and_saveexec_b32 s3, s2
	s_cbranch_execnz .LBB46_45
.LBB46_38:                              ;   in Loop: Header=BB46_5 Depth=1
	s_or_b32 exec_lo, exec_lo, s3
	s_and_saveexec_b32 s3, s2
	s_cbranch_execz .LBB46_46
.LBB46_39:                              ;   in Loop: Header=BB46_5 Depth=1
	v_add_co_u32 v1, vcc_lo, v66, v53
	v_add_co_ci_u32_e32 v2, vcc_lo, v67, v54, vcc_lo
	v_add_co_u32 v4, vcc_lo, v68, v53
	v_add_co_ci_u32_e32 v5, vcc_lo, v69, v54, vcc_lo
	global_load_b64 v[45:46], v[1:2], off
	global_load_b64 v[29:30], v[4:5], off
	s_or_b32 exec_lo, exec_lo, s3
	s_and_saveexec_b32 s3, s2
	s_cbranch_execz .LBB46_3
	s_branch .LBB46_47
.LBB46_40:                              ;   in Loop: Header=BB46_5 Depth=1
	s_or_b32 exec_lo, exec_lo, s3
	s_and_saveexec_b32 s3, s2
	s_cbranch_execz .LBB46_34
.LBB46_41:                              ;   in Loop: Header=BB46_5 Depth=1
	v_add_co_u32 v1, vcc_lo, v86, v53
	v_add_co_ci_u32_e32 v2, vcc_lo, v87, v54, vcc_lo
	v_add_co_u32 v4, vcc_lo, v88, v53
	v_add_co_ci_u32_e32 v5, vcc_lo, v89, v54, vcc_lo
	global_load_b64 v[35:36], v[1:2], off
	global_load_b64 v[19:20], v[4:5], off
	s_or_b32 exec_lo, exec_lo, s3
	s_and_saveexec_b32 s3, s2
	s_cbranch_execnz .LBB46_35
.LBB46_42:                              ;   in Loop: Header=BB46_5 Depth=1
	s_or_b32 exec_lo, exec_lo, s3
	s_and_saveexec_b32 s3, s2
	s_cbranch_execz .LBB46_36
.LBB46_43:                              ;   in Loop: Header=BB46_5 Depth=1
	v_add_co_u32 v1, vcc_lo, v78, v53
	v_add_co_ci_u32_e32 v2, vcc_lo, v79, v54, vcc_lo
	v_add_co_u32 v4, vcc_lo, v80, v53
	v_add_co_ci_u32_e32 v5, vcc_lo, v81, v54, vcc_lo
	global_load_b64 v[39:40], v[1:2], off
	global_load_b64 v[23:24], v[4:5], off
	s_or_b32 exec_lo, exec_lo, s3
	s_and_saveexec_b32 s3, s2
	s_cbranch_execnz .LBB46_37
.LBB46_44:                              ;   in Loop: Header=BB46_5 Depth=1
	s_or_b32 exec_lo, exec_lo, s3
	s_and_saveexec_b32 s3, s2
	s_cbranch_execz .LBB46_38
.LBB46_45:                              ;   in Loop: Header=BB46_5 Depth=1
	v_add_co_u32 v1, vcc_lo, v70, v53
	v_add_co_ci_u32_e32 v2, vcc_lo, v71, v54, vcc_lo
	v_add_co_u32 v4, vcc_lo, v72, v53
	v_add_co_ci_u32_e32 v5, vcc_lo, v73, v54, vcc_lo
	global_load_b64 v[43:44], v[1:2], off
	global_load_b64 v[27:28], v[4:5], off
	s_or_b32 exec_lo, exec_lo, s3
	s_and_saveexec_b32 s3, s2
	s_cbranch_execnz .LBB46_39
.LBB46_46:                              ;   in Loop: Header=BB46_5 Depth=1
	s_or_b32 exec_lo, exec_lo, s3
	s_and_saveexec_b32 s3, s2
	s_cbranch_execz .LBB46_3
.LBB46_47:                              ;   in Loop: Header=BB46_5 Depth=1
	v_add_co_u32 v1, vcc_lo, v62, v53
	v_add_co_ci_u32_e32 v2, vcc_lo, v63, v54, vcc_lo
	v_add_co_u32 v4, vcc_lo, v64, v53
	v_add_co_ci_u32_e32 v5, vcc_lo, v65, v54, vcc_lo
	global_load_b64 v[47:48], v[1:2], off
	global_load_b64 v[31:32], v[4:5], off
	s_branch .LBB46_3
.LBB46_48:
                                        ; implicit-def: $vgpr51_vgpr52
                                        ; implicit-def: $vgpr49_vgpr50
	s_branch .LBB46_50
.LBB46_49:
	s_cbranch_execnz .LBB46_81
.LBB46_50:
	v_mov_b32_e32 v51, 0
	v_mov_b32_e32 v52, 0
	s_delay_alu instid0(VALU_DEP_2) | instskip(SKIP_1) | instid1(VALU_DEP_2)
	v_mov_b32_e32 v49, v51
	s_and_not1_b32 vcc_lo, exec_lo, s15
	v_mov_b32_e32 v50, v52
	s_cbranch_vccnz .LBB46_81
; %bb.51:
	s_load_b32 s2, s[0:1], 0x44
	v_bfe_u32 v75, v0, 10, 10
	v_dual_mov_b32 v3, 0 :: v_dual_and_b32 v48, 0x3ff, v0
	s_add_u32 s34, s0, 64
	s_addc_u32 s35, s1, 0
	s_delay_alu instid0(VALU_DEP_2) | instskip(NEXT) | instid1(VALU_DEP_2)
	v_lshlrev_b32_e32 v1, 6, v75
	v_dual_mov_b32 v49, 0 :: v_dual_add_nc_u32 v2, s33, v48
	v_mov_b32_e32 v50, 0
	v_lshlrev_b32_e32 v76, 3, v75
	s_delay_alu instid0(VALU_DEP_3) | instskip(NEXT) | instid1(VALU_DEP_3)
	v_lshlrev_b64 v[36:37], 3, v[2:3]
	v_dual_mov_b32 v52, v50 :: v_dual_mov_b32 v51, v49
	s_waitcnt lgkmcnt(0)
	s_lshl_b32 s15, s2, 8
	s_add_u32 s40, s12, 0xff
	s_addc_u32 s41, 0, 0
	s_lshl_b64 s[2:3], s[12:13], 3
	s_mul_i32 s16, s7, s15
	v_add_co_u32 v1, s2, v1, s2
	s_delay_alu instid0(VALU_DEP_1) | instskip(SKIP_1) | instid1(VALU_DEP_3)
	v_add_co_ci_u32_e64 v2, null, 0, s3, s2
	v_add_co_u32 v24, s3, v76, s12
	v_add_co_u32 v6, vcc_lo, v1, 8
	s_delay_alu instid0(VALU_DEP_3) | instskip(SKIP_3) | instid1(VALU_DEP_4)
	v_add_co_ci_u32_e32 v4, vcc_lo, 0, v2, vcc_lo
	v_add_co_u32 v7, vcc_lo, v1, 16
	v_add_co_ci_u32_e32 v5, vcc_lo, 0, v2, vcc_lo
	v_add_co_u32 v10, vcc_lo, v1, 24
	v_mul_lo_u32 v8, s6, v4
	v_add_co_ci_u32_e32 v4, vcc_lo, 0, v2, vcc_lo
	v_add_co_u32 v13, vcc_lo, v1, 32
	v_mul_lo_u32 v11, s6, v5
	;; [unrolled: 3-line block ×4, first 2 shown]
	v_add_co_ci_u32_e32 v5, vcc_lo, 0, v2, vcc_lo
	v_add_co_ci_u32_e64 v25, null, 0, 0, s3
	v_add_co_u32 v26, vcc_lo, v1, 56
	v_mul_lo_u32 v20, s6, v4
	s_delay_alu instid0(VALU_DEP_4) | instskip(SKIP_4) | instid1(VALU_DEP_4)
	v_mul_lo_u32 v22, s6, v5
	v_add_co_ci_u32_e32 v4, vcc_lo, 0, v2, vcc_lo
	v_mul_lo_u32 v5, s7, v24
	v_mul_lo_u32 v27, s6, v25
	v_mad_u64_u32 v[1:2], null, s6, v24, 0
	v_mul_lo_u32 v28, s6, v4
	v_mad_u64_u32 v[38:39], null, s6, v6, s[8:9]
	;; [unrolled: 2-line block ×3, first 2 shown]
	v_add3_u32 v2, v2, v27, v5
	v_mad_u64_u32 v[40:41], null, s6, v7, s[8:9]
	v_mul_lo_u32 v12, s7, v7
	v_mad_u64_u32 v[59:60], null, s6, v7, s[10:11]
	s_delay_alu instid0(VALU_DEP_4)
	v_lshlrev_b64 v[4:5], 3, v[1:2]
	v_add3_u32 v39, v9, v39, v8
	v_add3_u32 v58, v9, v58, v8
	v_mad_u64_u32 v[42:43], null, s6, v10, s[8:9]
	v_mul_lo_u32 v15, s7, v10
	v_add_co_u32 v77, vcc_lo, s8, v4
	v_add_co_ci_u32_e32 v78, vcc_lo, s9, v5, vcc_lo
	v_add_co_u32 v8, vcc_lo, v24, 7
	v_add_co_ci_u32_e32 v6, vcc_lo, 0, v25, vcc_lo
	v_mad_u64_u32 v[61:62], null, s6, v10, s[10:11]
	v_add3_u32 v41, v12, v41, v11
	v_add3_u32 v60, v12, v60, v11
	v_add_co_u32 v12, vcc_lo, v24, 6
	v_mul_lo_u32 v10, s7, v8
	v_mul_lo_u32 v11, s6, v6
	v_mad_u64_u32 v[6:7], null, s6, v8, 0
	v_add_co_ci_u32_e32 v9, vcc_lo, 0, v25, vcc_lo
	v_mad_u64_u32 v[44:45], null, s6, v13, s[8:9]
	v_mul_lo_u32 v18, s7, v13
	v_add3_u32 v43, v15, v43, v14
	v_mad_u64_u32 v[63:64], null, s6, v13, s[10:11]
	v_add3_u32 v62, v15, v62, v14
	v_mul_lo_u32 v13, s7, v12
	v_mul_lo_u32 v14, s6, v9
	v_mad_u64_u32 v[8:9], null, s6, v12, 0
	v_add3_u32 v7, v7, v11, v10
	v_add_co_u32 v79, vcc_lo, s10, v4
	v_add_co_ci_u32_e32 v80, vcc_lo, s11, v5, vcc_lo
	s_delay_alu instid0(VALU_DEP_3) | instskip(SKIP_3) | instid1(VALU_DEP_4)
	v_lshlrev_b64 v[4:5], 3, v[6:7]
	v_add3_u32 v9, v9, v14, v13
	v_add_co_u32 v10, vcc_lo, v24, 5
	v_add_co_ci_u32_e32 v11, vcc_lo, 0, v25, vcc_lo
	v_add_co_u32 v81, vcc_lo, s8, v4
	s_delay_alu instid0(VALU_DEP_4)
	v_lshlrev_b64 v[6:7], 3, v[8:9]
	v_add_co_ci_u32_e32 v82, vcc_lo, s9, v5, vcc_lo
	v_mul_lo_u32 v12, s7, v10
	v_mul_lo_u32 v11, s6, v11
	v_mad_u64_u32 v[8:9], null, s6, v10, 0
	v_add_co_u32 v83, vcc_lo, s10, v4
	v_add_co_ci_u32_e32 v84, vcc_lo, s11, v5, vcc_lo
	v_add_co_u32 v85, vcc_lo, s8, v6
	v_add_co_ci_u32_e32 v86, vcc_lo, s9, v7, vcc_lo
	s_mul_hi_u32 s2, s6, s15
	v_add_co_u32 v10, vcc_lo, v24, 4
	v_add3_u32 v9, v9, v11, v12
	s_add_i32 s3, s2, s16
	v_add_co_u32 v87, s2, s10, v6
	v_add_co_ci_u32_e32 v6, vcc_lo, 0, v25, vcc_lo
	v_add_co_u32 v12, vcc_lo, v24, 3
	v_lshlrev_b64 v[4:5], 3, v[8:9]
	v_add_co_ci_u32_e32 v8, vcc_lo, 0, v25, vcc_lo
	v_add_co_ci_u32_e64 v88, s2, s11, v7, s2
	v_mul_lo_u32 v11, s7, v10
	v_mul_lo_u32 v13, s6, v6
	v_mad_u64_u32 v[6:7], null, s6, v10, 0
	v_mul_lo_u32 v10, s7, v12
	v_mul_lo_u32 v14, s6, v8
	v_mad_u64_u32 v[8:9], null, s6, v12, 0
	v_add_co_u32 v89, vcc_lo, s8, v4
	v_add_co_ci_u32_e32 v90, vcc_lo, s9, v5, vcc_lo
	v_add3_u32 v7, v7, v13, v11
	v_add_co_u32 v91, vcc_lo, s10, v4
	v_add_co_ci_u32_e32 v92, vcc_lo, s11, v5, vcc_lo
	v_add3_u32 v9, v9, v14, v10
	v_add_co_u32 v10, vcc_lo, v24, 2
	v_lshlrev_b64 v[4:5], 3, v[6:7]
	v_add_co_ci_u32_e32 v11, vcc_lo, 0, v25, vcc_lo
	s_delay_alu instid0(VALU_DEP_4) | instskip(NEXT) | instid1(VALU_DEP_4)
	v_lshlrev_b64 v[6:7], 3, v[8:9]
	v_mul_lo_u32 v12, s7, v10
	v_mad_u64_u32 v[8:9], null, s6, v10, 0
	v_add_co_u32 v93, vcc_lo, s8, v4
	v_mul_lo_u32 v11, s6, v11
	v_add_co_ci_u32_e32 v94, vcc_lo, s9, v5, vcc_lo
	v_add_co_u32 v95, vcc_lo, s10, v4
	v_add_co_ci_u32_e32 v96, vcc_lo, s11, v5, vcc_lo
	v_add_co_u32 v97, vcc_lo, s8, v6
	v_add_co_ci_u32_e32 v98, vcc_lo, s9, v7, vcc_lo
	v_add3_u32 v9, v9, v11, v12
	v_add_co_u32 v99, vcc_lo, s10, v6
	v_add_co_ci_u32_e32 v100, vcc_lo, s11, v7, vcc_lo
	v_add_co_u32 v1, vcc_lo, v1, s6
	s_delay_alu instid0(VALU_DEP_4) | instskip(SKIP_3) | instid1(VALU_DEP_4)
	v_lshlrev_b64 v[4:5], 3, v[8:9]
	v_add_co_ci_u32_e32 v2, vcc_lo, s7, v2, vcc_lo
	v_mad_u64_u32 v[46:47], null, s6, v17, s[8:9]
	v_mul_lo_u32 v21, s7, v17
	v_add_co_u32 v101, vcc_lo, s8, v4
	s_delay_alu instid0(VALU_DEP_4)
	v_lshlrev_b64 v[1:2], 3, v[1:2]
	v_add_co_ci_u32_e32 v102, vcc_lo, s9, v5, vcc_lo
	v_mad_u64_u32 v[53:54], null, s6, v19, s[8:9]
	v_mul_lo_u32 v23, s7, v19
	v_mad_u64_u32 v[55:56], null, s6, v26, s[8:9]
	v_mul_lo_u32 v29, s7, v26
	v_mad_u64_u32 v[65:66], null, s6, v17, s[10:11]
	v_mad_u64_u32 v[67:68], null, s6, v19, s[10:11]
	;; [unrolled: 1-line block ×3, first 2 shown]
	v_add_co_u32 v103, vcc_lo, s10, v4
	v_add_co_ci_u32_e32 v104, vcc_lo, s11, v5, vcc_lo
	v_add_co_u32 v105, vcc_lo, s8, v1
	v_add_co_ci_u32_e32 v106, vcc_lo, s9, v2, vcc_lo
	v_add_co_u32 v107, vcc_lo, s10, v1
	v_add3_u32 v45, v18, v45, v16
	v_add3_u32 v47, v21, v47, v20
	;; [unrolled: 1-line block ×8, first 2 shown]
	v_add_co_ci_u32_e32 v108, vcc_lo, s11, v2, vcc_lo
	s_mul_i32 s2, s6, s15
	s_mov_b32 s16, 0
	s_lshl_b64 s[2:3], s[2:3], 3
	s_branch .LBB46_55
.LBB46_52:                              ;   in Loop: Header=BB46_55 Depth=1
	s_or_b32 exec_lo, exec_lo, s9
.LBB46_53:                              ;   in Loop: Header=BB46_55 Depth=1
	s_delay_alu instid0(SALU_CYCLE_1)
	s_or_b32 exec_lo, exec_lo, s8
	v_add_co_u32 v6, vcc_lo, v79, v36
	v_add_co_ci_u32_e32 v7, vcc_lo, v80, v37, vcc_lo
	v_add_co_u32 v8, vcc_lo, v57, v36
	v_add_co_ci_u32_e32 v9, vcc_lo, v58, v37, vcc_lo
	global_load_b64 v[6:7], v[6:7], off
	v_add_co_u32 v10, vcc_lo, v77, v36
	v_add_co_ci_u32_e32 v11, vcc_lo, v78, v37, vcc_lo
	global_load_b64 v[8:9], v[8:9], off
	global_load_b64 v[10:11], v[10:11], off
	v_add_co_u32 v12, vcc_lo, v59, v36
	v_add_co_ci_u32_e32 v13, vcc_lo, v60, v37, vcc_lo
	v_add_co_u32 v14, vcc_lo, v38, v36
	v_add_co_ci_u32_e32 v15, vcc_lo, v39, v37, vcc_lo
	global_load_b64 v[12:13], v[12:13], off
	global_load_b64 v[14:15], v[14:15], off
	v_add_co_u32 v16, vcc_lo, v61, v36
	v_add_co_ci_u32_e32 v17, vcc_lo, v62, v37, vcc_lo
	;; [unrolled: 6-line block ×5, first 2 shown]
	v_add_co_u32 v30, vcc_lo, v67, v36
	v_add_co_ci_u32_e32 v31, vcc_lo, v68, v37, vcc_lo
	v_add_co_u32 v32, vcc_lo, v69, v36
	v_add_co_ci_u32_e32 v33, vcc_lo, v70, v37, vcc_lo
	global_load_b64 v[30:31], v[30:31], off
	global_load_b64 v[34:35], v[18:19], off
	;; [unrolled: 1-line block ×3, first 2 shown]
	v_add_co_u32 v18, vcc_lo, v53, v36
	v_add_co_ci_u32_e32 v19, vcc_lo, v54, v37, vcc_lo
	v_add_co_u32 v71, vcc_lo, v55, v36
	v_add_co_ci_u32_e32 v72, vcc_lo, v56, v37, vcc_lo
	global_load_b64 v[73:74], v[18:19], off
	global_load_b64 v[18:19], v[71:72], off
	s_waitcnt vmcnt(17)
	ds_bpermute_b32 v71, v3, v4
	ds_bpermute_b32 v72, v3, v5
	s_waitcnt vmcnt(16)
	ds_bpermute_b32 v109, v3, v1
	ds_bpermute_b32 v110, v3, v2
	s_waitcnt vmcnt(15) lgkmcnt(2)
	v_add_f64 v[6:7], v[6:7], -v[71:72]
	ds_bpermute_b32 v71, v3, v4 offset:4
	ds_bpermute_b32 v72, v3, v5 offset:4
	s_waitcnt vmcnt(14) lgkmcnt(0)
	v_add_f64 v[8:9], v[8:9], -v[71:72]
	ds_bpermute_b32 v71, v3, v4 offset:8
	ds_bpermute_b32 v72, v3, v5 offset:8
	s_waitcnt vmcnt(13)
	v_mul_f64 v[6:7], v[10:11], v[6:7]
	v_add_f64 v[10:11], v[51:52], v[10:11]
	ds_bpermute_b32 v51, v3, v1 offset:4
	ds_bpermute_b32 v52, v3, v2 offset:4
	s_waitcnt vmcnt(12) lgkmcnt(2)
	v_add_f64 v[12:13], v[12:13], -v[71:72]
	s_waitcnt vmcnt(11)
	v_mul_f64 v[8:9], v[14:15], v[8:9]
	v_fma_f64 v[6:7], v[6:7], v[109:110], v[49:50]
	ds_bpermute_b32 v49, v3, v4 offset:12
	ds_bpermute_b32 v50, v3, v5 offset:12
	v_add_f64 v[10:11], v[10:11], v[14:15]
	ds_bpermute_b32 v14, v3, v1 offset:8
	ds_bpermute_b32 v15, v3, v2 offset:8
	s_waitcnt vmcnt(9)
	v_mul_f64 v[12:13], v[20:21], v[12:13]
	s_waitcnt lgkmcnt(2)
	v_add_f64 v[16:17], v[16:17], -v[49:50]
	v_fma_f64 v[6:7], v[8:9], v[51:52], v[6:7]
	ds_bpermute_b32 v8, v3, v4 offset:16
	ds_bpermute_b32 v9, v3, v5 offset:16
	v_add_f64 v[10:11], v[10:11], v[20:21]
	s_waitcnt vmcnt(8) lgkmcnt(0)
	v_add_f64 v[8:9], v[24:25], -v[8:9]
	s_waitcnt vmcnt(7)
	v_mul_f64 v[16:17], v[22:23], v[16:17]
	v_fma_f64 v[6:7], v[12:13], v[14:15], v[6:7]
	ds_bpermute_b32 v12, v3, v4 offset:20
	ds_bpermute_b32 v13, v3, v5 offset:20
	;; [unrolled: 1-line block ×4, first 2 shown]
	v_add_f64 v[10:11], v[10:11], v[22:23]
	s_waitcnt vmcnt(6) lgkmcnt(2)
	v_add_f64 v[12:13], v[28:29], -v[12:13]
	s_waitcnt vmcnt(5)
	v_mul_f64 v[8:9], v[26:27], v[8:9]
	s_waitcnt lgkmcnt(0)
	v_fma_f64 v[6:7], v[16:17], v[14:15], v[6:7]
	ds_bpermute_b32 v14, v3, v4 offset:24
	ds_bpermute_b32 v15, v3, v5 offset:24
	;; [unrolled: 1-line block ×6, first 2 shown]
	v_add_f64 v[10:11], v[10:11], v[26:27]
	s_waitcnt vmcnt(4) lgkmcnt(4)
	v_add_f64 v[14:15], v[30:31], -v[14:15]
	s_waitcnt vmcnt(3)
	v_mul_f64 v[12:13], v[34:35], v[12:13]
	s_waitcnt vmcnt(2) lgkmcnt(0)
	v_add_f64 v[4:5], v[32:33], -v[4:5]
	v_fma_f64 v[6:7], v[8:9], v[16:17], v[6:7]
	ds_bpermute_b32 v8, v3, v1 offset:20
	ds_bpermute_b32 v9, v3, v2 offset:20
	v_add_f64 v[10:11], v[10:11], v[34:35]
	s_waitcnt vmcnt(1)
	v_mul_f64 v[14:15], v[73:74], v[14:15]
	s_waitcnt vmcnt(0)
	v_mul_f64 v[4:5], v[18:19], v[4:5]
	s_waitcnt lgkmcnt(0)
	v_fma_f64 v[6:7], v[12:13], v[8:9], v[6:7]
	ds_bpermute_b32 v8, v3, v1 offset:24
	ds_bpermute_b32 v9, v3, v2 offset:24
	;; [unrolled: 1-line block ×4, first 2 shown]
	v_add_f64 v[1:2], v[10:11], v[73:74]
	s_waitcnt lgkmcnt(0)
	v_mul_f64 v[4:5], v[4:5], v[12:13]
	v_fma_f64 v[6:7], v[14:15], v[8:9], v[6:7]
.LBB46_54:                              ;   in Loop: Header=BB46_55 Depth=1
	v_add_co_u32 v38, vcc_lo, v38, s2
	v_add_co_ci_u32_e32 v39, vcc_lo, s3, v39, vcc_lo
	v_add_co_u32 v40, vcc_lo, v40, s2
	v_add_co_ci_u32_e32 v41, vcc_lo, s3, v41, vcc_lo
	;; [unrolled: 2-line block ×18, first 2 shown]
	v_add_co_u32 v85, vcc_lo, v85, s2
	v_add_f64 v[49:50], v[6:7], v[4:5]
	v_add_f64 v[51:52], v[1:2], v[18:19]
	v_add_co_ci_u32_e32 v86, vcc_lo, s3, v86, vcc_lo
	v_add_co_u32 v87, vcc_lo, v87, s2
	v_add_co_ci_u32_e32 v88, vcc_lo, s3, v88, vcc_lo
	v_add_co_u32 v89, vcc_lo, v89, s2
	v_add_co_ci_u32_e32 v90, vcc_lo, s3, v90, vcc_lo
	v_add_co_u32 v91, vcc_lo, v91, s2
	v_add_co_ci_u32_e32 v92, vcc_lo, s3, v92, vcc_lo
	v_add_co_u32 v93, vcc_lo, v93, s2
	v_add_co_ci_u32_e32 v94, vcc_lo, s3, v94, vcc_lo
	v_add_co_u32 v95, vcc_lo, v95, s2
	v_add_co_ci_u32_e32 v96, vcc_lo, s3, v96, vcc_lo
	v_add_co_u32 v97, vcc_lo, v97, s2
	v_add_co_ci_u32_e32 v98, vcc_lo, s3, v98, vcc_lo
	v_add_co_u32 v99, vcc_lo, v99, s2
	v_add_co_ci_u32_e32 v100, vcc_lo, s3, v100, vcc_lo
	v_add_co_u32 v101, vcc_lo, v101, s2
	v_add_co_ci_u32_e32 v102, vcc_lo, s3, v102, vcc_lo
	v_add_co_u32 v103, vcc_lo, v103, s2
	s_add_u32 s12, s12, s15
	v_add_co_ci_u32_e32 v104, vcc_lo, s3, v104, vcc_lo
	s_addc_u32 s13, s13, 0
	v_add_co_u32 v105, vcc_lo, v105, s2
	v_cmp_ge_i64_e64 s8, s[12:13], s[4:5]
	v_add_co_ci_u32_e32 v106, vcc_lo, s3, v106, vcc_lo
	v_add_co_u32 v107, vcc_lo, v107, s2
	v_add_co_ci_u32_e32 v108, vcc_lo, s3, v108, vcc_lo
	s_add_u32 s40, s40, s15
	s_addc_u32 s41, s41, 0
	s_and_b32 vcc_lo, exec_lo, s8
	s_cbranch_vccnz .LBB46_81
.LBB46_55:                              ; =>This Inner Loop Header: Depth=1
	v_cmp_ge_i64_e64 s8, s[40:41], s[4:5]
	v_add_co_u32 v109, s9, v76, s40
	s_delay_alu instid0(VALU_DEP_1) | instskip(NEXT) | instid1(VALU_DEP_3)
	v_add_co_ci_u32_e64 v110, null, 0, s41, s9
	s_and_b32 vcc_lo, exec_lo, s8
	s_cbranch_vccz .LBB46_77
; %bb.56:                               ;   in Loop: Header=BB46_55 Depth=1
	s_load_b32 s8, s[34:35], 0xc
	v_mov_b32_e32 v71, 0
	s_waitcnt lgkmcnt(0)
	s_and_b32 s8, s8, 0xffff
	s_delay_alu instid0(SALU_CYCLE_1) | instskip(SKIP_2) | instid1(VALU_DEP_1)
	v_mad_u32_u24 v1, v75, s8, v48
	v_mov_b32_e32 v72, 0
	s_mov_b32 s8, exec_lo
	v_dual_mov_b32 v74, v72 :: v_dual_and_b32 v1, 31, v1
	v_mov_b32_e32 v73, v71
	s_delay_alu instid0(VALU_DEP_2)
	v_cmpx_gt_u32_e32 8, v1
	s_cbranch_execz .LBB46_60
; %bb.57:                               ;   in Loop: Header=BB46_55 Depth=1
	v_add_co_u32 v1, vcc_lo, v109, v1
	v_mov_b32_e32 v73, 0
	v_add_co_ci_u32_e32 v2, vcc_lo, 0, v110, vcc_lo
	v_mov_b32_e32 v74, 0
	s_delay_alu instid0(VALU_DEP_4) | instskip(NEXT) | instid1(VALU_DEP_3)
	v_add_co_u32 v1, vcc_lo, 0xffffff01, v1
	v_add_co_ci_u32_e32 v2, vcc_lo, -1, v2, vcc_lo
	s_delay_alu instid0(VALU_DEP_3) | instskip(SKIP_1) | instid1(VALU_DEP_2)
	v_dual_mov_b32 v71, v73 :: v_dual_mov_b32 v72, v74
	s_mov_b32 s9, exec_lo
	v_cmpx_gt_i64_e64 s[4:5], v[1:2]
	s_cbranch_execz .LBB46_59
; %bb.58:                               ;   in Loop: Header=BB46_55 Depth=1
	v_lshlrev_b64 v[1:2], 3, v[1:2]
	s_delay_alu instid0(VALU_DEP_1) | instskip(NEXT) | instid1(VALU_DEP_2)
	v_add_co_u32 v4, vcc_lo, s36, v1
	v_add_co_ci_u32_e32 v5, vcc_lo, s37, v2, vcc_lo
	v_add_co_u32 v1, vcc_lo, s38, v1
	v_add_co_ci_u32_e32 v2, vcc_lo, s39, v2, vcc_lo
	global_load_b64 v[73:74], v[4:5], off
	global_load_b64 v[71:72], v[1:2], off
.LBB46_59:                              ;   in Loop: Header=BB46_55 Depth=1
	s_or_b32 exec_lo, exec_lo, s9
.LBB46_60:                              ;   in Loop: Header=BB46_55 Depth=1
	s_delay_alu instid0(SALU_CYCLE_1)
	s_or_b32 exec_lo, exec_lo, s8
	s_mov_b32 s31, s16
	s_mov_b32 s17, s16
	s_mov_b32 s18, s16
	s_mov_b32 s19, s16
	s_mov_b32 s20, s16
	s_mov_b32 s21, s16
	s_mov_b32 s22, s16
	s_mov_b32 s23, s16
	s_mov_b32 s24, s16
	s_mov_b32 s25, s16
	s_mov_b32 s26, s16
	s_mov_b32 s27, s16
	s_mov_b32 s28, s16
	s_mov_b32 s29, s16
	s_mov_b32 s30, s16
	s_delay_alu instid0(SALU_CYCLE_1)
	v_dual_mov_b32 v35, s31 :: v_dual_mov_b32 v34, s30
	v_dual_mov_b32 v21, s17 :: v_dual_mov_b32 v20, s16
	;; [unrolled: 1-line block ×8, first 2 shown]
	v_add_co_u32 v1, vcc_lo, 0xffffff01, v109
	v_dual_mov_b32 v4, v20 :: v_dual_mov_b32 v5, v21
	v_add_co_ci_u32_e32 v2, vcc_lo, -1, v110, vcc_lo
	s_delay_alu instid0(VALU_DEP_4)
	v_dual_mov_b32 v6, v22 :: v_dual_mov_b32 v7, v23
	v_dual_mov_b32 v8, v24 :: v_dual_mov_b32 v9, v25
	;; [unrolled: 1-line block ×7, first 2 shown]
	s_mov_b32 s8, exec_lo
	v_cmpx_gt_i64_e64 s[4:5], v[1:2]
	s_cbranch_execz .LBB46_62
; %bb.61:                               ;   in Loop: Header=BB46_55 Depth=1
	v_add_co_u32 v1, vcc_lo, v77, v36
	v_add_co_ci_u32_e32 v2, vcc_lo, v78, v37, vcc_lo
	v_add_co_u32 v4, vcc_lo, v79, v36
	v_add_co_ci_u32_e32 v5, vcc_lo, v80, v37, vcc_lo
	global_load_b64 v[1:2], v[1:2], off
	v_mov_b32_e32 v16, v3
	v_mov_b32_e32 v6, v3
	global_load_b64 v[20:21], v[4:5], off
	v_mov_b32_e32 v4, v3
	v_mov_b32_e32 v5, v3
	v_mov_b32_e32 v7, v3
	v_mov_b32_e32 v8, v3
	v_mov_b32_e32 v9, v3
	v_mov_b32_e32 v10, v3
	v_mov_b32_e32 v11, v3
	v_mov_b32_e32 v12, v3
	v_mov_b32_e32 v13, v3
	v_mov_b32_e32 v14, v3
	v_mov_b32_e32 v15, v3
	s_waitcnt vmcnt(1)
	v_dual_mov_b32 v22, v3 :: v_dual_mov_b32 v19, v16
	v_mov_b32_e32 v23, v3
	v_dual_mov_b32 v24, v3 :: v_dual_mov_b32 v17, v14
	v_mov_b32_e32 v31, v3
	v_mov_b32_e32 v33, v3
	;; [unrolled: 1-line block ×4, first 2 shown]
	v_dual_mov_b32 v26, v3 :: v_dual_mov_b32 v15, v12
	v_mov_b32_e32 v14, v11
	v_dual_mov_b32 v28, v3 :: v_dual_mov_b32 v13, v10
	v_dual_mov_b32 v25, v3 :: v_dual_mov_b32 v12, v9
	v_dual_mov_b32 v30, v3 :: v_dual_mov_b32 v11, v8
	v_mov_b32_e32 v10, v7
	v_dual_mov_b32 v32, v3 :: v_dual_mov_b32 v9, v6
	v_dual_mov_b32 v27, v3 :: v_dual_mov_b32 v8, v5
	;; [unrolled: 1-line block ×3, first 2 shown]
	v_mov_b32_e32 v6, v3
	v_mov_b32_e32 v35, v3
	;; [unrolled: 1-line block ×3, first 2 shown]
	v_dual_mov_b32 v29, v3 :: v_dual_mov_b32 v4, v1
.LBB46_62:                              ;   in Loop: Header=BB46_55 Depth=1
	s_or_b32 exec_lo, exec_lo, s8
	v_add_co_u32 v1, vcc_lo, 0xffffff02, v109
	v_add_co_ci_u32_e32 v2, vcc_lo, -1, v110, vcc_lo
	s_mov_b32 s8, exec_lo
	s_delay_alu instid0(VALU_DEP_1)
	v_cmpx_gt_i64_e64 s[4:5], v[1:2]
	s_cbranch_execz .LBB46_64
; %bb.63:                               ;   in Loop: Header=BB46_55 Depth=1
	v_add_co_u32 v1, vcc_lo, v105, v36
	v_add_co_ci_u32_e32 v2, vcc_lo, v106, v37, vcc_lo
	v_add_co_u32 v22, vcc_lo, v107, v36
	v_add_co_ci_u32_e32 v23, vcc_lo, v108, v37, vcc_lo
	global_load_b64 v[6:7], v[1:2], off
	global_load_b64 v[22:23], v[22:23], off
.LBB46_64:                              ;   in Loop: Header=BB46_55 Depth=1
	s_or_b32 exec_lo, exec_lo, s8
	v_add_co_u32 v1, vcc_lo, 0xffffff03, v109
	v_add_co_ci_u32_e32 v2, vcc_lo, -1, v110, vcc_lo
	s_mov_b32 s8, exec_lo
	s_delay_alu instid0(VALU_DEP_1)
	v_cmpx_gt_i64_e64 s[4:5], v[1:2]
	s_cbranch_execz .LBB46_66
; %bb.65:                               ;   in Loop: Header=BB46_55 Depth=1
	v_add_co_u32 v1, vcc_lo, v101, v36
	v_add_co_ci_u32_e32 v2, vcc_lo, v102, v37, vcc_lo
	v_add_co_u32 v24, vcc_lo, v103, v36
	v_add_co_ci_u32_e32 v25, vcc_lo, v104, v37, vcc_lo
	global_load_b64 v[8:9], v[1:2], off
	global_load_b64 v[24:25], v[24:25], off
.LBB46_66:                              ;   in Loop: Header=BB46_55 Depth=1
	;; [unrolled: 15-line block ×7, first 2 shown]
	s_or_b32 exec_lo, exec_lo, s8
	s_waitcnt vmcnt(1)
	ds_bpermute_b32 v1, v3, v73
	ds_bpermute_b32 v2, v3, v74
	s_waitcnt vmcnt(0)
	ds_bpermute_b32 v111, v3, v71
	ds_bpermute_b32 v112, v3, v72
	s_waitcnt lgkmcnt(2)
	v_add_f64 v[1:2], v[20:21], -v[1:2]
	ds_bpermute_b32 v20, v3, v73 offset:4
	ds_bpermute_b32 v21, v3, v74 offset:4
	s_waitcnt lgkmcnt(0)
	v_add_f64 v[20:21], v[22:23], -v[20:21]
	ds_bpermute_b32 v22, v3, v73 offset:8
	ds_bpermute_b32 v23, v3, v74 offset:8
	v_mul_f64 v[1:2], v[4:5], v[1:2]
	v_add_f64 v[4:5], v[51:52], v[4:5]
	s_waitcnt lgkmcnt(0)
	v_add_f64 v[22:23], v[24:25], -v[22:23]
	ds_bpermute_b32 v24, v3, v73 offset:12
	ds_bpermute_b32 v25, v3, v74 offset:12
	v_mul_f64 v[20:21], v[6:7], v[20:21]
	s_waitcnt lgkmcnt(0)
	v_add_f64 v[24:25], v[26:27], -v[24:25]
	v_fma_f64 v[1:2], v[1:2], v[111:112], v[49:50]
	ds_bpermute_b32 v111, v3, v71 offset:4
	ds_bpermute_b32 v112, v3, v72 offset:4
	v_add_f64 v[4:5], v[6:7], v[4:5]
	v_mul_f64 v[6:7], v[8:9], v[22:23]
	ds_bpermute_b32 v22, v3, v71 offset:8
	ds_bpermute_b32 v23, v3, v72 offset:8
	v_mul_f64 v[24:25], v[10:11], v[24:25]
	s_waitcnt lgkmcnt(2)
	v_fma_f64 v[1:2], v[20:21], v[111:112], v[1:2]
	ds_bpermute_b32 v20, v3, v73 offset:16
	ds_bpermute_b32 v21, v3, v74 offset:16
	v_add_f64 v[4:5], v[8:9], v[4:5]
	ds_bpermute_b32 v8, v3, v71 offset:12
	ds_bpermute_b32 v9, v3, v72 offset:12
	s_waitcnt lgkmcnt(2)
	v_add_f64 v[20:21], v[28:29], -v[20:21]
	v_fma_f64 v[1:2], v[6:7], v[22:23], v[1:2]
	ds_bpermute_b32 v6, v3, v73 offset:20
	ds_bpermute_b32 v7, v3, v74 offset:20
	v_add_f64 v[4:5], v[10:11], v[4:5]
	ds_bpermute_b32 v10, v3, v71 offset:16
	ds_bpermute_b32 v11, v3, v72 offset:16
	;; [unrolled: 1-line block ×4, first 2 shown]
	s_waitcnt lgkmcnt(4)
	v_add_f64 v[6:7], v[30:31], -v[6:7]
	v_mul_f64 v[20:21], v[12:13], v[20:21]
	v_fma_f64 v[1:2], v[24:25], v[8:9], v[1:2]
	ds_bpermute_b32 v8, v3, v73 offset:24
	ds_bpermute_b32 v9, v3, v74 offset:24
	v_add_f64 v[4:5], v[12:13], v[4:5]
	ds_bpermute_b32 v12, v3, v71 offset:20
	ds_bpermute_b32 v13, v3, v72 offset:20
	s_waitcnt lgkmcnt(2)
	v_add_f64 v[8:9], v[32:33], -v[8:9]
	v_mul_f64 v[6:7], v[14:15], v[6:7]
	v_fma_f64 v[1:2], v[20:21], v[10:11], v[1:2]
	v_add_f64 v[10:11], v[34:35], -v[22:23]
	v_add_f64 v[4:5], v[14:15], v[4:5]
	ds_bpermute_b32 v14, v3, v71 offset:28
	ds_bpermute_b32 v15, v3, v72 offset:28
	v_mul_f64 v[8:9], v[16:17], v[8:9]
	s_waitcnt lgkmcnt(2)
	v_fma_f64 v[6:7], v[6:7], v[12:13], v[1:2]
	v_mul_f64 v[10:11], v[18:19], v[10:11]
	ds_bpermute_b32 v12, v3, v71 offset:24
	ds_bpermute_b32 v13, v3, v72 offset:24
	v_add_f64 v[1:2], v[16:17], v[4:5]
	s_waitcnt lgkmcnt(0)
	v_fma_f64 v[6:7], v[8:9], v[12:13], v[6:7]
	v_mul_f64 v[4:5], v[10:11], v[14:15]
	s_branch .LBB46_54
.LBB46_77:                              ;   in Loop: Header=BB46_55 Depth=1
                                        ; implicit-def: $vgpr18_vgpr19
                                        ; implicit-def: $vgpr4_vgpr5
                                        ; implicit-def: $vgpr1_vgpr2
                                        ; implicit-def: $vgpr6_vgpr7
	s_cbranch_execz .LBB46_54
; %bb.78:                               ;   in Loop: Header=BB46_55 Depth=1
	s_load_b32 s8, s[34:35], 0x0
	s_waitcnt lgkmcnt(0)
	s_cmp_lt_u32 s14, s8
	s_cselect_b32 s8, 12, 18
	s_delay_alu instid0(SALU_CYCLE_1)
	s_add_u32 s8, s34, s8
	s_addc_u32 s9, s35, 0
	global_load_u16 v1, v3, s[8:9]
	s_mov_b32 s8, exec_lo
	s_waitcnt vmcnt(0)
	v_mad_u32_u24 v4, v75, v1, v48
	v_mov_b32_e32 v1, 0
	v_mov_b32_e32 v2, 0
	s_delay_alu instid0(VALU_DEP_1) | instskip(NEXT) | instid1(VALU_DEP_3)
	v_dual_mov_b32 v5, v2 :: v_dual_and_b32 v6, 31, v4
	v_mov_b32_e32 v4, v1
	s_delay_alu instid0(VALU_DEP_2)
	v_cmpx_gt_u32_e32 8, v6
	s_cbranch_execz .LBB46_53
; %bb.79:                               ;   in Loop: Header=BB46_55 Depth=1
	v_add_co_u32 v1, vcc_lo, v109, v6
	v_mov_b32_e32 v4, 0
	v_add_co_ci_u32_e32 v2, vcc_lo, 0, v110, vcc_lo
	v_mov_b32_e32 v5, 0
	s_delay_alu instid0(VALU_DEP_4) | instskip(NEXT) | instid1(VALU_DEP_3)
	v_add_co_u32 v6, vcc_lo, 0xffffff01, v1
	v_add_co_ci_u32_e32 v7, vcc_lo, -1, v2, vcc_lo
	s_delay_alu instid0(VALU_DEP_3) | instskip(SKIP_1) | instid1(VALU_DEP_2)
	v_dual_mov_b32 v1, v4 :: v_dual_mov_b32 v2, v5
	s_mov_b32 s9, exec_lo
	v_cmpx_gt_i64_e64 s[4:5], v[6:7]
	s_cbranch_execz .LBB46_52
; %bb.80:                               ;   in Loop: Header=BB46_55 Depth=1
	v_lshlrev_b64 v[1:2], 3, v[6:7]
	s_delay_alu instid0(VALU_DEP_1) | instskip(NEXT) | instid1(VALU_DEP_2)
	v_add_co_u32 v4, vcc_lo, s36, v1
	v_add_co_ci_u32_e32 v5, vcc_lo, s37, v2, vcc_lo
	v_add_co_u32 v1, vcc_lo, s38, v1
	v_add_co_ci_u32_e32 v2, vcc_lo, s39, v2, vcc_lo
	global_load_b64 v[4:5], v[4:5], off
	global_load_b64 v[1:2], v[1:2], off
	s_branch .LBB46_52
.LBB46_81:
	v_and_b32_e32 v10, 0x3ff, v0
	v_bfe_u32 v0, v0, 10, 10
	s_mov_b32 s15, 0
	s_mov_b32 s2, exec_lo
	s_delay_alu instid0(VALU_DEP_2) | instskip(NEXT) | instid1(VALU_DEP_2)
	v_lshrrev_b32_e32 v1, 5, v10
	v_mad_u32_u24 v2, v0, 33, v10
	s_delay_alu instid0(VALU_DEP_2) | instskip(NEXT) | instid1(VALU_DEP_2)
	v_add_nc_u32_e32 v8, v1, v0
	v_lshl_add_u32 v0, v2, 3, 0
	ds_store_b64 v0, v[49:50]
	ds_store_b64 v0, v[51:52] offset:8448
	s_waitcnt lgkmcnt(0)
	s_barrier
	buffer_gl0_inv
	v_cmpx_gt_u32_e32 32, v8
	s_cbranch_execz .LBB46_87
; %bb.82:
	s_lshl_b64 s[2:3], s[14:15], 5
	v_and_b32_e32 v0, 31, v10
	v_mbcnt_lo_u32_b32 v9, -1, 0
	s_delay_alu instid0(VALU_DEP_2) | instskip(NEXT) | instid1(VALU_DEP_2)
	v_mad_u32_u24 v0, v0, 33, v8
	v_xor_b32_e32 v4, 16, v9
	v_or_b32_e32 v8, s2, v8
	v_cmp_eq_u32_e64 s2, 0, v10
	s_delay_alu instid0(VALU_DEP_4) | instskip(NEXT) | instid1(VALU_DEP_4)
	v_lshl_add_u32 v2, v0, 3, 0
	v_cmp_gt_i32_e32 vcc_lo, 32, v4
	ds_load_b64 v[0:1], v2
	ds_load_b64 v[2:3], v2 offset:8448
	v_cndmask_b32_e32 v4, v9, v4, vcc_lo
	s_delay_alu instid0(VALU_DEP_1)
	v_lshlrev_b32_e32 v7, 2, v4
	s_waitcnt lgkmcnt(1)
	ds_bpermute_b32 v4, v7, v0
	ds_bpermute_b32 v5, v7, v1
	s_waitcnt lgkmcnt(2)
	ds_bpermute_b32 v6, v7, v2
	ds_bpermute_b32 v7, v7, v3
	s_waitcnt lgkmcnt(2)
	v_add_f64 v[0:1], v[0:1], v[4:5]
	v_xor_b32_e32 v4, 8, v9
	s_waitcnt lgkmcnt(0)
	v_add_f64 v[2:3], v[2:3], v[6:7]
	s_delay_alu instid0(VALU_DEP_2) | instskip(SKIP_1) | instid1(VALU_DEP_1)
	v_cmp_gt_i32_e32 vcc_lo, 32, v4
	v_cndmask_b32_e32 v4, v9, v4, vcc_lo
	v_lshlrev_b32_e32 v7, 2, v4
	ds_bpermute_b32 v4, v7, v0
	ds_bpermute_b32 v5, v7, v1
	ds_bpermute_b32 v6, v7, v2
	ds_bpermute_b32 v7, v7, v3
	s_waitcnt lgkmcnt(2)
	v_add_f64 v[0:1], v[0:1], v[4:5]
	v_xor_b32_e32 v4, 4, v9
	s_waitcnt lgkmcnt(0)
	v_add_f64 v[2:3], v[2:3], v[6:7]
	s_delay_alu instid0(VALU_DEP_2) | instskip(SKIP_1) | instid1(VALU_DEP_1)
	v_cmp_gt_i32_e32 vcc_lo, 32, v4
	v_cndmask_b32_e32 v4, v9, v4, vcc_lo
	v_lshlrev_b32_e32 v7, 2, v4
	ds_bpermute_b32 v4, v7, v0
	ds_bpermute_b32 v5, v7, v1
	;; [unrolled: 13-line block ×3, first 2 shown]
	ds_bpermute_b32 v6, v7, v2
	ds_bpermute_b32 v7, v7, v3
	s_waitcnt lgkmcnt(2)
	v_add_f64 v[4:5], v[0:1], v[4:5]
	s_waitcnt lgkmcnt(0)
	v_add_f64 v[0:1], v[2:3], v[6:7]
	v_xor_b32_e32 v2, 1, v9
	s_delay_alu instid0(VALU_DEP_1) | instskip(SKIP_1) | instid1(VALU_DEP_1)
	v_cmp_gt_i32_e32 vcc_lo, 32, v2
	v_dual_cndmask_b32 v2, v9, v2 :: v_dual_mov_b32 v9, s3
	v_lshlrev_b32_e32 v3, 2, v2
	s_delay_alu instid0(VALU_DEP_2)
	v_cmp_gt_i64_e32 vcc_lo, s[6:7], v[8:9]
	s_and_b32 s2, s2, vcc_lo
	ds_bpermute_b32 v6, v3, v4
	ds_bpermute_b32 v7, v3, v5
	ds_bpermute_b32 v2, v3, v0
	ds_bpermute_b32 v3, v3, v1
	s_and_b32 exec_lo, exec_lo, s2
	s_cbranch_execz .LBB46_87
; %bb.83:
	s_load_b128 s[0:3], s[0:1], 0x30
	v_lshlrev_b64 v[8:9], 3, v[8:9]
	s_waitcnt lgkmcnt(0)
	s_cmp_eq_u64 s[0:1], 0
	s_cbranch_scc1 .LBB46_85
; %bb.84:
	v_add_f64 v[4:5], v[4:5], v[6:7]
	s_delay_alu instid0(VALU_DEP_2)
	v_add_co_u32 v6, vcc_lo, s0, v8
	v_add_co_ci_u32_e32 v7, vcc_lo, s1, v9, vcc_lo
	global_store_b64 v[6:7], v[4:5], off
.LBB46_85:
	s_cmp_eq_u64 s[2:3], 0
	s_cbranch_scc1 .LBB46_87
; %bb.86:
	v_add_f64 v[0:1], v[0:1], v[2:3]
	v_add_co_u32 v2, vcc_lo, s2, v8
	v_add_co_ci_u32_e32 v3, vcc_lo, s3, v9, vcc_lo
	global_store_b64 v[2:3], v[0:1], off
.LBB46_87:
	s_nop 0
	s_sendmsg sendmsg(MSG_DEALLOC_VGPRS)
	s_endpgm
	.section	.rodata,"a",@progbits
	.p2align	6, 0x0
	.amdhsa_kernel _ZN2at6native12_GLOBAL__N_135GammaBetaBackwardCUDAKernelTemplateIddLj32ELj32ELj256ELb0ELb0ELb0EEEvllPKT_S5_PKT0_S8_PS3_S9_
		.amdhsa_group_segment_fixed_size 0
		.amdhsa_private_segment_fixed_size 0
		.amdhsa_kernarg_size 320
		.amdhsa_user_sgpr_count 14
		.amdhsa_user_sgpr_dispatch_ptr 0
		.amdhsa_user_sgpr_queue_ptr 0
		.amdhsa_user_sgpr_kernarg_segment_ptr 1
		.amdhsa_user_sgpr_dispatch_id 0
		.amdhsa_user_sgpr_private_segment_size 0
		.amdhsa_wavefront_size32 1
		.amdhsa_uses_dynamic_stack 0
		.amdhsa_enable_private_segment 0
		.amdhsa_system_sgpr_workgroup_id_x 1
		.amdhsa_system_sgpr_workgroup_id_y 1
		.amdhsa_system_sgpr_workgroup_id_z 0
		.amdhsa_system_sgpr_workgroup_info 0
		.amdhsa_system_vgpr_workitem_id 1
		.amdhsa_next_free_vgpr 113
		.amdhsa_next_free_sgpr 47
		.amdhsa_reserve_vcc 1
		.amdhsa_float_round_mode_32 0
		.amdhsa_float_round_mode_16_64 0
		.amdhsa_float_denorm_mode_32 3
		.amdhsa_float_denorm_mode_16_64 3
		.amdhsa_dx10_clamp 1
		.amdhsa_ieee_mode 1
		.amdhsa_fp16_overflow 0
		.amdhsa_workgroup_processor_mode 1
		.amdhsa_memory_ordered 1
		.amdhsa_forward_progress 0
		.amdhsa_shared_vgpr_count 0
		.amdhsa_exception_fp_ieee_invalid_op 0
		.amdhsa_exception_fp_denorm_src 0
		.amdhsa_exception_fp_ieee_div_zero 0
		.amdhsa_exception_fp_ieee_overflow 0
		.amdhsa_exception_fp_ieee_underflow 0
		.amdhsa_exception_fp_ieee_inexact 0
		.amdhsa_exception_int_div_zero 0
	.end_amdhsa_kernel
	.section	.text._ZN2at6native12_GLOBAL__N_135GammaBetaBackwardCUDAKernelTemplateIddLj32ELj32ELj256ELb0ELb0ELb0EEEvllPKT_S5_PKT0_S8_PS3_S9_,"axG",@progbits,_ZN2at6native12_GLOBAL__N_135GammaBetaBackwardCUDAKernelTemplateIddLj32ELj32ELj256ELb0ELb0ELb0EEEvllPKT_S5_PKT0_S8_PS3_S9_,comdat
.Lfunc_end46:
	.size	_ZN2at6native12_GLOBAL__N_135GammaBetaBackwardCUDAKernelTemplateIddLj32ELj32ELj256ELb0ELb0ELb0EEEvllPKT_S5_PKT0_S8_PS3_S9_, .Lfunc_end46-_ZN2at6native12_GLOBAL__N_135GammaBetaBackwardCUDAKernelTemplateIddLj32ELj32ELj256ELb0ELb0ELb0EEEvllPKT_S5_PKT0_S8_PS3_S9_
                                        ; -- End function
	.section	.AMDGPU.csdata,"",@progbits
; Kernel info:
; codeLenInByte = 9844
; NumSgprs: 49
; NumVgprs: 113
; ScratchSize: 0
; MemoryBound: 1
; FloatMode: 240
; IeeeMode: 1
; LDSByteSize: 0 bytes/workgroup (compile time only)
; SGPRBlocks: 6
; VGPRBlocks: 14
; NumSGPRsForWavesPerEU: 49
; NumVGPRsForWavesPerEU: 113
; Occupancy: 12
; WaveLimiterHint : 0
; COMPUTE_PGM_RSRC2:SCRATCH_EN: 0
; COMPUTE_PGM_RSRC2:USER_SGPR: 14
; COMPUTE_PGM_RSRC2:TRAP_HANDLER: 0
; COMPUTE_PGM_RSRC2:TGID_X_EN: 1
; COMPUTE_PGM_RSRC2:TGID_Y_EN: 1
; COMPUTE_PGM_RSRC2:TGID_Z_EN: 0
; COMPUTE_PGM_RSRC2:TIDIG_COMP_CNT: 1
	.section	.text._ZN2at6native12_GLOBAL__N_118cuComputeGradInputIffLb0EEEvPKT_S5_llPKT0_S8_S5_PS3_,"axG",@progbits,_ZN2at6native12_GLOBAL__N_118cuComputeGradInputIffLb0EEEvPKT_S5_llPKT0_S8_S5_PS3_,comdat
	.globl	_ZN2at6native12_GLOBAL__N_118cuComputeGradInputIffLb0EEEvPKT_S5_llPKT0_S8_S5_PS3_ ; -- Begin function _ZN2at6native12_GLOBAL__N_118cuComputeGradInputIffLb0EEEvPKT_S5_llPKT0_S8_S5_PS3_
	.p2align	8
	.type	_ZN2at6native12_GLOBAL__N_118cuComputeGradInputIffLb0EEEvPKT_S5_llPKT0_S8_S5_PS3_,@function
_ZN2at6native12_GLOBAL__N_118cuComputeGradInputIffLb0EEEvPKT_S5_llPKT0_S8_S5_PS3_: ; @_ZN2at6native12_GLOBAL__N_118cuComputeGradInputIffLb0EEEvPKT_S5_llPKT0_S8_S5_PS3_
; %bb.0:
	s_load_b128 s[16:19], s[0:1], 0x10
	s_mov_b32 s6, s15
	s_ashr_i32 s7, s15, 31
	s_waitcnt lgkmcnt(0)
	v_cmp_ge_i64_e64 s2, s[6:7], s[16:17]
	s_delay_alu instid0(VALU_DEP_1)
	s_and_b32 vcc_lo, exec_lo, s2
	s_cbranch_vccnz .LBB47_47
; %bb.1:
	s_clause 0x1
	s_load_b32 s4, s[0:1], 0x4c
	s_load_b256 s[8:15], s[0:1], 0x20
	s_cls_i32 s3, s19
	v_and_b32_e32 v11, 0x3ff, v0
	v_bfe_u32 v12, v0, 10, 10
	s_clause 0x1
	s_load_b32 s29, s[0:1], 0x44
	s_load_b128 s[20:23], s[0:1], 0x0
	v_cmp_gt_i64_e64 s30, s[18:19], 0
	v_mbcnt_lo_u32_b32 v14, -1, 0
	v_cmp_eq_u32_e64 s0, 0, v12
	v_cmp_ne_u32_e64 s1, 0, v12
	v_lshl_add_u32 v15, v11, 3, 0
	v_cndmask_b32_e64 v13, 0, 1, s30
	s_waitcnt lgkmcnt(0)
	s_lshr_b32 s26, s4, 16
	s_and_b32 s27, s4, 0xffff
	s_cmp_lg_u64 s[12:13], 0
	v_mad_u32_u24 v0, v12, s27, v11
	s_cselect_b32 s28, -1, 0
	s_xor_b32 s2, s18, s19
	s_add_i32 s3, s3, -1
	s_ashr_i32 s2, s2, 31
	s_mul_i32 s33, s26, s27
	s_add_i32 s2, s2, 32
	s_ashr_i32 s34, s33, 31
	s_min_u32 s5, s3, s2
	v_cmp_gt_u16_e64 s31, s4, 1
	s_lshl_b64 s[2:3], s[18:19], s5
	v_lshl_add_u32 v16, v0, 3, 0
	s_min_u32 s2, s2, 1
	v_cmp_gt_u16_e64 s35, s26, 1
	s_or_b32 s2, s3, s2
	s_delay_alu instid0(SALU_CYCLE_1)
	v_cvt_f32_i32_e32 v1, s2
	s_sub_i32 s2, 32, s5
	s_delay_alu instid0(VALU_DEP_1) | instid1(SALU_CYCLE_1)
	v_ldexp_f32 v10, v1, s2
	s_delay_alu instid0(VALU_DEP_1) | instskip(SKIP_1) | instid1(VALU_DEP_2)
	v_div_scale_f32 v2, null, v10, v10, 1.0
	v_div_scale_f32 v4, vcc_lo, 1.0, v10, 1.0
	v_rcp_f32_e32 v3, v2
	s_waitcnt_depctr 0xfff
	v_fma_f32 v1, -v2, v3, 1.0
	s_delay_alu instid0(VALU_DEP_1) | instskip(SKIP_1) | instid1(VALU_DEP_2)
	v_fmac_f32_e32 v3, v1, v3
	v_mov_b32_e32 v1, 0
	v_mul_f32_e32 v5, v4, v3
	s_delay_alu instid0(VALU_DEP_2) | instskip(NEXT) | instid1(VALU_DEP_2)
	v_cmp_gt_i64_e64 s2, s[18:19], v[0:1]
	v_fma_f32 v6, -v2, v5, v4
	s_delay_alu instid0(VALU_DEP_1) | instskip(NEXT) | instid1(VALU_DEP_1)
	v_dual_fmac_f32 v5, v6, v3 :: v_dual_add_nc_u32 v6, s33, v0
	v_fma_f32 v2, -v2, v5, v4
	s_delay_alu instid0(VALU_DEP_2) | instskip(NEXT) | instid1(VALU_DEP_2)
	v_ashrrev_i32_e32 v4, 31, v6
	v_div_fmas_f32 v5, v2, v3, v5
	v_sub_co_u32 v2, vcc_lo, v6, s33
	s_delay_alu instid0(VALU_DEP_3) | instskip(NEXT) | instid1(VALU_DEP_3)
	v_subrev_co_ci_u32_e32 v3, vcc_lo, s34, v4, vcc_lo
	v_div_fixup_f32 v17, v5, v10, 1.0
	s_branch .LBB47_4
.LBB47_2:                               ;   in Loop: Header=BB47_4 Depth=1
	s_set_inst_prefetch_distance 0x2
	s_or_b32 exec_lo, exec_lo, s24
.LBB47_3:                               ;   in Loop: Header=BB47_4 Depth=1
	s_add_i32 s6, s29, s6
	s_waitcnt_vscnt null, 0x0
	s_ashr_i32 s7, s6, 31
	s_barrier
	v_cmp_ge_i64_e64 s3, s[6:7], s[16:17]
	buffer_gl0_inv
	s_and_b32 vcc_lo, exec_lo, s3
	s_cbranch_vccnz .LBB47_47
.LBB47_4:                               ; =>This Loop Header: Depth=1
                                        ;     Child Loop BB47_8 Depth 2
                                        ;     Child Loop BB47_19 Depth 2
	;; [unrolled: 1-line block ×6, first 2 shown]
	s_mul_i32 s3, s6, s19
	s_mul_hi_u32 s4, s6, s18
	s_mul_i32 s24, s7, s18
	s_add_i32 s3, s4, s3
	s_lshl_b64 s[4:5], s[6:7], 2
	s_add_i32 s25, s3, s24
	s_add_u32 s36, s8, s4
	s_addc_u32 s37, s9, s5
	s_add_u32 s4, s10, s4
	s_addc_u32 s5, s11, s5
	s_load_b32 s7, s[36:37], 0x0
	s_load_b32 s36, s[4:5], 0x0
	s_mul_i32 s24, s6, s18
	v_cmp_ne_u32_e64 s3, 1, v13
	s_lshl_b64 s[24:25], s[24:25], 2
	s_delay_alu instid0(SALU_CYCLE_1)
	s_add_u32 s37, s22, s24
	s_addc_u32 s38, s23, s25
	s_add_u32 s39, s20, s24
	s_addc_u32 s40, s21, s25
	s_and_not1_b32 vcc_lo, exec_lo, s28
	s_cbranch_vccnz .LBB47_14
; %bb.5:                                ;   in Loop: Header=BB47_4 Depth=1
	v_dual_mov_b32 v4, 0 :: v_dual_mov_b32 v5, 0
	s_and_b32 vcc_lo, exec_lo, s3
	s_mov_b32 s41, 0
	s_cbranch_vccnz .LBB47_15
; %bb.6:                                ;   in Loop: Header=BB47_4 Depth=1
	v_mov_b32_e32 v4, 0
	s_mov_b32 s4, 0
	s_delay_alu instid0(VALU_DEP_1)
	v_mov_b32_e32 v5, v4
	s_branch .LBB47_8
.LBB47_7:                               ;   in Loop: Header=BB47_8 Depth=2
	s_or_b32 exec_lo, exec_lo, s3
	s_waitcnt vmcnt(0) lgkmcnt(0)
	v_dual_mul_f32 v6, v8, v18 :: v_dual_subrev_f32 v7, s7, v9
	s_add_i32 s4, s4, s33
	v_fmac_f32_e32 v4, v8, v18
	s_ashr_i32 s5, s4, 31
	s_delay_alu instid0(VALU_DEP_2) | instskip(SKIP_1) | instid1(VALU_DEP_2)
	v_mul_f32_e32 v6, v7, v6
	v_cmp_ge_i64_e64 s3, s[4:5], s[18:19]
	v_fmac_f32_e32 v5, s36, v6
	s_delay_alu instid0(VALU_DEP_2)
	s_and_b32 vcc_lo, exec_lo, s3
	s_cbranch_vccnz .LBB47_15
.LBB47_8:                               ;   Parent Loop BB47_4 Depth=1
                                        ; =>  This Inner Loop Header: Depth=2
	v_add_nc_u32_e32 v6, s4, v0
	v_mov_b32_e32 v8, 0
	s_delay_alu instid0(VALU_DEP_2) | instskip(NEXT) | instid1(VALU_DEP_1)
	v_ashrrev_i32_e32 v7, 31, v6
	v_cmp_gt_i64_e32 vcc_lo, s[18:19], v[6:7]
	v_lshlrev_b64 v[6:7], 2, v[6:7]
	s_and_saveexec_b32 s5, vcc_lo
	s_cbranch_execnz .LBB47_11
; %bb.9:                                ;   in Loop: Header=BB47_8 Depth=2
	s_or_b32 exec_lo, exec_lo, s5
	v_mov_b32_e32 v9, 0
	s_and_saveexec_b32 s5, vcc_lo
	s_cbranch_execnz .LBB47_12
.LBB47_10:                              ;   in Loop: Header=BB47_8 Depth=2
	s_or_b32 exec_lo, exec_lo, s5
	v_mov_b32_e32 v18, 0
	s_and_saveexec_b32 s3, vcc_lo
	s_cbranch_execz .LBB47_7
	s_branch .LBB47_13
.LBB47_11:                              ;   in Loop: Header=BB47_8 Depth=2
	s_delay_alu instid0(VALU_DEP_1) | instskip(NEXT) | instid1(VALU_DEP_1)
	v_add_co_u32 v8, s3, s12, v6
	v_add_co_ci_u32_e64 v9, s3, s13, v7, s3
	global_load_b32 v8, v[8:9], off
	s_or_b32 exec_lo, exec_lo, s5
	v_mov_b32_e32 v9, 0
	s_and_saveexec_b32 s5, vcc_lo
	s_cbranch_execz .LBB47_10
.LBB47_12:                              ;   in Loop: Header=BB47_8 Depth=2
	v_add_co_u32 v18, s3, s37, v6
	s_delay_alu instid0(VALU_DEP_1)
	v_add_co_ci_u32_e64 v19, s3, s38, v7, s3
	global_load_b32 v9, v[18:19], off
	s_or_b32 exec_lo, exec_lo, s5
	v_mov_b32_e32 v18, 0
	s_and_saveexec_b32 s3, vcc_lo
	s_cbranch_execz .LBB47_7
.LBB47_13:                              ;   in Loop: Header=BB47_8 Depth=2
	v_add_co_u32 v6, vcc_lo, s39, v6
	v_add_co_ci_u32_e32 v7, vcc_lo, s40, v7, vcc_lo
	global_load_b32 v18, v[6:7], off
	s_branch .LBB47_7
.LBB47_14:                              ;   in Loop: Header=BB47_4 Depth=1
	s_mov_b32 s41, -1
                                        ; implicit-def: $vgpr4
.LBB47_15:                              ;   in Loop: Header=BB47_4 Depth=1
	s_delay_alu instid0(SALU_CYCLE_1)
	s_and_not1_b32 vcc_lo, exec_lo, s41
	s_cbranch_vccnz .LBB47_23
; %bb.16:                               ;   in Loop: Header=BB47_4 Depth=1
	v_dual_mov_b32 v4, 0 :: v_dual_mov_b32 v5, 0
	s_and_not1_b32 vcc_lo, exec_lo, s30
	s_mov_b32 s4, 0
	s_cbranch_vccnz .LBB47_23
; %bb.17:                               ;   in Loop: Header=BB47_4 Depth=1
	v_mov_b32_e32 v4, 0
	s_delay_alu instid0(VALU_DEP_1)
	v_mov_b32_e32 v5, v4
	s_set_inst_prefetch_distance 0x1
	s_branch .LBB47_19
	.p2align	6
.LBB47_18:                              ;   in Loop: Header=BB47_19 Depth=2
	s_or_b32 exec_lo, exec_lo, s3
	s_waitcnt vmcnt(0) lgkmcnt(0)
	v_subrev_f32_e32 v6, s7, v8
	s_add_i32 s4, s4, s33
	s_delay_alu instid0(SALU_CYCLE_1) | instskip(NEXT) | instid1(SALU_CYCLE_1)
	s_ashr_i32 s5, s4, 31
	v_cmp_ge_i64_e64 s3, s[4:5], s[18:19]
	s_delay_alu instid0(VALU_DEP_2) | instskip(NEXT) | instid1(VALU_DEP_1)
	v_mul_f32_e32 v6, v6, v9
	v_dual_add_f32 v4, v4, v9 :: v_dual_fmac_f32 v5, s36, v6
	s_delay_alu instid0(VALU_DEP_3)
	s_and_b32 vcc_lo, exec_lo, s3
	s_cbranch_vccnz .LBB47_23
.LBB47_19:                              ;   Parent Loop BB47_4 Depth=1
                                        ; =>  This Inner Loop Header: Depth=2
	v_add_nc_u32_e32 v6, s4, v0
	v_mov_b32_e32 v8, 0
	s_delay_alu instid0(VALU_DEP_2) | instskip(NEXT) | instid1(VALU_DEP_1)
	v_ashrrev_i32_e32 v7, 31, v6
	v_cmp_gt_i64_e32 vcc_lo, s[18:19], v[6:7]
	v_lshlrev_b64 v[6:7], 2, v[6:7]
	s_and_saveexec_b32 s5, vcc_lo
	s_cbranch_execz .LBB47_21
; %bb.20:                               ;   in Loop: Header=BB47_19 Depth=2
	s_delay_alu instid0(VALU_DEP_1) | instskip(NEXT) | instid1(VALU_DEP_1)
	v_add_co_u32 v8, s3, s37, v6
	v_add_co_ci_u32_e64 v9, s3, s38, v7, s3
	global_load_b32 v8, v[8:9], off
.LBB47_21:                              ;   in Loop: Header=BB47_19 Depth=2
	s_or_b32 exec_lo, exec_lo, s5
	v_mov_b32_e32 v9, 0
	s_and_saveexec_b32 s3, vcc_lo
	s_cbranch_execz .LBB47_18
; %bb.22:                               ;   in Loop: Header=BB47_19 Depth=2
	v_add_co_u32 v6, vcc_lo, s39, v6
	v_add_co_ci_u32_e32 v7, vcc_lo, s40, v7, vcc_lo
	global_load_b32 v9, v[6:7], off
	s_branch .LBB47_18
.LBB47_23:                              ;   in Loop: Header=BB47_4 Depth=1
	s_set_inst_prefetch_distance 0x2
	s_and_not1_b32 vcc_lo, exec_lo, s31
	s_cbranch_vccnz .LBB47_26
; %bb.24:                               ;   in Loop: Header=BB47_4 Depth=1
	s_mov_b32 s3, s27
.LBB47_25:                              ;   Parent Loop BB47_4 Depth=1
                                        ; =>  This Inner Loop Header: Depth=2
	s_delay_alu instid0(SALU_CYCLE_1) | instskip(SKIP_3) | instid1(VALU_DEP_1)
	s_lshr_b32 s4, s3, 1
	s_cmp_lt_u32 s3, 4
	v_xor_b32_e32 v6, s4, v14
	s_mov_b32 s3, s4
	v_cmp_gt_i32_e32 vcc_lo, 32, v6
	v_cndmask_b32_e32 v6, v14, v6, vcc_lo
	s_delay_alu instid0(VALU_DEP_1)
	v_lshlrev_b32_e32 v6, 2, v6
	ds_bpermute_b32 v7, v6, v4
	ds_bpermute_b32 v6, v6, v5
	s_waitcnt lgkmcnt(0)
	v_dual_add_f32 v4, v4, v7 :: v_dual_add_f32 v5, v5, v6
	s_cbranch_scc0 .LBB47_25
.LBB47_26:                              ;   in Loop: Header=BB47_4 Depth=1
	s_and_not1_b32 vcc_lo, exec_lo, s35
	s_mov_b32 s5, s26
	s_cbranch_vccnz .LBB47_38
	.p2align	6
.LBB47_27:                              ;   Parent Loop BB47_4 Depth=1
                                        ; =>  This Inner Loop Header: Depth=2
	s_lshr_b32 s41, s5, 1
	s_and_b32 s4, s5, 0xfffe
	v_cmp_le_u32_e64 s3, s41, v12
	v_cmp_gt_u32_e64 s4, s4, v12
	v_cmp_gt_u32_e32 vcc_lo, s41, v12
	s_delay_alu instid0(VALU_DEP_2) | instskip(NEXT) | instid1(SALU_CYCLE_1)
	s_and_b32 s4, s3, s4
	s_and_saveexec_b32 s3, s4
	s_cbranch_execz .LBB47_29
; %bb.28:                               ;   in Loop: Header=BB47_27 Depth=2
	v_subrev_nc_u32_e32 v6, s41, v12
	s_delay_alu instid0(VALU_DEP_1) | instskip(NEXT) | instid1(VALU_DEP_1)
	v_mad_i32_i24 v6, v6, s27, v11
	v_lshl_add_u32 v6, v6, 3, 0
	ds_store_b64 v6, v[4:5]
.LBB47_29:                              ;   in Loop: Header=BB47_27 Depth=2
	s_or_b32 exec_lo, exec_lo, s3
	s_waitcnt lgkmcnt(0)
	s_barrier
	buffer_gl0_inv
	s_and_saveexec_b32 s3, vcc_lo
	s_cbranch_execz .LBB47_31
; %bb.30:                               ;   in Loop: Header=BB47_27 Depth=2
	ds_load_b64 v[6:7], v16
	s_waitcnt lgkmcnt(0)
	v_dual_add_f32 v4, v4, v6 :: v_dual_add_f32 v5, v5, v7
.LBB47_31:                              ;   in Loop: Header=BB47_27 Depth=2
	s_or_b32 exec_lo, exec_lo, s3
	s_cmp_lt_u32 s5, 4
	s_barrier
	buffer_gl0_inv
	s_cbranch_scc1 .LBB47_33
; %bb.32:                               ;   in Loop: Header=BB47_27 Depth=2
	s_mov_b32 s5, s41
	s_branch .LBB47_27
.LBB47_33:                              ;   in Loop: Header=BB47_4 Depth=1
	s_and_saveexec_b32 s3, s0
	s_cbranch_execz .LBB47_35
; %bb.34:                               ;   in Loop: Header=BB47_4 Depth=1
	ds_store_b64 v15, v[4:5]
.LBB47_35:                              ;   in Loop: Header=BB47_4 Depth=1
	s_or_b32 exec_lo, exec_lo, s3
	s_waitcnt lgkmcnt(0)
	s_barrier
	buffer_gl0_inv
	s_and_saveexec_b32 s3, s1
	s_cbranch_execz .LBB47_37
; %bb.36:                               ;   in Loop: Header=BB47_4 Depth=1
	ds_load_b64 v[4:5], v15
.LBB47_37:                              ;   in Loop: Header=BB47_4 Depth=1
	s_or_b32 exec_lo, exec_lo, s3
.LBB47_38:                              ;   in Loop: Header=BB47_4 Depth=1
	s_waitcnt lgkmcnt(0)
	v_mul_f32_e32 v18, s36, v17
	s_add_u32 s4, s14, s24
	s_addc_u32 s5, s15, s25
	s_and_not1_b32 vcc_lo, exec_lo, s28
	s_cbranch_vccnz .LBB47_43
; %bb.39:                               ;   in Loop: Header=BB47_4 Depth=1
	s_and_saveexec_b32 s24, s2
	s_cbranch_execz .LBB47_42
; %bb.40:                               ;   in Loop: Header=BB47_4 Depth=1
	v_dual_mov_b32 v7, v3 :: v_dual_mov_b32 v6, v2
	v_dual_mov_b32 v9, v1 :: v_dual_mov_b32 v8, v0
	s_mov_b32 s25, 0
	s_set_inst_prefetch_distance 0x1
	.p2align	6
.LBB47_41:                              ;   Parent Loop BB47_4 Depth=1
                                        ; =>  This Inner Loop Header: Depth=2
	s_delay_alu instid0(VALU_DEP_1) | instskip(NEXT) | instid1(VALU_DEP_1)
	v_lshlrev_b64 v[19:20], 2, v[8:9]
	v_add_co_u32 v8, vcc_lo, s37, v19
	s_delay_alu instid0(VALU_DEP_2)
	v_add_co_ci_u32_e32 v9, vcc_lo, s38, v20, vcc_lo
	v_add_co_u32 v21, vcc_lo, s39, v19
	v_add_co_ci_u32_e32 v22, vcc_lo, s40, v20, vcc_lo
	v_add_co_u32 v23, vcc_lo, s12, v19
	v_add_co_ci_u32_e32 v24, vcc_lo, s13, v20, vcc_lo
	global_load_b32 v21, v[21:22], off
	global_load_b32 v8, v[8:9], off
	;; [unrolled: 1-line block ×3, first 2 shown]
	v_add_co_u32 v6, vcc_lo, v6, s33
	v_add_co_ci_u32_e32 v7, vcc_lo, s34, v7, vcc_lo
	v_add_co_u32 v19, s3, s4, v19
	s_delay_alu instid0(VALU_DEP_1) | instskip(NEXT) | instid1(VALU_DEP_3)
	v_add_co_ci_u32_e64 v20, s3, s5, v20, s3
	v_cmp_le_i64_e32 vcc_lo, s[18:19], v[6:7]
	s_or_b32 s25, vcc_lo, s25
	s_waitcnt vmcnt(1)
	v_dual_mul_f32 v21, v21, v10 :: v_dual_subrev_f32 v8, s7, v8
	s_waitcnt vmcnt(0)
	s_delay_alu instid0(VALU_DEP_1) | instskip(NEXT) | instid1(VALU_DEP_2)
	v_fma_f32 v21, v21, v9, -v4
	v_mul_f32_e32 v8, s36, v8
	v_ashrrev_i32_e32 v9, 31, v6
	s_delay_alu instid0(VALU_DEP_2) | instskip(NEXT) | instid1(VALU_DEP_1)
	v_fma_f32 v8, -v5, v8, v21
	v_mul_f32_e32 v21, v18, v8
	v_mov_b32_e32 v8, v6
	global_store_b32 v[19:20], v21, off
	s_and_not1_b32 exec_lo, exec_lo, s25
	s_cbranch_execnz .LBB47_41
.LBB47_42:                              ;   in Loop: Header=BB47_4 Depth=1
	s_set_inst_prefetch_distance 0x2
	s_or_b32 exec_lo, exec_lo, s24
	s_cbranch_execnz .LBB47_3
	s_branch .LBB47_44
.LBB47_43:                              ;   in Loop: Header=BB47_4 Depth=1
.LBB47_44:                              ;   in Loop: Header=BB47_4 Depth=1
	s_and_saveexec_b32 s24, s2
	s_cbranch_execz .LBB47_2
; %bb.45:                               ;   in Loop: Header=BB47_4 Depth=1
	v_dual_mov_b32 v7, v3 :: v_dual_mov_b32 v6, v2
	v_dual_mov_b32 v9, v1 :: v_dual_mov_b32 v8, v0
	s_mov_b32 s25, 0
	s_set_inst_prefetch_distance 0x1
	.p2align	6
.LBB47_46:                              ;   Parent Loop BB47_4 Depth=1
                                        ; =>  This Inner Loop Header: Depth=2
	s_delay_alu instid0(VALU_DEP_1) | instskip(NEXT) | instid1(VALU_DEP_1)
	v_lshlrev_b64 v[19:20], 2, v[8:9]
	v_add_co_u32 v8, vcc_lo, s37, v19
	s_delay_alu instid0(VALU_DEP_2)
	v_add_co_ci_u32_e32 v9, vcc_lo, s38, v20, vcc_lo
	v_add_co_u32 v21, vcc_lo, s39, v19
	v_add_co_ci_u32_e32 v22, vcc_lo, s40, v20, vcc_lo
	v_add_co_u32 v6, vcc_lo, v6, s33
	global_load_b32 v8, v[8:9], off
	global_load_b32 v9, v[21:22], off
	v_add_co_ci_u32_e32 v7, vcc_lo, s34, v7, vcc_lo
	v_add_co_u32 v19, s3, s4, v19
	s_delay_alu instid0(VALU_DEP_1) | instskip(NEXT) | instid1(VALU_DEP_3)
	v_add_co_ci_u32_e64 v20, s3, s5, v20, s3
	v_cmp_le_i64_e32 vcc_lo, s[18:19], v[6:7]
	s_or_b32 s25, vcc_lo, s25
	s_waitcnt vmcnt(1)
	v_subrev_f32_e32 v8, s7, v8
	s_waitcnt vmcnt(0)
	v_fma_f32 v21, v9, v10, -v4
	v_ashrrev_i32_e32 v9, 31, v6
	s_delay_alu instid0(VALU_DEP_3) | instskip(NEXT) | instid1(VALU_DEP_1)
	v_mul_f32_e32 v8, s36, v8
	v_fma_f32 v8, -v5, v8, v21
	s_delay_alu instid0(VALU_DEP_1)
	v_mul_f32_e32 v21, v18, v8
	v_mov_b32_e32 v8, v6
	global_store_b32 v[19:20], v21, off
	s_and_not1_b32 exec_lo, exec_lo, s25
	s_cbranch_execnz .LBB47_46
	s_branch .LBB47_2
.LBB47_47:
	s_endpgm
	.section	.rodata,"a",@progbits
	.p2align	6, 0x0
	.amdhsa_kernel _ZN2at6native12_GLOBAL__N_118cuComputeGradInputIffLb0EEEvPKT_S5_llPKT0_S8_S5_PS3_
		.amdhsa_group_segment_fixed_size 0
		.amdhsa_private_segment_fixed_size 0
		.amdhsa_kernarg_size 320
		.amdhsa_user_sgpr_count 14
		.amdhsa_user_sgpr_dispatch_ptr 0
		.amdhsa_user_sgpr_queue_ptr 0
		.amdhsa_user_sgpr_kernarg_segment_ptr 1
		.amdhsa_user_sgpr_dispatch_id 0
		.amdhsa_user_sgpr_private_segment_size 0
		.amdhsa_wavefront_size32 1
		.amdhsa_uses_dynamic_stack 0
		.amdhsa_enable_private_segment 0
		.amdhsa_system_sgpr_workgroup_id_x 1
		.amdhsa_system_sgpr_workgroup_id_y 1
		.amdhsa_system_sgpr_workgroup_id_z 0
		.amdhsa_system_sgpr_workgroup_info 0
		.amdhsa_system_vgpr_workitem_id 1
		.amdhsa_next_free_vgpr 25
		.amdhsa_next_free_sgpr 42
		.amdhsa_reserve_vcc 1
		.amdhsa_float_round_mode_32 0
		.amdhsa_float_round_mode_16_64 0
		.amdhsa_float_denorm_mode_32 3
		.amdhsa_float_denorm_mode_16_64 3
		.amdhsa_dx10_clamp 1
		.amdhsa_ieee_mode 1
		.amdhsa_fp16_overflow 0
		.amdhsa_workgroup_processor_mode 1
		.amdhsa_memory_ordered 1
		.amdhsa_forward_progress 0
		.amdhsa_shared_vgpr_count 0
		.amdhsa_exception_fp_ieee_invalid_op 0
		.amdhsa_exception_fp_denorm_src 0
		.amdhsa_exception_fp_ieee_div_zero 0
		.amdhsa_exception_fp_ieee_overflow 0
		.amdhsa_exception_fp_ieee_underflow 0
		.amdhsa_exception_fp_ieee_inexact 0
		.amdhsa_exception_int_div_zero 0
	.end_amdhsa_kernel
	.section	.text._ZN2at6native12_GLOBAL__N_118cuComputeGradInputIffLb0EEEvPKT_S5_llPKT0_S8_S5_PS3_,"axG",@progbits,_ZN2at6native12_GLOBAL__N_118cuComputeGradInputIffLb0EEEvPKT_S5_llPKT0_S8_S5_PS3_,comdat
.Lfunc_end47:
	.size	_ZN2at6native12_GLOBAL__N_118cuComputeGradInputIffLb0EEEvPKT_S5_llPKT0_S8_S5_PS3_, .Lfunc_end47-_ZN2at6native12_GLOBAL__N_118cuComputeGradInputIffLb0EEEvPKT_S5_llPKT0_S8_S5_PS3_
                                        ; -- End function
	.section	.AMDGPU.csdata,"",@progbits
; Kernel info:
; codeLenInByte = 1832
; NumSgprs: 44
; NumVgprs: 25
; ScratchSize: 0
; MemoryBound: 0
; FloatMode: 240
; IeeeMode: 1
; LDSByteSize: 0 bytes/workgroup (compile time only)
; SGPRBlocks: 5
; VGPRBlocks: 3
; NumSGPRsForWavesPerEU: 44
; NumVGPRsForWavesPerEU: 25
; Occupancy: 16
; WaveLimiterHint : 0
; COMPUTE_PGM_RSRC2:SCRATCH_EN: 0
; COMPUTE_PGM_RSRC2:USER_SGPR: 14
; COMPUTE_PGM_RSRC2:TRAP_HANDLER: 0
; COMPUTE_PGM_RSRC2:TGID_X_EN: 1
; COMPUTE_PGM_RSRC2:TGID_Y_EN: 1
; COMPUTE_PGM_RSRC2:TGID_Z_EN: 0
; COMPUTE_PGM_RSRC2:TIDIG_COMP_CNT: 1
	.section	.text._ZN2at6native12_GLOBAL__N_128layer_norm_grad_input_kernelIffLb0EEEvPKT_S5_PKT0_S8_S5_PS3_i,"axG",@progbits,_ZN2at6native12_GLOBAL__N_128layer_norm_grad_input_kernelIffLb0EEEvPKT_S5_PKT0_S8_S5_PS3_i,comdat
	.globl	_ZN2at6native12_GLOBAL__N_128layer_norm_grad_input_kernelIffLb0EEEvPKT_S5_PKT0_S8_S5_PS3_i ; -- Begin function _ZN2at6native12_GLOBAL__N_128layer_norm_grad_input_kernelIffLb0EEEvPKT_S5_PKT0_S8_S5_PS3_i
	.p2align	8
	.type	_ZN2at6native12_GLOBAL__N_128layer_norm_grad_input_kernelIffLb0EEEvPKT_S5_PKT0_S8_S5_PS3_i,@function
_ZN2at6native12_GLOBAL__N_128layer_norm_grad_input_kernelIffLb0EEEvPKT_S5_PKT0_S8_S5_PS3_i: ; @_ZN2at6native12_GLOBAL__N_128layer_norm_grad_input_kernelIffLb0EEEvPKT_S5_PKT0_S8_S5_PS3_i
; %bb.0:
	s_clause 0x2
	s_load_b32 s14, s[0:1], 0x30
	s_load_b256 s[4:11], s[0:1], 0x0
	s_load_b64 s[12:13], s[0:1], 0x20
	s_mov_b32 s2, s15
	s_mov_b32 s3, 0
	v_dual_mov_b32 v10, 0 :: v_dual_lshlrev_b32 v1, 2, v0
	s_lshl_b64 s[16:17], s[2:3], 2
	v_mov_b32_e32 v9, 0
	s_delay_alu instid0(VALU_DEP_2) | instskip(SKIP_4) | instid1(SALU_CYCLE_1)
	v_or_b32_e32 v2, 3, v1
	s_waitcnt lgkmcnt(0)
	s_ashr_i32 s15, s14, 31
	s_mul_hi_u32 s18, s14, s2
	s_mul_i32 s15, s15, s2
	s_add_i32 s19, s18, s15
	s_add_u32 s8, s8, s16
	s_addc_u32 s9, s9, s17
	s_add_u32 s16, s10, s16
	s_addc_u32 s17, s11, s17
	s_load_b32 s10, s[8:9], 0x0
	s_load_b32 s11, s[16:17], 0x0
	s_mul_i32 s18, s14, s2
	s_mov_b32 s2, exec_lo
	s_lshl_b64 s[8:9], s[18:19], 2
	s_delay_alu instid0(SALU_CYCLE_1)
	s_add_u32 s15, s6, s8
	s_addc_u32 s16, s7, s9
	s_add_u32 s17, s4, s8
	s_addc_u32 s18, s5, s9
	v_cmpx_gt_u32_e64 s14, v2
	s_cbranch_execz .LBB48_12
; %bb.1:
	s_load_b32 s20, s[0:1], 0x44
	s_cmp_lg_u64 s[12:13], 0
	v_dual_mov_b32 v10, 0 :: v_dual_mov_b32 v9, 0
	s_cselect_b32 s19, -1, 0
	v_mov_b32_e32 v2, 0
	s_waitcnt lgkmcnt(0)
	s_and_b32 s20, s20, 0xffff
	s_delay_alu instid0(SALU_CYCLE_1)
	s_lshl_b32 s20, s20, 2
	s_add_u32 s21, s12, 4
	s_addc_u32 s22, s13, 0
	s_add_u32 s23, s12, 8
	s_addc_u32 s24, s13, 0
	;; [unrolled: 2-line block ×3, first 2 shown]
	s_branch .LBB48_3
.LBB48_2:                               ;   in Loop: Header=BB48_3 Depth=1
	global_load_b32 v5, v[5:6], off offset:12
	global_load_b32 v3, v[3:4], off offset:12
	s_waitcnt vmcnt(4)
	v_dual_mul_f32 v4, v12, v13 :: v_dual_mul_f32 v7, v11, v16
	v_subrev_f32_e32 v6, s10, v15
	v_dual_subrev_f32 v8, s10, v19 :: v_dual_add_nc_u32 v1, s20, v1
	s_delay_alu instid0(VALU_DEP_1) | instskip(SKIP_1) | instid1(VALU_DEP_1)
	v_dual_mul_f32 v4, v6, v4 :: v_dual_mul_f32 v7, v8, v7
	s_waitcnt vmcnt(2)
	v_dual_mul_f32 v6, v17, v18 :: v_dual_fmac_f32 v9, s11, v4
	v_fmac_f32_e32 v10, v12, v13
	s_delay_alu instid0(VALU_DEP_2) | instskip(SKIP_1) | instid1(VALU_DEP_1)
	v_dual_subrev_f32 v12, s10, v20 :: v_dual_fmac_f32 v9, s11, v7
	v_add_nc_u32_e32 v7, 3, v1
	v_cmp_le_u32_e32 vcc_lo, s14, v7
	s_or_b32 s3, vcc_lo, s3
	s_waitcnt vmcnt(0)
	v_dual_subrev_f32 v3, s10, v3 :: v_dual_mul_f32 v4, v12, v6
	s_delay_alu instid0(VALU_DEP_1) | instskip(NEXT) | instid1(VALU_DEP_1)
	v_dual_mul_f32 v6, v14, v5 :: v_dual_fmac_f32 v9, s11, v4
	v_mul_f32_e32 v3, v3, v6
	s_delay_alu instid0(VALU_DEP_1) | instskip(NEXT) | instid1(VALU_DEP_1)
	v_dual_fmac_f32 v10, v11, v16 :: v_dual_fmac_f32 v9, s11, v3
	v_fmac_f32_e32 v10, v17, v18
	s_delay_alu instid0(VALU_DEP_1)
	v_fmac_f32_e32 v10, v14, v5
	s_and_not1_b32 exec_lo, exec_lo, s3
	s_cbranch_execz .LBB48_11
.LBB48_3:                               ; =>This Inner Loop Header: Depth=1
	v_lshlrev_b64 v[7:8], 2, v[1:2]
	v_dual_mov_b32 v11, 1.0 :: v_dual_mov_b32 v12, 1.0
	s_and_b32 vcc_lo, exec_lo, s19
	s_cbranch_vccz .LBB48_5
; %bb.4:                                ;   in Loop: Header=BB48_3 Depth=1
	s_delay_alu instid0(VALU_DEP_2) | instskip(NEXT) | instid1(VALU_DEP_3)
	v_add_co_u32 v3, vcc_lo, s12, v7
	v_add_co_ci_u32_e32 v4, vcc_lo, s13, v8, vcc_lo
	global_load_b32 v12, v[3:4], off
.LBB48_5:                               ;   in Loop: Header=BB48_3 Depth=1
	s_delay_alu instid0(VALU_DEP_2) | instskip(NEXT) | instid1(VALU_DEP_3)
	v_add_co_u32 v3, vcc_lo, s15, v7
	v_add_co_ci_u32_e32 v4, vcc_lo, s16, v8, vcc_lo
	v_add_co_u32 v5, vcc_lo, s17, v7
	v_add_co_ci_u32_e32 v6, vcc_lo, s18, v8, vcc_lo
	s_and_not1_b32 vcc_lo, exec_lo, s19
	global_load_b32 v15, v[3:4], off
	global_load_b32 v13, v[5:6], off
	s_cbranch_vccnz .LBB48_7
; %bb.6:                                ;   in Loop: Header=BB48_3 Depth=1
	v_add_co_u32 v16, vcc_lo, s21, v7
	v_add_co_ci_u32_e32 v17, vcc_lo, s22, v8, vcc_lo
	global_load_b32 v11, v[16:17], off
.LBB48_7:                               ;   in Loop: Header=BB48_3 Depth=1
	global_load_b32 v19, v[3:4], off offset:4
	global_load_b32 v16, v[5:6], off offset:4
	v_dual_mov_b32 v14, 1.0 :: v_dual_mov_b32 v17, 1.0
	s_and_not1_b32 vcc_lo, exec_lo, s19
	s_cbranch_vccnz .LBB48_9
; %bb.8:                                ;   in Loop: Header=BB48_3 Depth=1
	v_add_co_u32 v17, vcc_lo, s23, v7
	v_add_co_ci_u32_e32 v18, vcc_lo, s24, v8, vcc_lo
	global_load_b32 v17, v[17:18], off
.LBB48_9:                               ;   in Loop: Header=BB48_3 Depth=1
	global_load_b32 v20, v[3:4], off offset:8
	global_load_b32 v18, v[5:6], off offset:8
	s_and_not1_b32 vcc_lo, exec_lo, s19
	s_cbranch_vccnz .LBB48_2
; %bb.10:                               ;   in Loop: Header=BB48_3 Depth=1
	v_add_co_u32 v7, vcc_lo, s25, v7
	v_add_co_ci_u32_e32 v8, vcc_lo, s26, v8, vcc_lo
	global_load_b32 v14, v[7:8], off
	s_branch .LBB48_2
.LBB48_11:
	s_or_b32 exec_lo, exec_lo, s3
.LBB48_12:
	s_delay_alu instid0(SALU_CYCLE_1) | instskip(NEXT) | instid1(SALU_CYCLE_1)
	s_or_b32 exec_lo, exec_lo, s2
	s_mov_b32 s3, exec_lo
	v_cmpx_gt_u32_e64 s14, v1
	s_cbranch_execz .LBB48_19
; %bb.13:
	v_mov_b32_e32 v2, 0
	s_cmp_lg_u64 s[12:13], 0
	s_delay_alu instid0(VALU_DEP_1) | instskip(NEXT) | instid1(VALU_DEP_1)
	v_lshlrev_b64 v[2:3], 2, v[1:2]
	v_add_co_u32 v6, vcc_lo, s8, v2
	s_delay_alu instid0(VALU_DEP_2) | instskip(SKIP_2) | instid1(VALU_DEP_4)
	v_add_co_ci_u32_e32 v7, vcc_lo, s9, v3, vcc_lo
	v_add_co_u32 v2, vcc_lo, s12, v2
	v_add_co_ci_u32_e32 v3, vcc_lo, s13, v3, vcc_lo
	v_add_co_u32 v4, vcc_lo, s6, v6
	s_delay_alu instid0(VALU_DEP_4)
	v_add_co_ci_u32_e32 v5, vcc_lo, s7, v7, vcc_lo
	v_add_co_u32 v6, vcc_lo, s4, v6
	v_add_co_ci_u32_e32 v7, vcc_lo, s5, v7, vcc_lo
	s_cselect_b32 s4, -1, 0
	s_mov_b32 s5, 0
	s_set_inst_prefetch_distance 0x1
	s_branch .LBB48_16
	.p2align	6
.LBB48_14:                              ;   in Loop: Header=BB48_16 Depth=1
	global_load_b32 v8, v[2:3], off
.LBB48_15:                              ;   in Loop: Header=BB48_16 Depth=1
	global_load_b32 v11, v[6:7], off
	global_load_b32 v12, v[4:5], off
	v_add_nc_u32_e32 v1, 1, v1
	v_add_co_u32 v2, vcc_lo, v2, 4
	v_add_co_ci_u32_e32 v3, vcc_lo, 0, v3, vcc_lo
	v_add_co_u32 v4, vcc_lo, v4, 4
	v_add_co_ci_u32_e32 v5, vcc_lo, 0, v5, vcc_lo
	v_add_co_u32 v6, s2, v6, 4
	s_delay_alu instid0(VALU_DEP_1) | instskip(SKIP_3) | instid1(VALU_DEP_2)
	v_add_co_ci_u32_e64 v7, s2, 0, v7, s2
	s_waitcnt vmcnt(0) lgkmcnt(0)
	v_dual_mul_f32 v13, v8, v11 :: v_dual_subrev_f32 v12, s10, v12
	v_cmp_le_u32_e32 vcc_lo, s14, v1
	v_mul_f32_e32 v12, v12, v13
	v_fmac_f32_e32 v10, v8, v11
	s_or_b32 s5, vcc_lo, s5
	s_delay_alu instid0(VALU_DEP_2)
	v_fmac_f32_e32 v9, s11, v12
	s_and_not1_b32 exec_lo, exec_lo, s5
	s_cbranch_execz .LBB48_18
.LBB48_16:                              ; =>This Inner Loop Header: Depth=1
	s_and_not1_b32 vcc_lo, exec_lo, s4
	s_cbranch_vccz .LBB48_14
; %bb.17:                               ;   in Loop: Header=BB48_16 Depth=1
	v_mov_b32_e32 v8, 1.0
	s_branch .LBB48_15
.LBB48_18:
	s_set_inst_prefetch_distance 0x2
	s_or_b32 exec_lo, exec_lo, s5
.LBB48_19:
	s_delay_alu instid0(SALU_CYCLE_1)
	s_or_b32 exec_lo, exec_lo, s3
	v_mbcnt_lo_u32_b32 v1, -1, 0
	s_waitcnt lgkmcnt(0)
	s_barrier
	buffer_gl0_inv
	v_cmp_gt_u32_e32 vcc_lo, 16, v1
	v_cndmask_b32_e64 v2, 0, 1, vcc_lo
	v_cmp_gt_u32_e32 vcc_lo, 24, v1
	s_delay_alu instid0(VALU_DEP_2) | instskip(SKIP_2) | instid1(VALU_DEP_3)
	v_lshlrev_b32_e32 v2, 4, v2
	v_cndmask_b32_e64 v4, 0, 1, vcc_lo
	v_cmp_gt_u32_e32 vcc_lo, 28, v1
	v_add_lshl_u32 v3, v2, v1, 2
	s_delay_alu instid0(VALU_DEP_3)
	v_lshlrev_b32_e32 v4, 3, v4
	v_cndmask_b32_e64 v5, 0, 1, vcc_lo
	v_cmp_gt_u32_e32 vcc_lo, 30, v1
	ds_bpermute_b32 v2, v3, v10
	v_add_lshl_u32 v4, v4, v1, 2
	v_lshlrev_b32_e32 v5, 2, v5
	s_delay_alu instid0(VALU_DEP_1)
	v_add_lshl_u32 v5, v5, v1, 2
	s_waitcnt lgkmcnt(0)
	v_add_f32_e32 v2, v10, v2
	ds_bpermute_b32 v6, v4, v2
	s_waitcnt lgkmcnt(0)
	v_add_f32_e32 v2, v2, v6
	v_cndmask_b32_e64 v6, 0, 1, vcc_lo
	v_cmp_ne_u32_e32 vcc_lo, 31, v1
	ds_bpermute_b32 v7, v5, v2
	v_lshlrev_b32_e32 v6, 1, v6
	v_add_co_ci_u32_e32 v8, vcc_lo, 0, v1, vcc_lo
	s_delay_alu instid0(VALU_DEP_2)
	v_add_lshl_u32 v6, v6, v1, 2
	s_waitcnt lgkmcnt(0)
	v_add_f32_e32 v2, v2, v7
	ds_bpermute_b32 v7, v6, v2
	s_waitcnt lgkmcnt(0)
	v_add_f32_e32 v1, v2, v7
	v_lshlrev_b32_e32 v7, 2, v8
	v_and_b32_e32 v8, 31, v0
	v_lshrrev_b32_e32 v2, 3, v0
	ds_bpermute_b32 v10, v7, v1
	v_cmp_eq_u32_e32 vcc_lo, 0, v8
	s_and_saveexec_b32 s2, vcc_lo
	s_cbranch_execz .LBB48_21
; %bb.20:
	v_add_nc_u32_e32 v11, 0, v2
	s_waitcnt lgkmcnt(0)
	v_add_f32_e32 v1, v1, v10
	ds_store_b32 v11, v1
.LBB48_21:
	s_or_b32 exec_lo, exec_lo, s2
	s_waitcnt lgkmcnt(0)
	s_barrier
	buffer_gl0_inv
	s_load_b32 s4, s[0:1], 0x44
	v_mov_b32_e32 v1, 0
	v_lshl_add_u32 v8, v8, 2, 0
	s_waitcnt lgkmcnt(0)
	s_bfe_u32 s2, s4, 0xb0005
	s_delay_alu instid0(SALU_CYCLE_1) | instskip(NEXT) | instid1(VALU_DEP_1)
	v_cmp_gt_u32_e64 s2, s2, v0
	s_and_saveexec_b32 s3, s2
	s_cbranch_execz .LBB48_23
; %bb.22:
	ds_load_b32 v1, v8
.LBB48_23:
	s_or_b32 exec_lo, exec_lo, s3
	v_cmp_gt_u32_e64 s3, 32, v0
	s_delay_alu instid0(VALU_DEP_1)
	s_and_saveexec_b32 s5, s3
	s_cbranch_execz .LBB48_25
; %bb.24:
	s_waitcnt lgkmcnt(0)
	ds_bpermute_b32 v10, v3, v1
	s_waitcnt lgkmcnt(0)
	v_add_f32_e32 v1, v1, v10
	ds_bpermute_b32 v10, v4, v1
	s_waitcnt lgkmcnt(0)
	v_add_f32_e32 v1, v1, v10
	;; [unrolled: 3-line block ×5, first 2 shown]
.LBB48_25:
	s_or_b32 exec_lo, exec_lo, s5
	ds_bpermute_b32 v10, v3, v9
	s_waitcnt lgkmcnt(0)
	s_barrier
	buffer_gl0_inv
	v_add_f32_e32 v9, v9, v10
	ds_bpermute_b32 v10, v4, v9
	s_waitcnt lgkmcnt(0)
	v_add_f32_e32 v9, v9, v10
	ds_bpermute_b32 v10, v5, v9
	s_waitcnt lgkmcnt(0)
	;; [unrolled: 3-line block ×3, first 2 shown]
	v_add_f32_e32 v9, v9, v10
	ds_bpermute_b32 v10, v7, v9
	s_and_saveexec_b32 s5, vcc_lo
	s_cbranch_execz .LBB48_27
; %bb.26:
	v_add_nc_u32_e32 v2, 0, v2
	s_waitcnt lgkmcnt(0)
	v_add_f32_e32 v9, v9, v10
	ds_store_b32 v2, v9
.LBB48_27:
	s_or_b32 exec_lo, exec_lo, s5
	v_mov_b32_e32 v2, 0
	s_waitcnt lgkmcnt(0)
	s_barrier
	buffer_gl0_inv
	s_and_saveexec_b32 s5, s2
	s_cbranch_execz .LBB48_29
; %bb.28:
	ds_load_b32 v2, v8
.LBB48_29:
	s_or_b32 exec_lo, exec_lo, s5
	s_and_saveexec_b32 s2, s3
	s_cbranch_execz .LBB48_31
; %bb.30:
	s_waitcnt lgkmcnt(0)
	ds_bpermute_b32 v3, v3, v2
	s_waitcnt lgkmcnt(0)
	v_add_f32_e32 v2, v2, v3
	ds_bpermute_b32 v3, v4, v2
	s_waitcnt lgkmcnt(0)
	v_add_f32_e32 v2, v2, v3
	;; [unrolled: 3-line block ×5, first 2 shown]
.LBB48_31:
	s_or_b32 exec_lo, exec_lo, s2
	s_delay_alu instid0(SALU_CYCLE_1)
	s_mov_b32 s2, exec_lo
	v_cmpx_eq_u32_e32 0, v0
	s_cbranch_execz .LBB48_33
; %bb.32:
	v_mov_b32_e32 v3, 0
	s_waitcnt lgkmcnt(0)
	ds_store_b64 v3, v[1:2]
.LBB48_33:
	s_or_b32 exec_lo, exec_lo, s2
	s_waitcnt lgkmcnt(0)
	s_barrier
	buffer_gl0_inv
	s_mov_b32 s2, exec_lo
	v_cmpx_gt_i32_e64 s14, v0
	s_cbranch_execz .LBB48_39
; %bb.34:
	v_cvt_f32_i32_e32 v6, s14
	s_load_b64 s[2:3], s[0:1], 0x28
	s_and_b32 s1, s4, 0xffff
	s_mov_b32 s5, 0
	s_delay_alu instid0(VALU_DEP_1) | instskip(SKIP_1) | instid1(VALU_DEP_2)
	v_div_scale_f32 v1, null, v6, v6, 1.0
	v_div_scale_f32 v3, vcc_lo, 1.0, v6, 1.0
	v_rcp_f32_e32 v4, v1
	s_waitcnt_depctr 0xfff
	v_fma_f32 v2, -v1, v4, 1.0
	s_waitcnt lgkmcnt(0)
	s_add_u32 s2, s2, s8
	s_addc_u32 s3, s3, s9
	s_cmp_lg_u64 s[12:13], 0
	s_cselect_b32 s4, -1, 0
	v_fmac_f32_e32 v4, v2, v4
	s_delay_alu instid0(VALU_DEP_1) | instskip(NEXT) | instid1(VALU_DEP_1)
	v_mul_f32_e32 v5, v3, v4
	v_fma_f32 v2, -v1, v5, v3
	s_delay_alu instid0(VALU_DEP_1) | instskip(NEXT) | instid1(VALU_DEP_1)
	v_dual_fmac_f32 v5, v2, v4 :: v_dual_mov_b32 v2, 0
	v_fma_f32 v1, -v1, v5, v3
	ds_load_b64 v[2:3], v2
	v_div_fmas_f32 v1, v1, v4, v5
	s_delay_alu instid0(VALU_DEP_1) | instskip(NEXT) | instid1(VALU_DEP_1)
	v_div_fixup_f32 v1, v1, v6, 1.0
	v_mul_f32_e32 v7, s11, v1
	s_set_inst_prefetch_distance 0x1
	s_branch .LBB48_37
	.p2align	6
.LBB48_35:                              ;   in Loop: Header=BB48_37 Depth=1
	v_add_co_u32 v9, vcc_lo, s12, v4
	v_add_co_ci_u32_e32 v10, vcc_lo, s13, v5, vcc_lo
	global_load_b32 v9, v[9:10], off
.LBB48_36:                              ;   in Loop: Header=BB48_37 Depth=1
	s_waitcnt vmcnt(0)
	s_delay_alu instid0(VALU_DEP_1) | instskip(SKIP_1) | instid1(VALU_DEP_1)
	v_dual_subrev_f32 v8, s10, v8 :: v_dual_mul_f32 v9, v9, v6
	v_add_co_u32 v4, s0, s2, v4
	v_add_co_ci_u32_e64 v5, s0, s3, v5, s0
	s_delay_alu instid0(VALU_DEP_3) | instskip(SKIP_1) | instid1(VALU_DEP_1)
	v_mul_f32_e32 v8, s11, v8
	s_waitcnt lgkmcnt(0)
	v_mul_f32_e32 v8, v3, v8
	s_delay_alu instid0(VALU_DEP_1) | instskip(NEXT) | instid1(VALU_DEP_1)
	v_fma_f32 v1, v1, v9, -v8
	v_dual_sub_f32 v1, v1, v2 :: v_dual_add_nc_u32 v0, s1, v0
	s_delay_alu instid0(VALU_DEP_1) | instskip(NEXT) | instid1(VALU_DEP_2)
	v_mul_f32_e32 v1, v7, v1
	v_cmp_le_i32_e32 vcc_lo, s14, v0
	global_store_b32 v[4:5], v1, off
	s_or_b32 s5, vcc_lo, s5
	s_delay_alu instid0(SALU_CYCLE_1)
	s_and_not1_b32 exec_lo, exec_lo, s5
	s_cbranch_execz .LBB48_39
.LBB48_37:                              ; =>This Inner Loop Header: Depth=1
	v_ashrrev_i32_e32 v1, 31, v0
	s_delay_alu instid0(VALU_DEP_1) | instskip(NEXT) | instid1(VALU_DEP_1)
	v_lshlrev_b64 v[4:5], 2, v[0:1]
	v_add_co_u32 v8, vcc_lo, s15, v4
	s_delay_alu instid0(VALU_DEP_2)
	v_add_co_ci_u32_e32 v9, vcc_lo, s16, v5, vcc_lo
	v_add_co_u32 v10, vcc_lo, s17, v4
	v_add_co_ci_u32_e32 v11, vcc_lo, s18, v5, vcc_lo
	s_and_not1_b32 vcc_lo, exec_lo, s4
	global_load_b32 v8, v[8:9], off
	global_load_b32 v1, v[10:11], off
	s_cbranch_vccz .LBB48_35
; %bb.38:                               ;   in Loop: Header=BB48_37 Depth=1
	v_mov_b32_e32 v9, 1.0
	s_branch .LBB48_36
.LBB48_39:
	s_set_inst_prefetch_distance 0x2
	s_nop 0
	s_sendmsg sendmsg(MSG_DEALLOC_VGPRS)
	s_endpgm
	.section	.rodata,"a",@progbits
	.p2align	6, 0x0
	.amdhsa_kernel _ZN2at6native12_GLOBAL__N_128layer_norm_grad_input_kernelIffLb0EEEvPKT_S5_PKT0_S8_S5_PS3_i
		.amdhsa_group_segment_fixed_size 0
		.amdhsa_private_segment_fixed_size 0
		.amdhsa_kernarg_size 312
		.amdhsa_user_sgpr_count 15
		.amdhsa_user_sgpr_dispatch_ptr 0
		.amdhsa_user_sgpr_queue_ptr 0
		.amdhsa_user_sgpr_kernarg_segment_ptr 1
		.amdhsa_user_sgpr_dispatch_id 0
		.amdhsa_user_sgpr_private_segment_size 0
		.amdhsa_wavefront_size32 1
		.amdhsa_uses_dynamic_stack 0
		.amdhsa_enable_private_segment 0
		.amdhsa_system_sgpr_workgroup_id_x 1
		.amdhsa_system_sgpr_workgroup_id_y 0
		.amdhsa_system_sgpr_workgroup_id_z 0
		.amdhsa_system_sgpr_workgroup_info 0
		.amdhsa_system_vgpr_workitem_id 0
		.amdhsa_next_free_vgpr 21
		.amdhsa_next_free_sgpr 27
		.amdhsa_reserve_vcc 1
		.amdhsa_float_round_mode_32 0
		.amdhsa_float_round_mode_16_64 0
		.amdhsa_float_denorm_mode_32 3
		.amdhsa_float_denorm_mode_16_64 3
		.amdhsa_dx10_clamp 1
		.amdhsa_ieee_mode 1
		.amdhsa_fp16_overflow 0
		.amdhsa_workgroup_processor_mode 1
		.amdhsa_memory_ordered 1
		.amdhsa_forward_progress 0
		.amdhsa_shared_vgpr_count 0
		.amdhsa_exception_fp_ieee_invalid_op 0
		.amdhsa_exception_fp_denorm_src 0
		.amdhsa_exception_fp_ieee_div_zero 0
		.amdhsa_exception_fp_ieee_overflow 0
		.amdhsa_exception_fp_ieee_underflow 0
		.amdhsa_exception_fp_ieee_inexact 0
		.amdhsa_exception_int_div_zero 0
	.end_amdhsa_kernel
	.section	.text._ZN2at6native12_GLOBAL__N_128layer_norm_grad_input_kernelIffLb0EEEvPKT_S5_PKT0_S8_S5_PS3_i,"axG",@progbits,_ZN2at6native12_GLOBAL__N_128layer_norm_grad_input_kernelIffLb0EEEvPKT_S5_PKT0_S8_S5_PS3_i,comdat
.Lfunc_end48:
	.size	_ZN2at6native12_GLOBAL__N_128layer_norm_grad_input_kernelIffLb0EEEvPKT_S5_PKT0_S8_S5_PS3_i, .Lfunc_end48-_ZN2at6native12_GLOBAL__N_128layer_norm_grad_input_kernelIffLb0EEEvPKT_S5_PKT0_S8_S5_PS3_i
                                        ; -- End function
	.section	.AMDGPU.csdata,"",@progbits
; Kernel info:
; codeLenInByte = 2020
; NumSgprs: 29
; NumVgprs: 21
; ScratchSize: 0
; MemoryBound: 0
; FloatMode: 240
; IeeeMode: 1
; LDSByteSize: 0 bytes/workgroup (compile time only)
; SGPRBlocks: 3
; VGPRBlocks: 2
; NumSGPRsForWavesPerEU: 29
; NumVGPRsForWavesPerEU: 21
; Occupancy: 16
; WaveLimiterHint : 0
; COMPUTE_PGM_RSRC2:SCRATCH_EN: 0
; COMPUTE_PGM_RSRC2:USER_SGPR: 15
; COMPUTE_PGM_RSRC2:TRAP_HANDLER: 0
; COMPUTE_PGM_RSRC2:TGID_X_EN: 1
; COMPUTE_PGM_RSRC2:TGID_Y_EN: 0
; COMPUTE_PGM_RSRC2:TGID_Z_EN: 0
; COMPUTE_PGM_RSRC2:TIDIG_COMP_CNT: 0
	.section	.text._ZN2at6native12_GLOBAL__N_133GammaBetaBackwardSimpleCUDAKernelIffLb0EEEvllPKT_S5_PKT0_S8_PS3_S9_,"axG",@progbits,_ZN2at6native12_GLOBAL__N_133GammaBetaBackwardSimpleCUDAKernelIffLb0EEEvllPKT_S5_PKT0_S8_PS3_S9_,comdat
	.globl	_ZN2at6native12_GLOBAL__N_133GammaBetaBackwardSimpleCUDAKernelIffLb0EEEvllPKT_S5_PKT0_S8_PS3_S9_ ; -- Begin function _ZN2at6native12_GLOBAL__N_133GammaBetaBackwardSimpleCUDAKernelIffLb0EEEvllPKT_S5_PKT0_S8_PS3_S9_
	.p2align	8
	.type	_ZN2at6native12_GLOBAL__N_133GammaBetaBackwardSimpleCUDAKernelIffLb0EEEvllPKT_S5_PKT0_S8_PS3_S9_,@function
_ZN2at6native12_GLOBAL__N_133GammaBetaBackwardSimpleCUDAKernelIffLb0EEEvllPKT_S5_PKT0_S8_PS3_S9_: ; @_ZN2at6native12_GLOBAL__N_133GammaBetaBackwardSimpleCUDAKernelIffLb0EEEvllPKT_S5_PKT0_S8_PS3_S9_
; %bb.0:
	s_clause 0x1
	s_load_b32 s2, s[0:1], 0x4c
	s_load_b512 s[16:31], s[0:1], 0x0
	v_mov_b32_e32 v1, 0
	s_waitcnt lgkmcnt(0)
	s_and_b32 s0, s2, 0xffff
	s_delay_alu instid0(VALU_DEP_1) | instid1(SALU_CYCLE_1)
	v_mad_u64_u32 v[2:3], null, s0, s15, v[0:1]
	s_mov_b32 s0, exec_lo
	s_delay_alu instid0(VALU_DEP_1)
	v_cmpx_gt_i64_e64 s[18:19], v[2:3]
	s_cbranch_execz .LBB49_12
; %bb.1:
	v_cmp_lt_i64_e64 s0, s[16:17], 1
	v_lshlrev_b64 v[2:3], 2, v[2:3]
	v_mov_b32_e32 v0, 0
	s_delay_alu instid0(VALU_DEP_3)
	s_and_b32 vcc_lo, exec_lo, s0
	s_cbranch_vccnz .LBB49_8
; %bb.2:
	s_cmp_lg_u64 s[28:29], 0
	s_delay_alu instid0(VALU_DEP_2)
	v_dual_mov_b32 v5, v3 :: v_dual_mov_b32 v0, 0
	v_dual_mov_b32 v1, 0 :: v_dual_mov_b32 v4, v2
	s_cselect_b32 s2, -1, 0
	s_cmp_lg_u64 s[30:31], 0
	s_cselect_b32 s3, -1, 0
	s_lshl_b64 s[0:1], s[18:19], 2
	s_set_inst_prefetch_distance 0x1
	s_branch .LBB49_4
	.p2align	6
.LBB49_3:                               ;   in Loop: Header=BB49_4 Depth=1
	s_add_u32 s16, s16, -1
	s_addc_u32 s17, s17, -1
	v_add_co_u32 v4, vcc_lo, v4, s0
	s_add_u32 s26, s26, 4
	s_waitcnt vmcnt(0)
	v_dual_add_f32 v1, v1, v6 :: v_dual_add_f32 v0, v0, v7
	v_add_co_ci_u32_e32 v5, vcc_lo, s1, v5, vcc_lo
	s_addc_u32 s27, s27, 0
	s_add_u32 s24, s24, 4
	s_addc_u32 s25, s25, 0
	s_cmp_eq_u64 s[16:17], 0
	s_cbranch_scc1 .LBB49_8
.LBB49_4:                               ; =>This Inner Loop Header: Depth=1
	v_mov_b32_e32 v6, 0
	s_and_not1_b32 vcc_lo, exec_lo, s2
	s_cbranch_vccnz .LBB49_6
; %bb.5:                                ;   in Loop: Header=BB49_4 Depth=1
	v_add_co_u32 v6, vcc_lo, s22, v4
	v_add_co_ci_u32_e32 v7, vcc_lo, s23, v5, vcc_lo
	v_add_co_u32 v8, vcc_lo, s20, v4
	v_add_co_ci_u32_e32 v9, vcc_lo, s21, v5, vcc_lo
	global_load_b32 v6, v[6:7], off
	global_load_b32 v7, v[8:9], off
	s_load_b32 s4, s[24:25], 0x0
	s_load_b32 s5, s[26:27], 0x0
	s_waitcnt vmcnt(1) lgkmcnt(0)
	v_subrev_f32_e32 v6, s4, v6
	s_waitcnt vmcnt(0)
	s_delay_alu instid0(VALU_DEP_1) | instskip(NEXT) | instid1(VALU_DEP_1)
	v_mul_f32_e32 v6, v7, v6
	v_mul_f32_e32 v6, s5, v6
.LBB49_6:                               ;   in Loop: Header=BB49_4 Depth=1
	v_mov_b32_e32 v7, 0
	s_and_not1_b32 vcc_lo, exec_lo, s3
	s_cbranch_vccnz .LBB49_3
; %bb.7:                                ;   in Loop: Header=BB49_4 Depth=1
	v_add_co_u32 v7, vcc_lo, s20, v4
	v_add_co_ci_u32_e32 v8, vcc_lo, s21, v5, vcc_lo
	global_load_b32 v7, v[7:8], off
	s_branch .LBB49_3
.LBB49_8:
	s_set_inst_prefetch_distance 0x2
	s_cmp_lg_u64 s[28:29], 0
	s_cbranch_scc0 .LBB49_10
; %bb.9:
	v_add_co_u32 v4, vcc_lo, s28, v2
	v_add_co_ci_u32_e32 v5, vcc_lo, s29, v3, vcc_lo
	global_store_b32 v[4:5], v1, off
.LBB49_10:
	s_cmp_eq_u64 s[30:31], 0
	s_cbranch_scc1 .LBB49_12
; %bb.11:
	v_add_co_u32 v1, vcc_lo, s30, v2
	v_add_co_ci_u32_e32 v2, vcc_lo, s31, v3, vcc_lo
	global_store_b32 v[1:2], v0, off
.LBB49_12:
	s_nop 0
	s_sendmsg sendmsg(MSG_DEALLOC_VGPRS)
	s_endpgm
	.section	.rodata,"a",@progbits
	.p2align	6, 0x0
	.amdhsa_kernel _ZN2at6native12_GLOBAL__N_133GammaBetaBackwardSimpleCUDAKernelIffLb0EEEvllPKT_S5_PKT0_S8_PS3_S9_
		.amdhsa_group_segment_fixed_size 0
		.amdhsa_private_segment_fixed_size 0
		.amdhsa_kernarg_size 320
		.amdhsa_user_sgpr_count 15
		.amdhsa_user_sgpr_dispatch_ptr 0
		.amdhsa_user_sgpr_queue_ptr 0
		.amdhsa_user_sgpr_kernarg_segment_ptr 1
		.amdhsa_user_sgpr_dispatch_id 0
		.amdhsa_user_sgpr_private_segment_size 0
		.amdhsa_wavefront_size32 1
		.amdhsa_uses_dynamic_stack 0
		.amdhsa_enable_private_segment 0
		.amdhsa_system_sgpr_workgroup_id_x 1
		.amdhsa_system_sgpr_workgroup_id_y 0
		.amdhsa_system_sgpr_workgroup_id_z 0
		.amdhsa_system_sgpr_workgroup_info 0
		.amdhsa_system_vgpr_workitem_id 0
		.amdhsa_next_free_vgpr 10
		.amdhsa_next_free_sgpr 32
		.amdhsa_reserve_vcc 1
		.amdhsa_float_round_mode_32 0
		.amdhsa_float_round_mode_16_64 0
		.amdhsa_float_denorm_mode_32 3
		.amdhsa_float_denorm_mode_16_64 3
		.amdhsa_dx10_clamp 1
		.amdhsa_ieee_mode 1
		.amdhsa_fp16_overflow 0
		.amdhsa_workgroup_processor_mode 1
		.amdhsa_memory_ordered 1
		.amdhsa_forward_progress 0
		.amdhsa_shared_vgpr_count 0
		.amdhsa_exception_fp_ieee_invalid_op 0
		.amdhsa_exception_fp_denorm_src 0
		.amdhsa_exception_fp_ieee_div_zero 0
		.amdhsa_exception_fp_ieee_overflow 0
		.amdhsa_exception_fp_ieee_underflow 0
		.amdhsa_exception_fp_ieee_inexact 0
		.amdhsa_exception_int_div_zero 0
	.end_amdhsa_kernel
	.section	.text._ZN2at6native12_GLOBAL__N_133GammaBetaBackwardSimpleCUDAKernelIffLb0EEEvllPKT_S5_PKT0_S8_PS3_S9_,"axG",@progbits,_ZN2at6native12_GLOBAL__N_133GammaBetaBackwardSimpleCUDAKernelIffLb0EEEvllPKT_S5_PKT0_S8_PS3_S9_,comdat
.Lfunc_end49:
	.size	_ZN2at6native12_GLOBAL__N_133GammaBetaBackwardSimpleCUDAKernelIffLb0EEEvllPKT_S5_PKT0_S8_PS3_S9_, .Lfunc_end49-_ZN2at6native12_GLOBAL__N_133GammaBetaBackwardSimpleCUDAKernelIffLb0EEEvllPKT_S5_PKT0_S8_PS3_S9_
                                        ; -- End function
	.section	.AMDGPU.csdata,"",@progbits
; Kernel info:
; codeLenInByte = 404
; NumSgprs: 34
; NumVgprs: 10
; ScratchSize: 0
; MemoryBound: 0
; FloatMode: 240
; IeeeMode: 1
; LDSByteSize: 0 bytes/workgroup (compile time only)
; SGPRBlocks: 4
; VGPRBlocks: 1
; NumSGPRsForWavesPerEU: 34
; NumVGPRsForWavesPerEU: 10
; Occupancy: 16
; WaveLimiterHint : 0
; COMPUTE_PGM_RSRC2:SCRATCH_EN: 0
; COMPUTE_PGM_RSRC2:USER_SGPR: 15
; COMPUTE_PGM_RSRC2:TRAP_HANDLER: 0
; COMPUTE_PGM_RSRC2:TGID_X_EN: 1
; COMPUTE_PGM_RSRC2:TGID_Y_EN: 0
; COMPUTE_PGM_RSRC2:TGID_Z_EN: 0
; COMPUTE_PGM_RSRC2:TIDIG_COMP_CNT: 0
	.section	.text._ZN2at6native12_GLOBAL__N_135GammaBetaBackwardCUDAKernelTemplateIffLj64ELj1ELj32ELb1ELb1ELb0EEEvllPKT_S5_PKT0_S8_PS3_S9_,"axG",@progbits,_ZN2at6native12_GLOBAL__N_135GammaBetaBackwardCUDAKernelTemplateIffLj64ELj1ELj32ELb1ELb1ELb0EEEvllPKT_S5_PKT0_S8_PS3_S9_,comdat
	.globl	_ZN2at6native12_GLOBAL__N_135GammaBetaBackwardCUDAKernelTemplateIffLj64ELj1ELj32ELb1ELb1ELb0EEEvllPKT_S5_PKT0_S8_PS3_S9_ ; -- Begin function _ZN2at6native12_GLOBAL__N_135GammaBetaBackwardCUDAKernelTemplateIffLj64ELj1ELj32ELb1ELb1ELb0EEEvllPKT_S5_PKT0_S8_PS3_S9_
	.p2align	8
	.type	_ZN2at6native12_GLOBAL__N_135GammaBetaBackwardCUDAKernelTemplateIffLj64ELj1ELj32ELb1ELb1ELb0EEEvllPKT_S5_PKT0_S8_PS3_S9_,@function
_ZN2at6native12_GLOBAL__N_135GammaBetaBackwardCUDAKernelTemplateIffLj64ELj1ELj32ELb1ELb1ELb0EEEvllPKT_S5_PKT0_S8_PS3_S9_: ; @_ZN2at6native12_GLOBAL__N_135GammaBetaBackwardCUDAKernelTemplateIffLj64ELj1ELj32ELb1ELb1ELb0EEEvllPKT_S5_PKT0_S8_PS3_S9_
; %bb.0:
	s_load_b128 s[16:19], s[0:1], 0x0
	s_mov_b32 s13, 0
	s_lshl_b32 s12, s15, 5
	v_bfe_u32 v6, v0, 10, 10
	s_mov_b32 s2, s15
	s_waitcnt lgkmcnt(0)
	v_cmp_lt_i64_e64 s3, s[12:13], s[16:17]
	s_delay_alu instid0(VALU_DEP_1)
	s_and_b32 vcc_lo, exec_lo, s3
	s_cbranch_vccnz .LBB50_2
; %bb.1:
	v_bfe_u32 v1, v0, 10, 10
	s_add_u32 s24, s0, 64
	s_addc_u32 s25, s1, 0
	s_mov_b32 s4, 0
	s_mov_b32 s3, s13
	s_branch .LBB50_3
.LBB50_2:
	s_mov_b32 s3, -1
                                        ; implicit-def: $sgpr4
                                        ; implicit-def: $sgpr24_sgpr25
                                        ; implicit-def: $vgpr1
.LBB50_3:
	s_load_b128 s[20:23], s[0:1], 0x30
	v_dual_mov_b32 v43, s4 :: v_dual_mov_b32 v26, s4
	v_and_b32_e32 v7, 0x3ff, v0
	s_and_not1_b32 vcc_lo, exec_lo, s3
	s_cbranch_vccnz .LBB50_9
; %bb.4:
	s_clause 0x2
	s_load_b32 s3, s[0:1], 0x4c
	s_load_b32 s15, s[0:1], 0x44
	s_load_b256 s[4:11], s[0:1], 0x10
	v_dual_mov_b32 v1, 0 :: v_dual_lshlrev_b32 v2, 5, v6
	s_add_u32 s24, s0, 64
	s_addc_u32 s25, s1, 0
	v_lshl_add_u32 v0, s14, 6, v7
	v_dual_mov_b32 v8, 4 :: v_dual_mov_b32 v9, 8
	v_dual_mov_b32 v10, 12 :: v_dual_mov_b32 v11, 16
	s_delay_alu instid0(VALU_DEP_3)
	v_lshlrev_b64 v[40:41], 2, v[0:1]
	v_dual_mov_b32 v12, 20 :: v_dual_mov_b32 v13, 24
	v_dual_mov_b32 v14, 28 :: v_dual_mov_b32 v15, 32
	;; [unrolled: 1-line block ×4, first 2 shown]
	s_waitcnt lgkmcnt(0)
	s_and_b32 s0, s3, 0xffff
	s_lshl_b32 s26, s15, 5
	v_mad_u32_u24 v3, v6, s0, v7
	v_add_co_u32 v42, s0, v2, s12
	s_delay_alu instid0(VALU_DEP_1) | instskip(NEXT) | instid1(VALU_DEP_3)
	v_add_co_ci_u32_e64 v43, null, 0, 0, s0
	v_dual_mov_b32 v25, 0x48 :: v_dual_and_b32 v26, 31, v3
	s_delay_alu instid0(VALU_DEP_3) | instskip(NEXT) | instid1(VALU_DEP_3)
	v_mul_lo_u32 v4, s19, v42
	v_mul_lo_u32 v5, s18, v43
	v_mad_u64_u32 v[2:3], null, s18, v42, 0
	s_mul_i32 s0, s19, s26
	s_mul_hi_u32 s1, s18, s26
	v_dual_mov_b32 v20, 52 :: v_dual_mov_b32 v21, 56
	v_dual_mov_b32 v22, 60 :: v_dual_mov_b32 v23, 64
	s_delay_alu instid0(VALU_DEP_3)
	v_add3_u32 v3, v3, v5, v4
	v_mov_b32_e32 v24, 0x44
	v_mov_b32_e32 v27, 0x4c
	;; [unrolled: 1-line block ×4, first 2 shown]
	v_lshlrev_b64 v[4:5], 2, v[2:3]
	v_add_co_u32 v2, vcc_lo, v42, v26
	v_mov_b32_e32 v26, 0
	v_add_co_ci_u32_e32 v3, vcc_lo, 0, v43, vcc_lo
	s_delay_alu instid0(VALU_DEP_4) | instskip(SKIP_1) | instid1(VALU_DEP_3)
	v_add_co_u32 v0, vcc_lo, v4, v40
	v_add_co_ci_u32_e32 v40, vcc_lo, v5, v41, vcc_lo
	v_lshlrev_b64 v[4:5], 2, v[2:3]
	v_mov_b32_e32 v30, 0x58
	v_mov_b32_e32 v31, 0x5c
	;; [unrolled: 1-line block ×11, first 2 shown]
	s_mov_b32 s27, 0
	s_add_i32 s1, s1, s0
	s_mul_i32 s0, s18, s26
	s_lshl_b64 s[28:29], s[26:27], 2
	s_lshl_b64 s[0:1], s[0:1], 2
	;; [unrolled: 1-line block ×3, first 2 shown]
	s_branch .LBB50_6
.LBB50_5:                               ;   in Loop: Header=BB50_6 Depth=1
	s_or_b32 exec_lo, exec_lo, s3
	v_add_co_u32 v44, vcc_lo, s6, v0
	v_add_co_ci_u32_e32 v45, vcc_lo, s7, v40, vcc_lo
	v_add_co_u32 v47, vcc_lo, s4, v0
	v_add_co_ci_u32_e32 v48, vcc_lo, s5, v40, vcc_lo
	global_load_b32 v46, v[44:45], off
	v_add_co_u32 v44, vcc_lo, v44, s30
	v_add_co_ci_u32_e32 v45, vcc_lo, s31, v45, vcc_lo
	v_add_co_u32 v50, vcc_lo, v47, s30
	v_add_co_ci_u32_e32 v51, vcc_lo, s31, v48, vcc_lo
	s_delay_alu instid0(VALU_DEP_4) | instskip(NEXT) | instid1(VALU_DEP_4)
	v_add_co_u32 v52, vcc_lo, v44, s30
	v_add_co_ci_u32_e32 v53, vcc_lo, s31, v45, vcc_lo
	s_delay_alu instid0(VALU_DEP_4) | instskip(NEXT) | instid1(VALU_DEP_4)
	v_add_co_u32 v54, vcc_lo, v50, s30
	v_add_co_ci_u32_e32 v55, vcc_lo, s31, v51, vcc_lo
	global_load_b32 v47, v[47:48], off
	global_load_b32 v49, v[44:45], off
	;; [unrolled: 1-line block ×5, first 2 shown]
	v_add_co_u32 v50, vcc_lo, v52, s30
	v_add_co_ci_u32_e32 v51, vcc_lo, s31, v53, vcc_lo
	v_add_co_u32 v52, vcc_lo, v54, s30
	v_add_co_ci_u32_e32 v53, vcc_lo, s31, v55, vcc_lo
	global_load_b32 v54, v[50:51], off
	v_add_co_u32 v55, vcc_lo, v52, s30
	v_add_co_ci_u32_e32 v56, vcc_lo, s31, v53, vcc_lo
	v_add_co_u32 v57, vcc_lo, v50, s30
	v_add_co_ci_u32_e32 v58, vcc_lo, s31, v51, vcc_lo
	s_delay_alu instid0(VALU_DEP_4) | instskip(NEXT) | instid1(VALU_DEP_4)
	v_add_co_u32 v59, vcc_lo, v55, s30
	v_add_co_ci_u32_e32 v60, vcc_lo, s31, v56, vcc_lo
	s_delay_alu instid0(VALU_DEP_4) | instskip(NEXT) | instid1(VALU_DEP_4)
	v_add_co_u32 v61, vcc_lo, v57, s30
	v_add_co_ci_u32_e32 v62, vcc_lo, s31, v58, vcc_lo
	s_clause 0x1
	global_load_b32 v51, v[52:53], off
	global_load_b32 v50, v[55:56], off
	global_load_b32 v55, v[57:58], off
	global_load_b32 v52, v[59:60], off
	global_load_b32 v56, v[61:62], off
	v_add_co_u32 v57, vcc_lo, v59, s30
	v_add_co_ci_u32_e32 v58, vcc_lo, s31, v60, vcc_lo
	v_add_co_u32 v59, vcc_lo, v61, s30
	v_add_co_ci_u32_e32 v60, vcc_lo, s31, v62, vcc_lo
	global_load_b32 v53, v[57:58], off
	v_add_co_u32 v57, vcc_lo, v57, s30
	v_add_co_ci_u32_e32 v58, vcc_lo, s31, v58, vcc_lo
	v_add_co_u32 v62, vcc_lo, v59, s30
	v_add_co_ci_u32_e32 v63, vcc_lo, s31, v60, vcc_lo
	s_delay_alu instid0(VALU_DEP_4) | instskip(NEXT) | instid1(VALU_DEP_4)
	v_add_co_u32 v64, vcc_lo, v57, s30
	v_add_co_ci_u32_e32 v65, vcc_lo, s31, v58, vcc_lo
	s_delay_alu instid0(VALU_DEP_4) | instskip(NEXT) | instid1(VALU_DEP_4)
	v_add_co_u32 v66, vcc_lo, v62, s30
	v_add_co_ci_u32_e32 v67, vcc_lo, s31, v63, vcc_lo
	global_load_b32 v61, v[59:60], off
	global_load_b32 v57, v[57:58], off
	global_load_b32 v60, v[62:63], off
	global_load_b32 v58, v[64:65], off
	global_load_b32 v62, v[66:67], off
	v_add_co_u32 v63, vcc_lo, v64, s30
	v_add_co_ci_u32_e32 v64, vcc_lo, s31, v65, vcc_lo
	v_add_co_u32 v65, vcc_lo, v66, s30
	v_add_co_ci_u32_e32 v66, vcc_lo, s31, v67, vcc_lo
	global_load_b32 v59, v[63:64], off
	v_add_co_u32 v63, vcc_lo, v63, s30
	v_add_co_ci_u32_e32 v64, vcc_lo, s31, v64, vcc_lo
	v_add_co_u32 v67, vcc_lo, v65, s30
	v_add_co_ci_u32_e32 v68, vcc_lo, s31, v66, vcc_lo
	s_delay_alu instid0(VALU_DEP_4) | instskip(NEXT) | instid1(VALU_DEP_4)
	v_add_co_u32 v72, vcc_lo, v63, s30
	v_add_co_ci_u32_e32 v73, vcc_lo, s31, v64, vcc_lo
	s_delay_alu instid0(VALU_DEP_4) | instskip(NEXT) | instid1(VALU_DEP_4)
	v_add_co_u32 v74, vcc_lo, v67, s30
	v_add_co_ci_u32_e32 v75, vcc_lo, s31, v68, vcc_lo
	;; [unrolled: 20-line block ×4, first 2 shown]
	global_load_b32 v80, v[78:79], off
	global_load_b32 v73, v[72:73], off
	;; [unrolled: 1-line block ×3, first 2 shown]
	v_add_co_u32 v81, vcc_lo, v83, s30
	v_add_co_ci_u32_e32 v82, vcc_lo, s31, v84, vcc_lo
	global_load_b32 v74, v[83:84], off
	global_load_b32 v79, v[85:86], off
	v_add_co_u32 v83, vcc_lo, v85, s30
	v_add_co_ci_u32_e32 v84, vcc_lo, s31, v86, vcc_lo
	v_add_co_u32 v85, vcc_lo, v81, s30
	v_add_co_ci_u32_e32 v86, vcc_lo, s31, v82, vcc_lo
	global_load_b32 v72, v[81:82], off
	v_add_co_u32 v81, vcc_lo, v83, s30
	v_add_co_ci_u32_e32 v82, vcc_lo, s31, v84, vcc_lo
	global_load_b32 v87, v[83:84], off
	;; [unrolled: 3-line block ×7, first 2 shown]
	v_add_co_u32 v81, vcc_lo, v83, s30
	global_load_b32 v94, v[85:86], off
	v_add_co_ci_u32_e32 v82, vcc_lo, s31, v84, vcc_lo
	global_load_b32 v93, v[83:84], off
	v_add_co_u32 v83, vcc_lo, v85, s30
	v_add_co_ci_u32_e32 v84, vcc_lo, s31, v86, vcc_lo
	v_add_co_u32 v85, vcc_lo, v81, s30
	v_add_co_ci_u32_e32 v86, vcc_lo, s31, v82, vcc_lo
	global_load_b32 v96, v[83:84], off
	global_load_b32 v95, v[81:82], off
	v_add_co_u32 v81, vcc_lo, v83, s30
	v_add_co_ci_u32_e32 v82, vcc_lo, s31, v84, vcc_lo
	v_add_co_u32 v83, vcc_lo, v85, s30
	v_add_co_ci_u32_e32 v84, vcc_lo, s31, v86, vcc_lo
	global_load_b32 v97, v[85:86], off
	v_add_co_u32 v85, vcc_lo, v81, s30
	v_add_co_ci_u32_e32 v86, vcc_lo, s31, v82, vcc_lo
	global_load_b32 v98, v[81:82], off
	v_add_co_u32 v81, vcc_lo, v83, s30
	global_load_b32 v100, v[85:86], off
	v_add_co_ci_u32_e32 v82, vcc_lo, s31, v84, vcc_lo
	global_load_b32 v99, v[83:84], off
	v_add_co_u32 v83, vcc_lo, v85, s30
	v_add_co_ci_u32_e32 v84, vcc_lo, s31, v86, vcc_lo
	v_add_co_u32 v85, vcc_lo, v81, s30
	v_add_co_ci_u32_e32 v86, vcc_lo, s31, v82, vcc_lo
	global_load_b32 v101, v[81:82], off
	v_add_co_u32 v81, vcc_lo, v83, s30
	v_add_co_ci_u32_e32 v82, vcc_lo, s31, v84, vcc_lo
	global_load_b32 v102, v[83:84], off
	;; [unrolled: 3-line block ×11, first 2 shown]
	global_load_b32 v83, v[83:84], off
	global_load_b32 v81, v[81:82], off
	s_waitcnt vmcnt(62)
	ds_bpermute_b32 v82, v1, v42
	ds_bpermute_b32 v84, v8, v42
	;; [unrolled: 1-line block ×8, first 2 shown]
	v_add_co_u32 v0, vcc_lo, v0, s0
	s_add_u32 s12, s12, s26
	v_add_co_ci_u32_e32 v40, vcc_lo, s1, v40, vcc_lo
	s_addc_u32 s13, s13, 0
	v_add_co_u32 v4, vcc_lo, v4, s28
	v_cmp_lt_i64_e64 s3, s[12:13], s[16:17]
	v_add_co_ci_u32_e32 v5, vcc_lo, s29, v5, vcc_lo
	v_add_co_u32 v2, vcc_lo, v2, s26
	v_add_co_ci_u32_e32 v3, vcc_lo, 0, v3, vcc_lo
	s_delay_alu instid0(VALU_DEP_4)
	s_and_b32 vcc_lo, exec_lo, s3
	s_waitcnt lgkmcnt(7)
	v_sub_f32_e32 v46, v46, v82
	ds_bpermute_b32 v82, v9, v41
	v_add_f32_e32 v43, v43, v47
	s_waitcnt vmcnt(61) lgkmcnt(7)
	v_dual_sub_f32 v49, v49, v84 :: v_dual_mul_f32 v46, v47, v46
	ds_bpermute_b32 v84, v10, v41
	s_waitcnt vmcnt(60) lgkmcnt(7)
	v_dual_add_f32 v43, v43, v45 :: v_dual_fmac_f32 v26, v46, v86
	ds_bpermute_b32 v86, v13, v42
	s_waitcnt vmcnt(59) lgkmcnt(7)
	v_sub_f32_e32 v48, v48, v111
	s_waitcnt vmcnt(58)
	v_dual_mul_f32 v46, v45, v49 :: v_dual_add_f32 v43, v43, v44
	ds_bpermute_b32 v49, v11, v41
	ds_bpermute_b32 v111, v14, v42
	s_waitcnt vmcnt(56) lgkmcnt(8)
	v_dual_fmac_f32 v26, v46, v112 :: v_dual_add_f32 v43, v43, v51
	s_waitcnt vmcnt(55)
	s_delay_alu instid0(VALU_DEP_1) | instskip(SKIP_1) | instid1(VALU_DEP_1)
	v_add_f32_e32 v43, v43, v50
	s_waitcnt vmcnt(53)
	v_add_f32_e32 v43, v43, v52
	s_waitcnt vmcnt(51)
	s_delay_alu instid0(VALU_DEP_1)
	v_add_f32_e32 v43, v43, v53
	s_waitcnt vmcnt(50) lgkmcnt(2)
	v_dual_sub_f32 v47, v61, v86 :: v_dual_mul_f32 v46, v44, v48
	v_sub_f32_e32 v48, v54, v113
	ds_bpermute_b32 v54, v12, v41
	s_waitcnt vmcnt(49)
	v_add_f32_e32 v43, v43, v57
	v_mul_f32_e32 v45, v53, v47
	ds_bpermute_b32 v47, v17, v42
	v_fmac_f32_e32 v26, v46, v82
	v_mul_f32_e32 v46, v51, v48
	ds_bpermute_b32 v82, v15, v42
	s_waitcnt vmcnt(47)
	v_add_f32_e32 v43, v43, v58
	s_waitcnt vmcnt(45)
	s_delay_alu instid0(VALU_DEP_1) | instskip(SKIP_1) | instid1(VALU_DEP_1)
	v_add_f32_e32 v43, v43, v59
	s_waitcnt vmcnt(43)
	v_add_f32_e32 v43, v43, v63
	s_waitcnt vmcnt(42) lgkmcnt(1)
	v_dual_sub_f32 v47, v68, v47 :: v_dual_fmac_f32 v26, v46, v84
	ds_bpermute_b32 v84, v16, v42
	v_sub_f32_e32 v48, v55, v114
	ds_bpermute_b32 v55, v13, v41
	s_waitcnt vmcnt(41)
	v_add_f32_e32 v43, v43, v64
	s_waitcnt vmcnt(39)
	s_delay_alu instid0(VALU_DEP_1)
	v_add_f32_e32 v43, v43, v65
	s_waitcnt lgkmcnt(1)
	v_sub_f32_e32 v51, v70, v84
	v_mul_f32_e32 v46, v50, v48
	ds_bpermute_b32 v50, v19, v42
	s_waitcnt vmcnt(37)
	v_dual_add_f32 v43, v43, v66 :: v_dual_fmac_f32 v26, v46, v49
	ds_bpermute_b32 v49, v18, v42
	v_sub_f32_e32 v48, v56, v115
	ds_bpermute_b32 v56, v14, v41
	s_waitcnt vmcnt(35)
	v_dual_add_f32 v43, v43, v67 :: v_dual_mul_f32 v46, v52, v48
	ds_bpermute_b32 v48, v15, v41
	ds_bpermute_b32 v52, v37, v41
	s_waitcnt vmcnt(33)
	v_dual_add_f32 v43, v43, v69 :: v_dual_fmac_f32 v26, v46, v54
	v_sub_f32_e32 v46, v60, v111
	s_waitcnt lgkmcnt(5)
	s_delay_alu instid0(VALU_DEP_2) | instskip(NEXT) | instid1(VALU_DEP_2)
	v_fmac_f32_e32 v26, v45, v55
	v_mul_f32_e32 v44, v57, v46
	ds_bpermute_b32 v45, v16, v41
	v_sub_f32_e32 v46, v62, v82
	s_waitcnt lgkmcnt(3)
	v_fmac_f32_e32 v26, v44, v56
	s_delay_alu instid0(VALU_DEP_2)
	v_mul_f32_e32 v44, v58, v46
	ds_bpermute_b32 v46, v17, v41
	s_waitcnt vmcnt(31) lgkmcnt(3)
	v_dual_add_f32 v43, v43, v73 :: v_dual_fmac_f32 v26, v44, v48
	v_mul_f32_e32 v44, v59, v51
	ds_bpermute_b32 v48, v18, v41
	ds_bpermute_b32 v51, v20, v42
	s_waitcnt vmcnt(29) lgkmcnt(3)
	v_dual_add_f32 v43, v43, v74 :: v_dual_fmac_f32 v26, v44, v45
	v_mul_f32_e32 v44, v63, v47
	ds_bpermute_b32 v45, v19, v41
	v_sub_f32_e32 v47, v71, v49
	ds_bpermute_b32 v49, v21, v42
	s_waitcnt vmcnt(27) lgkmcnt(4)
	v_dual_add_f32 v43, v43, v72 :: v_dual_fmac_f32 v26, v44, v46
	ds_bpermute_b32 v44, v20, v41
	v_dual_mul_f32 v46, v64, v47 :: v_dual_sub_f32 v47, v77, v50
	ds_bpermute_b32 v50, v22, v42
	s_waitcnt vmcnt(25)
	v_add_f32_e32 v43, v43, v88
	s_waitcnt lgkmcnt(5)
	v_fmac_f32_e32 v26, v46, v48
	v_mul_f32_e32 v46, v65, v47
	ds_bpermute_b32 v47, v21, v41
	s_waitcnt lgkmcnt(5)
	v_sub_f32_e32 v48, v75, v51
	ds_bpermute_b32 v51, v23, v42
	s_waitcnt lgkmcnt(5)
	v_fmac_f32_e32 v26, v46, v45
	v_mul_f32_e32 v45, v66, v48
	ds_bpermute_b32 v46, v22, v41
	s_waitcnt lgkmcnt(5)
	v_sub_f32_e32 v48, v76, v49
	ds_bpermute_b32 v49, v24, v42
	s_waitcnt vmcnt(23) lgkmcnt(5)
	v_dual_add_f32 v43, v43, v90 :: v_dual_fmac_f32 v26, v45, v44
	ds_bpermute_b32 v44, v23, v41
	s_waitcnt lgkmcnt(5)
	v_dual_mul_f32 v45, v67, v48 :: v_dual_sub_f32 v48, v80, v50
	s_waitcnt vmcnt(21)
	v_add_f32_e32 v43, v43, v92
	ds_bpermute_b32 v50, v25, v42
	s_waitcnt lgkmcnt(5)
	v_fmac_f32_e32 v26, v45, v47
	ds_bpermute_b32 v45, v24, v41
	s_waitcnt lgkmcnt(5)
	v_dual_mul_f32 v47, v69, v48 :: v_dual_sub_f32 v48, v78, v51
	s_waitcnt vmcnt(20)
	v_add_f32_e32 v43, v43, v94
	ds_bpermute_b32 v51, v27, v42
	s_waitcnt lgkmcnt(5)
	v_fmac_f32_e32 v26, v47, v46
	ds_bpermute_b32 v46, v25, v41
	s_waitcnt lgkmcnt(5)
	v_dual_mul_f32 v47, v73, v48 :: v_dual_sub_f32 v48, v79, v49
	ds_bpermute_b32 v49, v28, v42
	s_waitcnt vmcnt(18)
	v_add_f32_e32 v43, v43, v96
	s_waitcnt lgkmcnt(5)
	v_fmac_f32_e32 v26, v47, v44
	ds_bpermute_b32 v44, v27, v41
	s_waitcnt lgkmcnt(5)
	v_dual_mul_f32 v47, v74, v48 :: v_dual_sub_f32 v48, v87, v50
	ds_bpermute_b32 v50, v29, v42
	s_waitcnt lgkmcnt(5)
	v_fmac_f32_e32 v26, v47, v45
	ds_bpermute_b32 v45, v28, v41
	s_waitcnt lgkmcnt(5)
	v_dual_mul_f32 v47, v72, v48 :: v_dual_sub_f32 v48, v89, v51
	ds_bpermute_b32 v51, v30, v42
	s_waitcnt vmcnt(15)
	v_add_f32_e32 v43, v43, v98
	s_waitcnt lgkmcnt(5)
	v_fmac_f32_e32 v26, v47, v46
	ds_bpermute_b32 v46, v29, v41
	s_waitcnt lgkmcnt(5)
	v_dual_mul_f32 v47, v88, v48 :: v_dual_sub_f32 v48, v91, v49
	ds_bpermute_b32 v49, v31, v42
	s_waitcnt vmcnt(14)
	v_add_f32_e32 v43, v43, v100
	s_waitcnt lgkmcnt(5)
	v_fmac_f32_e32 v26, v47, v44
	ds_bpermute_b32 v44, v30, v41
	s_waitcnt lgkmcnt(5)
	v_dual_mul_f32 v47, v90, v48 :: v_dual_sub_f32 v48, v93, v50
	ds_bpermute_b32 v50, v32, v42
	s_waitcnt lgkmcnt(5)
	v_fmac_f32_e32 v26, v47, v45
	ds_bpermute_b32 v45, v31, v41
	s_waitcnt lgkmcnt(5)
	v_dual_mul_f32 v47, v92, v48 :: v_dual_sub_f32 v48, v95, v51
	ds_bpermute_b32 v51, v33, v42
	s_waitcnt vmcnt(11)
	v_add_f32_e32 v43, v43, v102
	s_waitcnt lgkmcnt(5)
	v_fmac_f32_e32 v26, v47, v46
	ds_bpermute_b32 v46, v32, v41
	s_waitcnt lgkmcnt(5)
	v_dual_mul_f32 v47, v94, v48 :: v_dual_sub_f32 v48, v97, v49
	ds_bpermute_b32 v49, v34, v42
	s_waitcnt vmcnt(9)
	v_add_f32_e32 v43, v43, v104
	s_waitcnt lgkmcnt(5)
	v_fmac_f32_e32 v26, v47, v44
	ds_bpermute_b32 v44, v33, v41
	s_waitcnt lgkmcnt(5)
	v_dual_mul_f32 v47, v96, v48 :: v_dual_sub_f32 v48, v99, v50
	ds_bpermute_b32 v50, v35, v42
	s_waitcnt lgkmcnt(5)
	v_dual_fmac_f32 v26, v47, v45 :: v_dual_mul_f32 v45, v98, v48
	ds_bpermute_b32 v47, v34, v41
	s_waitcnt lgkmcnt(5)
	v_sub_f32_e32 v48, v101, v51
	ds_bpermute_b32 v51, v36, v42
	s_waitcnt vmcnt(7)
	v_add_f32_e32 v43, v43, v106
	s_waitcnt lgkmcnt(5)
	v_dual_fmac_f32 v26, v45, v46 :: v_dual_mul_f32 v45, v100, v48
	ds_bpermute_b32 v46, v35, v41
	s_waitcnt lgkmcnt(5)
	v_sub_f32_e32 v48, v103, v49
	ds_bpermute_b32 v49, v37, v42
	s_waitcnt lgkmcnt(5)
	v_fmac_f32_e32 v26, v45, v44
	ds_bpermute_b32 v44, v36, v41
	v_mul_f32_e32 v45, v102, v48
	ds_bpermute_b32 v48, v38, v42
	s_waitcnt lgkmcnt(6)
	v_sub_f32_e32 v50, v105, v50
	ds_bpermute_b32 v42, v39, v42
	s_waitcnt vmcnt(4) lgkmcnt(6)
	v_dual_add_f32 v43, v43, v109 :: v_dual_fmac_f32 v26, v45, v47
	v_mul_f32_e32 v45, v104, v50
	s_waitcnt lgkmcnt(5)
	v_sub_f32_e32 v47, v107, v51
	ds_bpermute_b32 v50, v38, v41
	ds_bpermute_b32 v41, v39, v41
	s_waitcnt vmcnt(2) lgkmcnt(6)
	v_dual_add_f32 v43, v43, v85 :: v_dual_fmac_f32 v26, v45, v46
	s_waitcnt lgkmcnt(5)
	v_dual_mul_f32 v45, v106, v47 :: v_dual_sub_f32 v46, v108, v49
	s_waitcnt vmcnt(0) lgkmcnt(4)
	s_delay_alu instid0(VALU_DEP_1) | instskip(SKIP_1) | instid1(VALU_DEP_2)
	v_dual_add_f32 v43, v43, v81 :: v_dual_fmac_f32 v26, v45, v44
	s_waitcnt lgkmcnt(3)
	v_dual_mul_f32 v44, v109, v46 :: v_dual_sub_f32 v45, v110, v48
	s_waitcnt lgkmcnt(2)
	v_sub_f32_e32 v42, v83, v42
	s_delay_alu instid0(VALU_DEP_2) | instskip(NEXT) | instid1(VALU_DEP_3)
	v_fmac_f32_e32 v26, v44, v52
	v_mul_f32_e32 v44, v85, v45
	s_delay_alu instid0(VALU_DEP_3) | instskip(SKIP_1) | instid1(VALU_DEP_2)
	v_mul_f32_e32 v42, v81, v42
	s_waitcnt lgkmcnt(1)
	v_fmac_f32_e32 v26, v44, v50
	s_waitcnt lgkmcnt(0)
	s_delay_alu instid0(VALU_DEP_1)
	v_fmac_f32_e32 v26, v42, v41
	s_cbranch_vccz .LBB50_8
.LBB50_6:                               ; =>This Inner Loop Header: Depth=1
	v_dual_mov_b32 v41, 0 :: v_dual_mov_b32 v42, 0
	s_mov_b32 s3, exec_lo
	v_cmpx_gt_i64_e64 s[16:17], v[2:3]
	s_cbranch_execz .LBB50_5
; %bb.7:                                ;   in Loop: Header=BB50_6 Depth=1
	v_add_co_u32 v41, vcc_lo, s8, v4
	v_add_co_ci_u32_e32 v42, vcc_lo, s9, v5, vcc_lo
	v_add_co_u32 v44, vcc_lo, s10, v4
	v_add_co_ci_u32_e32 v45, vcc_lo, s11, v5, vcc_lo
	global_load_b32 v42, v[41:42], off
	global_load_b32 v41, v[44:45], off
	s_branch .LBB50_5
.LBB50_8:
	v_mov_b32_e32 v1, v6
.LBB50_9:
	s_load_b32 s0, s[24:25], 0xc
	v_mov_b32_e32 v2, 0
	s_mov_b32 s15, 0
	s_waitcnt lgkmcnt(0)
	s_lshr_b32 s0, s0, 16
	s_delay_alu instid0(VALU_DEP_1) | instid1(SALU_CYCLE_1)
	v_mad_u64_u32 v[3:4], null, s0, s2, v[1:2]
	s_lshl_b64 s[0:1], s[14:15], 6
	s_cmp_eq_u64 s[20:21], 0
	v_add_co_u32 v0, s0, s0, v7
	s_delay_alu instid0(VALU_DEP_1) | instskip(NEXT) | instid1(VALU_DEP_3)
	v_add_co_ci_u32_e64 v1, null, s1, 0, s0
	v_mul_lo_u32 v2, v4, s18
	s_delay_alu instid0(VALU_DEP_4) | instskip(NEXT) | instid1(VALU_DEP_3)
	v_mul_lo_u32 v4, v3, s19
	v_lshlrev_b64 v[0:1], 2, v[0:1]
	s_cbranch_scc1 .LBB50_11
; %bb.10:
	v_mad_u64_u32 v[5:6], null, v3, s18, 0
	s_delay_alu instid0(VALU_DEP_1) | instskip(NEXT) | instid1(VALU_DEP_1)
	v_add3_u32 v6, v6, v4, v2
	v_lshlrev_b64 v[5:6], 2, v[5:6]
	s_delay_alu instid0(VALU_DEP_1) | instskip(NEXT) | instid1(VALU_DEP_2)
	v_add_co_u32 v5, vcc_lo, s20, v5
	v_add_co_ci_u32_e32 v6, vcc_lo, s21, v6, vcc_lo
	s_delay_alu instid0(VALU_DEP_2) | instskip(NEXT) | instid1(VALU_DEP_2)
	v_add_co_u32 v5, vcc_lo, v5, v0
	v_add_co_ci_u32_e32 v6, vcc_lo, v6, v1, vcc_lo
	global_store_b32 v[5:6], v26, off
.LBB50_11:
	s_cmp_eq_u64 s[22:23], 0
	s_cbranch_scc1 .LBB50_13
; %bb.12:
	v_mad_u64_u32 v[5:6], null, v3, s18, 0
	s_delay_alu instid0(VALU_DEP_1) | instskip(NEXT) | instid1(VALU_DEP_1)
	v_add3_u32 v6, v6, v4, v2
	v_lshlrev_b64 v[2:3], 2, v[5:6]
	s_delay_alu instid0(VALU_DEP_1) | instskip(NEXT) | instid1(VALU_DEP_2)
	v_add_co_u32 v2, vcc_lo, s22, v2
	v_add_co_ci_u32_e32 v3, vcc_lo, s23, v3, vcc_lo
	s_delay_alu instid0(VALU_DEP_2) | instskip(NEXT) | instid1(VALU_DEP_2)
	v_add_co_u32 v0, vcc_lo, v2, v0
	v_add_co_ci_u32_e32 v1, vcc_lo, v3, v1, vcc_lo
	global_store_b32 v[0:1], v43, off
.LBB50_13:
	s_nop 0
	s_sendmsg sendmsg(MSG_DEALLOC_VGPRS)
	s_endpgm
	.section	.rodata,"a",@progbits
	.p2align	6, 0x0
	.amdhsa_kernel _ZN2at6native12_GLOBAL__N_135GammaBetaBackwardCUDAKernelTemplateIffLj64ELj1ELj32ELb1ELb1ELb0EEEvllPKT_S5_PKT0_S8_PS3_S9_
		.amdhsa_group_segment_fixed_size 0
		.amdhsa_private_segment_fixed_size 0
		.amdhsa_kernarg_size 320
		.amdhsa_user_sgpr_count 14
		.amdhsa_user_sgpr_dispatch_ptr 0
		.amdhsa_user_sgpr_queue_ptr 0
		.amdhsa_user_sgpr_kernarg_segment_ptr 1
		.amdhsa_user_sgpr_dispatch_id 0
		.amdhsa_user_sgpr_private_segment_size 0
		.amdhsa_wavefront_size32 1
		.amdhsa_uses_dynamic_stack 0
		.amdhsa_enable_private_segment 0
		.amdhsa_system_sgpr_workgroup_id_x 1
		.amdhsa_system_sgpr_workgroup_id_y 1
		.amdhsa_system_sgpr_workgroup_id_z 0
		.amdhsa_system_sgpr_workgroup_info 0
		.amdhsa_system_vgpr_workitem_id 1
		.amdhsa_next_free_vgpr 116
		.amdhsa_next_free_sgpr 32
		.amdhsa_reserve_vcc 1
		.amdhsa_float_round_mode_32 0
		.amdhsa_float_round_mode_16_64 0
		.amdhsa_float_denorm_mode_32 3
		.amdhsa_float_denorm_mode_16_64 3
		.amdhsa_dx10_clamp 1
		.amdhsa_ieee_mode 1
		.amdhsa_fp16_overflow 0
		.amdhsa_workgroup_processor_mode 1
		.amdhsa_memory_ordered 1
		.amdhsa_forward_progress 0
		.amdhsa_shared_vgpr_count 0
		.amdhsa_exception_fp_ieee_invalid_op 0
		.amdhsa_exception_fp_denorm_src 0
		.amdhsa_exception_fp_ieee_div_zero 0
		.amdhsa_exception_fp_ieee_overflow 0
		.amdhsa_exception_fp_ieee_underflow 0
		.amdhsa_exception_fp_ieee_inexact 0
		.amdhsa_exception_int_div_zero 0
	.end_amdhsa_kernel
	.section	.text._ZN2at6native12_GLOBAL__N_135GammaBetaBackwardCUDAKernelTemplateIffLj64ELj1ELj32ELb1ELb1ELb0EEEvllPKT_S5_PKT0_S8_PS3_S9_,"axG",@progbits,_ZN2at6native12_GLOBAL__N_135GammaBetaBackwardCUDAKernelTemplateIffLj64ELj1ELj32ELb1ELb1ELb0EEEvllPKT_S5_PKT0_S8_PS3_S9_,comdat
.Lfunc_end50:
	.size	_ZN2at6native12_GLOBAL__N_135GammaBetaBackwardCUDAKernelTemplateIffLj64ELj1ELj32ELb1ELb1ELb0EEEvllPKT_S5_PKT0_S8_PS3_S9_, .Lfunc_end50-_ZN2at6native12_GLOBAL__N_135GammaBetaBackwardCUDAKernelTemplateIffLj64ELj1ELj32ELb1ELb1ELb0EEEvllPKT_S5_PKT0_S8_PS3_S9_
                                        ; -- End function
	.section	.AMDGPU.csdata,"",@progbits
; Kernel info:
; codeLenInByte = 3628
; NumSgprs: 34
; NumVgprs: 116
; ScratchSize: 0
; MemoryBound: 0
; FloatMode: 240
; IeeeMode: 1
; LDSByteSize: 0 bytes/workgroup (compile time only)
; SGPRBlocks: 4
; VGPRBlocks: 14
; NumSGPRsForWavesPerEU: 34
; NumVGPRsForWavesPerEU: 116
; Occupancy: 12
; WaveLimiterHint : 0
; COMPUTE_PGM_RSRC2:SCRATCH_EN: 0
; COMPUTE_PGM_RSRC2:USER_SGPR: 14
; COMPUTE_PGM_RSRC2:TRAP_HANDLER: 0
; COMPUTE_PGM_RSRC2:TGID_X_EN: 1
; COMPUTE_PGM_RSRC2:TGID_Y_EN: 1
; COMPUTE_PGM_RSRC2:TGID_Z_EN: 0
; COMPUTE_PGM_RSRC2:TIDIG_COMP_CNT: 1
	.section	.text._ZN2at6native12_GLOBAL__N_135GammaBetaBackwardCUDAKernelTemplateIffLj64ELj1ELj32ELb1ELb0ELb0EEEvllPKT_S5_PKT0_S8_PS3_S9_,"axG",@progbits,_ZN2at6native12_GLOBAL__N_135GammaBetaBackwardCUDAKernelTemplateIffLj64ELj1ELj32ELb1ELb0ELb0EEEvllPKT_S5_PKT0_S8_PS3_S9_,comdat
	.globl	_ZN2at6native12_GLOBAL__N_135GammaBetaBackwardCUDAKernelTemplateIffLj64ELj1ELj32ELb1ELb0ELb0EEEvllPKT_S5_PKT0_S8_PS3_S9_ ; -- Begin function _ZN2at6native12_GLOBAL__N_135GammaBetaBackwardCUDAKernelTemplateIffLj64ELj1ELj32ELb1ELb0ELb0EEEvllPKT_S5_PKT0_S8_PS3_S9_
	.p2align	8
	.type	_ZN2at6native12_GLOBAL__N_135GammaBetaBackwardCUDAKernelTemplateIffLj64ELj1ELj32ELb1ELb0ELb0EEEvllPKT_S5_PKT0_S8_PS3_S9_,@function
_ZN2at6native12_GLOBAL__N_135GammaBetaBackwardCUDAKernelTemplateIffLj64ELj1ELj32ELb1ELb0ELb0EEEvllPKT_S5_PKT0_S8_PS3_S9_: ; @_ZN2at6native12_GLOBAL__N_135GammaBetaBackwardCUDAKernelTemplateIffLj64ELj1ELj32ELb1ELb0ELb0EEEvllPKT_S5_PKT0_S8_PS3_S9_
; %bb.0:
	s_clause 0x1
	s_load_b256 s[16:23], s[0:1], 0x0
	s_load_b128 s[8:11], s[0:1], 0x20
	s_mov_b32 s2, s15
	s_mov_b32 s5, 0
	s_lshl_b32 s6, s2, 5
	s_mov_b32 s7, s5
	s_lshl_b32 s15, s14, 6
	v_mov_b32_e32 v226, v0
	s_or_b32 s4, s15, 63
	s_waitcnt lgkmcnt(0)
	v_cmp_lt_i64_e64 s30, s[6:7], s[16:17]
	v_cmp_ge_i64_e64 s3, s[4:5], s[18:19]
	s_delay_alu instid0(VALU_DEP_2) | instskip(NEXT) | instid1(VALU_DEP_2)
	v_cndmask_b32_e64 v0, 0, 1, s30
	s_and_b32 vcc_lo, exec_lo, s3
	s_delay_alu instid0(VALU_DEP_1)
	v_cmp_ne_u32_e64 s3, 1, v0
	s_cbranch_vccz .LBB51_141
; %bb.1:
	v_mov_b32_e32 v227, 0
	v_mov_b32_e32 v145, 0
	s_delay_alu instid0(VALU_DEP_3)
	s_and_b32 vcc_lo, exec_lo, s3
	s_cbranch_vccnz .LBB51_142
; %bb.2:
	v_bfe_u32 v9, v226, 10, 10
	s_load_b32 s4, s[0:1], 0x44
	v_dual_mov_b32 v2, 0 :: v_dual_and_b32 v11, 0x3ff, v226
	s_add_u32 s12, s0, 64
	s_delay_alu instid0(VALU_DEP_2) | instskip(NEXT) | instid1(VALU_DEP_2)
	v_dual_mov_b32 v139, 0 :: v_dual_lshlrev_b32 v10, 5, v9
	v_dual_mov_b32 v12, v2 :: v_dual_add_nc_u32 v1, s15, v11
	s_addc_u32 s13, s1, 0
	s_delay_alu instid0(VALU_DEP_2) | instskip(NEXT) | instid1(VALU_DEP_1)
	v_add_co_u32 v5, s3, v10, s6
	v_add_co_ci_u32_e64 v6, null, 0, 0, s3
	s_delay_alu instid0(VALU_DEP_3) | instskip(NEXT) | instid1(VALU_DEP_3)
	v_cmp_gt_i64_e64 s3, s[18:19], v[1:2]
	v_add_co_u32 v0, vcc_lo, v5, 31
	s_delay_alu instid0(VALU_DEP_3) | instskip(SKIP_1) | instid1(VALU_DEP_3)
	v_add_co_ci_u32_e32 v3, vcc_lo, 0, v6, vcc_lo
	v_mul_lo_u32 v130, s19, v5
	v_mul_lo_u32 v4, s19, v0
	v_mad_u64_u32 v[7:8], null, s18, v0, 0
	s_delay_alu instid0(VALU_DEP_4) | instskip(SKIP_4) | instid1(VALU_DEP_2)
	v_mul_lo_u32 v3, s18, v3
	v_add_co_u32 v0, vcc_lo, v5, 30
	v_add_co_ci_u32_e32 v13, vcc_lo, 0, v6, vcc_lo
	s_waitcnt lgkmcnt(0)
	s_lshl_b32 s31, s4, 5
	v_mul_lo_u32 v14, s19, v0
	v_mad_u64_u32 v[16:17], null, s18, v0, 0
	v_add3_u32 v8, v8, v3, v4
	v_mul_lo_u32 v15, s18, v13
	v_lshlrev_b64 v[3:4], 2, v[1:2]
	s_mul_i32 s4, s19, s31
	s_mul_hi_u32 s24, s18, s31
	v_lshlrev_b64 v[7:8], 2, v[7:8]
	s_add_i32 s27, s24, s4
	v_mad_u64_u32 v[133:134], null, s18, v5, 0
	s_delay_alu instid0(VALU_DEP_4) | instskip(SKIP_1) | instid1(VALU_DEP_4)
	v_add3_u32 v17, v17, v15, v14
	v_mov_b32_e32 v227, 0
	v_add_co_u32 v1, vcc_lo, s20, v7
	v_add_co_ci_u32_e32 v13, vcc_lo, s21, v8, vcc_lo
	v_add_co_u32 v0, vcc_lo, v5, 29
	v_add_co_u32 v14, s4, s22, v7
	s_delay_alu instid0(VALU_DEP_1)
	v_add_co_ci_u32_e64 v15, s4, s23, v8, s4
	v_lshlrev_b64 v[7:8], 2, v[16:17]
	v_add_co_ci_u32_e32 v16, vcc_lo, 0, v6, vcc_lo
	v_add_co_u32 v17, vcc_lo, v5, 28
	v_add_co_ci_u32_e32 v19, vcc_lo, 0, v6, vcc_lo
	v_mul_lo_u32 v18, s19, v0
	s_delay_alu instid0(VALU_DEP_4)
	v_mul_lo_u32 v24, s18, v16
	v_mad_u64_u32 v[20:21], null, s18, v0, 0
	v_mul_lo_u32 v0, s19, v17
	v_mul_lo_u32 v25, s18, v19
	v_mad_u64_u32 v[22:23], null, s18, v17, 0
	v_add_co_u32 v16, vcc_lo, s20, v7
	v_add_co_ci_u32_e32 v17, vcc_lo, s21, v8, vcc_lo
	v_add3_u32 v21, v21, v24, v18
	v_add_co_u32 v18, vcc_lo, s22, v7
	v_add_co_ci_u32_e32 v19, vcc_lo, s23, v8, vcc_lo
	v_add3_u32 v23, v23, v25, v0
	v_add_co_u32 v0, vcc_lo, v5, 27
	v_add_co_ci_u32_e32 v24, vcc_lo, 0, v6, vcc_lo
	v_lshlrev_b64 v[7:8], 2, v[20:21]
	s_delay_alu instid0(VALU_DEP_3) | instskip(SKIP_1) | instid1(VALU_DEP_4)
	v_mul_lo_u32 v30, s19, v0
	v_mad_u64_u32 v[28:29], null, s18, v0, 0
	v_mul_lo_u32 v31, s18, v24
	v_lshlrev_b64 v[26:27], 2, v[22:23]
	v_add_co_u32 v20, vcc_lo, s20, v7
	v_add_co_ci_u32_e32 v21, vcc_lo, s21, v8, vcc_lo
	v_add_co_u32 v22, vcc_lo, s22, v7
	v_add_co_ci_u32_e32 v23, vcc_lo, s23, v8, vcc_lo
	v_add_co_u32 v24, vcc_lo, s20, v26
	v_add3_u32 v29, v29, v31, v30
	v_add_co_ci_u32_e32 v25, vcc_lo, s21, v27, vcc_lo
	v_add_co_u32 v0, vcc_lo, v5, 26
	s_delay_alu instid0(VALU_DEP_3) | instskip(SKIP_4) | instid1(VALU_DEP_4)
	v_lshlrev_b64 v[7:8], 2, v[28:29]
	v_add_co_ci_u32_e32 v28, vcc_lo, 0, v6, vcc_lo
	v_add_co_u32 v29, vcc_lo, v5, 25
	v_add_co_ci_u32_e32 v31, vcc_lo, 0, v6, vcc_lo
	v_mul_lo_u32 v30, s19, v0
	v_mul_lo_u32 v36, s18, v28
	v_mad_u64_u32 v[32:33], null, s18, v0, 0
	v_mul_lo_u32 v0, s19, v29
	v_mul_lo_u32 v37, s18, v31
	v_mad_u64_u32 v[34:35], null, s18, v29, 0
	v_add_co_u32 v28, vcc_lo, s20, v7
	v_add_co_ci_u32_e32 v29, vcc_lo, s21, v8, vcc_lo
	v_add3_u32 v33, v33, v36, v30
	v_add_co_u32 v30, vcc_lo, s22, v7
	v_add_co_ci_u32_e32 v31, vcc_lo, s23, v8, vcc_lo
	v_add3_u32 v35, v35, v37, v0
	v_add_co_u32 v0, vcc_lo, v5, 24
	v_add_co_ci_u32_e32 v36, vcc_lo, 0, v6, vcc_lo
	v_lshlrev_b64 v[7:8], 2, v[32:33]
	s_delay_alu instid0(VALU_DEP_3) | instskip(SKIP_1) | instid1(VALU_DEP_4)
	v_mul_lo_u32 v42, s19, v0
	v_mad_u64_u32 v[40:41], null, s18, v0, 0
	v_mul_lo_u32 v43, s18, v36
	v_lshlrev_b64 v[38:39], 2, v[34:35]
	v_add_co_u32 v32, vcc_lo, s20, v7
	v_add_co_ci_u32_e32 v33, vcc_lo, s21, v8, vcc_lo
	v_add_co_u32 v34, vcc_lo, s22, v7
	v_add_co_ci_u32_e32 v35, vcc_lo, s23, v8, vcc_lo
	v_add_co_u32 v36, vcc_lo, s20, v38
	v_add3_u32 v41, v41, v43, v42
	v_add_co_ci_u32_e32 v37, vcc_lo, s21, v39, vcc_lo
	v_add_co_u32 v0, vcc_lo, v5, 23
	s_delay_alu instid0(VALU_DEP_3) | instskip(SKIP_4) | instid1(VALU_DEP_4)
	v_lshlrev_b64 v[7:8], 2, v[40:41]
	v_add_co_ci_u32_e32 v40, vcc_lo, 0, v6, vcc_lo
	v_add_co_u32 v41, vcc_lo, v5, 22
	v_add_co_ci_u32_e32 v43, vcc_lo, 0, v6, vcc_lo
	v_mul_lo_u32 v42, s19, v0
	v_mul_lo_u32 v48, s18, v40
	v_mad_u64_u32 v[44:45], null, s18, v0, 0
	v_mul_lo_u32 v0, s19, v41
	v_mul_lo_u32 v49, s18, v43
	v_mad_u64_u32 v[46:47], null, s18, v41, 0
	v_add_co_u32 v40, vcc_lo, s20, v7
	v_add_co_ci_u32_e32 v41, vcc_lo, s21, v8, vcc_lo
	v_add3_u32 v45, v45, v48, v42
	v_add_co_u32 v42, vcc_lo, s22, v7
	v_add_co_ci_u32_e32 v43, vcc_lo, s23, v8, vcc_lo
	v_add3_u32 v47, v47, v49, v0
	v_add_co_u32 v0, vcc_lo, v5, 21
	v_add_co_ci_u32_e32 v48, vcc_lo, 0, v6, vcc_lo
	v_lshlrev_b64 v[7:8], 2, v[44:45]
	s_delay_alu instid0(VALU_DEP_3) | instskip(SKIP_1) | instid1(VALU_DEP_4)
	v_mul_lo_u32 v54, s19, v0
	v_mad_u64_u32 v[52:53], null, s18, v0, 0
	v_mul_lo_u32 v55, s18, v48
	v_lshlrev_b64 v[50:51], 2, v[46:47]
	v_add_co_u32 v44, vcc_lo, s20, v7
	v_add_co_ci_u32_e32 v45, vcc_lo, s21, v8, vcc_lo
	v_add_co_u32 v46, vcc_lo, s22, v7
	v_add_co_ci_u32_e32 v47, vcc_lo, s23, v8, vcc_lo
	v_add_co_u32 v48, vcc_lo, s20, v50
	v_add3_u32 v53, v53, v55, v54
	v_add_co_ci_u32_e32 v49, vcc_lo, s21, v51, vcc_lo
	v_add_co_u32 v0, vcc_lo, v5, 20
	s_delay_alu instid0(VALU_DEP_3) | instskip(SKIP_1) | instid1(VALU_DEP_3)
	v_lshlrev_b64 v[7:8], 2, v[52:53]
	v_add_co_ci_u32_e32 v52, vcc_lo, 0, v6, vcc_lo
	v_mul_lo_u32 v54, s19, v0
	v_mad_u64_u32 v[56:57], null, s18, v0, 0
	s_delay_alu instid0(VALU_DEP_3) | instskip(SKIP_3) | instid1(VALU_DEP_3)
	v_mul_lo_u32 v60, s18, v52
	v_add_co_u32 v53, vcc_lo, v5, 19
	v_add_co_ci_u32_e32 v55, vcc_lo, 0, v6, vcc_lo
	v_add_co_u32 v52, vcc_lo, s20, v7
	v_mul_lo_u32 v0, s19, v53
	v_add3_u32 v57, v57, v60, v54
	s_delay_alu instid0(VALU_DEP_4)
	v_mul_lo_u32 v61, s18, v55
	v_mad_u64_u32 v[58:59], null, s18, v53, 0
	v_add_co_ci_u32_e32 v53, vcc_lo, s21, v8, vcc_lo
	v_add_co_u32 v54, vcc_lo, s22, v7
	v_add_co_ci_u32_e32 v55, vcc_lo, s23, v8, vcc_lo
	v_lshlrev_b64 v[7:8], 2, v[56:57]
	v_add_co_u32 v57, vcc_lo, v5, 18
	v_add_co_ci_u32_e32 v60, vcc_lo, 0, v6, vcc_lo
	v_add3_u32 v59, v59, v61, v0
	s_delay_alu instid0(VALU_DEP_3) | instskip(SKIP_1) | instid1(VALU_DEP_4)
	v_mul_lo_u32 v65, s19, v57
	v_mad_u64_u32 v[63:64], null, s18, v57, 0
	v_mul_lo_u32 v66, s18, v60
	v_add_co_u32 v0, vcc_lo, s20, v7
	v_lshlrev_b64 v[61:62], 2, v[58:59]
	v_add_co_ci_u32_e32 v56, vcc_lo, s21, v8, vcc_lo
	v_add_co_u32 v57, vcc_lo, s22, v7
	v_add_co_ci_u32_e32 v58, vcc_lo, s23, v8, vcc_lo
	s_delay_alu instid0(VALU_DEP_4) | instskip(SKIP_3) | instid1(VALU_DEP_3)
	v_add_co_u32 v59, vcc_lo, s20, v61
	v_add3_u32 v64, v64, v66, v65
	v_add_co_ci_u32_e32 v60, vcc_lo, s21, v62, vcc_lo
	v_add_co_u32 v65, vcc_lo, v5, 17
	v_lshlrev_b64 v[7:8], 2, v[63:64]
	v_add_co_ci_u32_e32 v63, vcc_lo, 0, v6, vcc_lo
	v_add_co_u32 v64, vcc_lo, v5, 16
	v_add_co_ci_u32_e32 v69, vcc_lo, 0, v6, vcc_lo
	v_mul_lo_u32 v66, s19, v65
	s_delay_alu instid0(VALU_DEP_4)
	v_mul_lo_u32 v71, s18, v63
	v_mad_u64_u32 v[67:68], null, s18, v65, 0
	v_mul_lo_u32 v72, s19, v64
	v_mul_lo_u32 v73, s18, v69
	v_mad_u64_u32 v[69:70], null, s18, v64, 0
	v_add_co_u32 v63, vcc_lo, s20, v7
	v_add_co_ci_u32_e32 v64, vcc_lo, s21, v8, vcc_lo
	v_add_co_u32 v65, vcc_lo, s22, v7
	v_add3_u32 v68, v68, v71, v66
	v_add_co_ci_u32_e32 v66, vcc_lo, s23, v8, vcc_lo
	v_add_co_u32 v71, vcc_lo, v5, 15
	v_add3_u32 v70, v70, v73, v72
	v_add_co_ci_u32_e32 v72, vcc_lo, 0, v6, vcc_lo
	v_lshlrev_b64 v[7:8], 2, v[67:68]
	s_delay_alu instid0(VALU_DEP_4) | instskip(SKIP_1) | instid1(VALU_DEP_4)
	v_mul_lo_u32 v77, s19, v71
	v_mad_u64_u32 v[75:76], null, s18, v71, 0
	v_mul_lo_u32 v78, s18, v72
	v_lshlrev_b64 v[73:74], 2, v[69:70]
	v_add_co_u32 v67, vcc_lo, s20, v7
	v_add_co_ci_u32_e32 v68, vcc_lo, s21, v8, vcc_lo
	v_add_co_u32 v69, vcc_lo, s22, v7
	v_add_co_ci_u32_e32 v70, vcc_lo, s23, v8, vcc_lo
	v_add_co_u32 v71, vcc_lo, s20, v73
	v_add3_u32 v76, v76, v78, v77
	v_add_co_ci_u32_e32 v72, vcc_lo, s21, v74, vcc_lo
	v_add_co_u32 v77, vcc_lo, v5, 14
	s_delay_alu instid0(VALU_DEP_3) | instskip(SKIP_4) | instid1(VALU_DEP_4)
	v_lshlrev_b64 v[7:8], 2, v[75:76]
	v_add_co_ci_u32_e32 v75, vcc_lo, 0, v6, vcc_lo
	v_add_co_u32 v76, vcc_lo, v5, 13
	v_add_co_ci_u32_e32 v81, vcc_lo, 0, v6, vcc_lo
	v_mul_lo_u32 v78, s19, v77
	v_mul_lo_u32 v83, s18, v75
	v_mad_u64_u32 v[79:80], null, s18, v77, 0
	v_mul_lo_u32 v84, s19, v76
	v_mul_lo_u32 v85, s18, v81
	v_mad_u64_u32 v[81:82], null, s18, v76, 0
	v_add_co_u32 v75, vcc_lo, s20, v7
	v_add_co_ci_u32_e32 v76, vcc_lo, s21, v8, vcc_lo
	v_add_co_u32 v77, vcc_lo, s22, v7
	v_add3_u32 v80, v80, v83, v78
	v_add_co_ci_u32_e32 v78, vcc_lo, s23, v8, vcc_lo
	v_add_co_u32 v83, vcc_lo, v5, 12
	v_add3_u32 v82, v82, v85, v84
	v_add_co_ci_u32_e32 v84, vcc_lo, 0, v6, vcc_lo
	v_lshlrev_b64 v[7:8], 2, v[79:80]
	s_delay_alu instid0(VALU_DEP_4) | instskip(SKIP_1) | instid1(VALU_DEP_4)
	v_mul_lo_u32 v89, s19, v83
	v_mad_u64_u32 v[87:88], null, s18, v83, 0
	v_mul_lo_u32 v90, s18, v84
	v_lshlrev_b64 v[85:86], 2, v[81:82]
	v_add_co_u32 v79, vcc_lo, s20, v7
	v_add_co_ci_u32_e32 v80, vcc_lo, s21, v8, vcc_lo
	v_add_co_u32 v81, vcc_lo, s22, v7
	v_add_co_ci_u32_e32 v82, vcc_lo, s23, v8, vcc_lo
	v_add_co_u32 v83, vcc_lo, s20, v85
	v_add3_u32 v88, v88, v90, v89
	v_add_co_ci_u32_e32 v84, vcc_lo, s21, v86, vcc_lo
	v_add_co_u32 v89, vcc_lo, v5, 11
	s_delay_alu instid0(VALU_DEP_3) | instskip(SKIP_4) | instid1(VALU_DEP_4)
	v_lshlrev_b64 v[7:8], 2, v[87:88]
	v_add_co_ci_u32_e32 v87, vcc_lo, 0, v6, vcc_lo
	v_add_co_u32 v88, vcc_lo, v5, 10
	v_add_co_ci_u32_e32 v93, vcc_lo, 0, v6, vcc_lo
	v_mul_lo_u32 v90, s19, v89
	;; [unrolled: 33-line block ×3, first 2 shown]
	v_mul_lo_u32 v107, s18, v99
	v_mad_u64_u32 v[103:104], null, s18, v101, 0
	v_mul_lo_u32 v108, s19, v100
	v_mul_lo_u32 v109, s18, v105
	v_mad_u64_u32 v[105:106], null, s18, v100, 0
	v_add_co_u32 v99, vcc_lo, s20, v7
	v_add_co_ci_u32_e32 v100, vcc_lo, s21, v8, vcc_lo
	v_add_co_u32 v101, vcc_lo, s22, v7
	v_add3_u32 v104, v104, v107, v102
	v_add_co_ci_u32_e32 v102, vcc_lo, s23, v8, vcc_lo
	v_add_co_u32 v107, vcc_lo, v5, 6
	v_add3_u32 v106, v106, v109, v108
	v_add_co_ci_u32_e32 v108, vcc_lo, 0, v6, vcc_lo
	v_lshlrev_b64 v[7:8], 2, v[103:104]
	s_delay_alu instid0(VALU_DEP_4) | instskip(SKIP_1) | instid1(VALU_DEP_4)
	v_mul_lo_u32 v113, s19, v107
	v_mad_u64_u32 v[111:112], null, s18, v107, 0
	v_mul_lo_u32 v114, s18, v108
	v_lshlrev_b64 v[109:110], 2, v[105:106]
	v_add_co_u32 v103, vcc_lo, s20, v7
	v_add_co_ci_u32_e32 v104, vcc_lo, s21, v8, vcc_lo
	v_add_co_u32 v105, vcc_lo, s22, v7
	v_add_co_ci_u32_e32 v106, vcc_lo, s23, v8, vcc_lo
	v_add_co_u32 v107, vcc_lo, s20, v109
	v_add3_u32 v112, v112, v114, v113
	v_add_co_ci_u32_e32 v108, vcc_lo, s21, v110, vcc_lo
	v_add_co_u32 v113, vcc_lo, v5, 5
	s_delay_alu instid0(VALU_DEP_3) | instskip(SKIP_2) | instid1(VALU_DEP_4)
	v_lshlrev_b64 v[7:8], 2, v[111:112]
	v_add_co_ci_u32_e32 v111, vcc_lo, 0, v6, vcc_lo
	v_add_co_u32 v112, vcc_lo, v5, 4
	v_mul_lo_u32 v114, s19, v113
	s_delay_alu instid0(VALU_DEP_3) | instskip(SKIP_4) | instid1(VALU_DEP_3)
	v_mul_lo_u32 v119, s18, v111
	v_mad_u64_u32 v[115:116], null, s18, v113, 0
	v_add_co_ci_u32_e32 v117, vcc_lo, 0, v6, vcc_lo
	v_mul_lo_u32 v120, s19, v112
	v_add_co_u32 v111, vcc_lo, s20, v7
	v_mul_lo_u32 v121, s18, v117
	v_mad_u64_u32 v[117:118], null, s18, v112, 0
	v_add3_u32 v116, v116, v119, v114
	v_add_co_ci_u32_e32 v112, vcc_lo, s21, v8, vcc_lo
	v_add_co_u32 v113, vcc_lo, s22, v7
	v_add_co_ci_u32_e32 v114, vcc_lo, s23, v8, vcc_lo
	s_delay_alu instid0(VALU_DEP_4) | instskip(SKIP_3) | instid1(VALU_DEP_4)
	v_lshlrev_b64 v[7:8], 2, v[115:116]
	v_add_co_u32 v119, vcc_lo, v5, 3
	v_add3_u32 v118, v118, v121, v120
	v_add_co_ci_u32_e32 v120, vcc_lo, 0, v6, vcc_lo
	v_add_co_u32 v115, vcc_lo, s20, v7
	s_delay_alu instid0(VALU_DEP_3) | instskip(SKIP_1) | instid1(VALU_DEP_4)
	v_lshlrev_b64 v[121:122], 2, v[117:118]
	v_mul_lo_u32 v125, s19, v119
	v_mul_lo_u32 v126, s18, v120
	v_mad_u64_u32 v[123:124], null, s18, v119, 0
	v_add_co_ci_u32_e32 v116, vcc_lo, s21, v8, vcc_lo
	v_add_co_u32 v117, vcc_lo, s22, v7
	v_add_co_ci_u32_e32 v118, vcc_lo, s23, v8, vcc_lo
	v_add_co_u32 v119, vcc_lo, s20, v121
	v_add_co_ci_u32_e32 v120, vcc_lo, s21, v122, vcc_lo
	v_add3_u32 v124, v124, v126, v125
	v_add_co_u32 v125, vcc_lo, v5, 2
	v_add_co_ci_u32_e32 v126, vcc_lo, 0, v6, vcc_lo
	s_delay_alu instid0(VALU_DEP_3) | instskip(NEXT) | instid1(VALU_DEP_3)
	v_lshlrev_b64 v[7:8], 2, v[123:124]
	v_mul_lo_u32 v129, s19, v125
	v_mad_u64_u32 v[127:128], null, s18, v125, 0
	s_delay_alu instid0(VALU_DEP_4)
	v_mul_lo_u32 v126, s18, v126
	v_mul_lo_u32 v6, s18, v6
	v_add_co_u32 v121, vcc_lo, s22, v121
	v_add_co_ci_u32_e32 v122, vcc_lo, s23, v122, vcc_lo
	v_add_co_u32 v123, vcc_lo, s20, v7
	v_add_co_ci_u32_e32 v124, vcc_lo, s21, v8, vcc_lo
	v_add3_u32 v128, v128, v126, v129
	v_add_co_u32 v125, vcc_lo, s22, v7
	v_add3_u32 v134, v134, v6, v130
	v_add_co_ci_u32_e32 v126, vcc_lo, s23, v8, vcc_lo
	v_add_co_u32 v7, vcc_lo, v133, s18
	v_add_co_u32 v26, s4, s22, v26
	v_lshlrev_b64 v[5:6], 2, v[127:128]
	v_add_co_ci_u32_e32 v8, vcc_lo, s19, v134, vcc_lo
	v_add_co_ci_u32_e64 v27, s4, s23, v27, s4
	v_add_co_u32 v38, s4, s22, v38
	s_delay_alu instid0(VALU_DEP_1)
	v_add_co_ci_u32_e64 v39, s4, s23, v39, s4
	v_add_co_u32 v50, s4, s22, v50
	v_add_co_u32 v127, vcc_lo, s20, v5
	v_lshlrev_b64 v[7:8], 2, v[7:8]
	v_add_co_ci_u32_e64 v51, s4, s23, v51, s4
	v_add_co_ci_u32_e32 v128, vcc_lo, s21, v6, vcc_lo
	v_add_co_u32 v61, s4, s22, v61
	v_add_co_u32 v129, vcc_lo, s22, v5
	v_add_co_ci_u32_e64 v62, s4, s23, v62, s4
	v_add_co_ci_u32_e32 v130, vcc_lo, s23, v6, vcc_lo
	v_add_co_u32 v73, s4, s22, v73
	v_add_co_u32 v131, vcc_lo, s20, v7
	v_lshlrev_b64 v[5:6], 2, v[133:134]
	v_add_co_ci_u32_e64 v74, s4, s23, v74, s4
	v_add_co_ci_u32_e32 v132, vcc_lo, s21, v8, vcc_lo
	v_add_co_u32 v85, s4, s22, v85
	v_add_co_u32 v133, vcc_lo, s22, v7
	v_add_co_ci_u32_e64 v86, s4, s23, v86, s4
	v_add_co_ci_u32_e32 v134, vcc_lo, s23, v8, vcc_lo
	v_add_co_u32 v97, s4, s22, v97
	v_add_co_u32 v135, vcc_lo, s20, v5
	;; [unrolled: 4-line block ×3, first 2 shown]
	v_add_co_ci_u32_e64 v110, s4, s23, v110, s4
	v_add_co_ci_u32_e32 v138, vcc_lo, s23, v6, vcc_lo
	s_mul_i32 s26, s18, s31
	s_mov_b64 s[24:25], 31
	s_lshl_b64 s[26:27], s[26:27], 2
	s_mov_b64 s[28:29], s[6:7]
.LBB51_3:                               ; =>This Inner Loop Header: Depth=1
	s_add_u32 s34, s6, s24
	s_addc_u32 s35, 0, s25
	v_add_co_u32 v5, vcc_lo, s6, v10
	v_cmp_ge_i64_e64 s4, s[34:35], s[16:17]
	v_add_co_ci_u32_e32 v6, vcc_lo, 0, v12, vcc_lo
	s_delay_alu instid0(VALU_DEP_2)
	s_and_b32 vcc_lo, exec_lo, s4
	s_cbranch_vccz .LBB51_71
; %bb.4:                                ;   in Loop: Header=BB51_3 Depth=1
	s_load_b32 s4, s[12:13], 0xc
	v_dual_mov_b32 v141, 0 :: v_dual_mov_b32 v140, 0
	v_mov_b32_e32 v142, 0
	s_waitcnt lgkmcnt(0)
	s_and_b32 s4, s4, 0xffff
	s_delay_alu instid0(SALU_CYCLE_1) | instskip(SKIP_1) | instid1(VALU_DEP_1)
	v_mad_u32_u24 v7, v9, s4, v11
	s_mov_b32 s4, exec_lo
	v_and_b32_e32 v7, 31, v7
	s_delay_alu instid0(VALU_DEP_1) | instskip(SKIP_1) | instid1(VALU_DEP_1)
	v_add_co_u32 v7, vcc_lo, v5, v7
	v_add_co_ci_u32_e32 v8, vcc_lo, 0, v6, vcc_lo
	v_cmpx_gt_i64_e64 s[16:17], v[7:8]
	s_cbranch_execz .LBB51_6
; %bb.5:                                ;   in Loop: Header=BB51_3 Depth=1
	v_lshlrev_b64 v[7:8], 2, v[7:8]
	s_delay_alu instid0(VALU_DEP_1) | instskip(NEXT) | instid1(VALU_DEP_2)
	v_add_co_u32 v140, vcc_lo, s8, v7
	v_add_co_ci_u32_e32 v141, vcc_lo, s9, v8, vcc_lo
	v_add_co_u32 v7, vcc_lo, s10, v7
	v_add_co_ci_u32_e32 v8, vcc_lo, s11, v8, vcc_lo
	global_load_b32 v140, v[140:141], off
	global_load_b32 v141, v[7:8], off
.LBB51_6:                               ;   in Loop: Header=BB51_3 Depth=1
	s_or_b32 exec_lo, exec_lo, s4
	v_cmp_gt_i64_e32 vcc_lo, s[16:17], v[5:6]
	v_mov_b32_e32 v8, 0
	s_and_b32 s33, s3, vcc_lo
	s_delay_alu instid0(SALU_CYCLE_1)
	s_and_saveexec_b32 s4, s33
	s_cbranch_execz .LBB51_8
; %bb.7:                                ;   in Loop: Header=BB51_3 Depth=1
	v_add_co_u32 v7, vcc_lo, v135, v3
	v_add_co_ci_u32_e32 v8, vcc_lo, v136, v4, vcc_lo
	v_add_co_u32 v143, vcc_lo, v137, v3
	v_add_co_ci_u32_e32 v144, vcc_lo, v138, v4, vcc_lo
	global_load_b32 v142, v[7:8], off
	global_load_b32 v8, v[143:144], off
.LBB51_8:                               ;   in Loop: Header=BB51_3 Depth=1
	s_or_b32 exec_lo, exec_lo, s4
	v_add_co_u32 v143, vcc_lo, v5, 1
	v_add_co_ci_u32_e32 v144, vcc_lo, 0, v6, vcc_lo
	v_mov_b32_e32 v7, 0
	s_delay_alu instid0(VALU_DEP_2) | instskip(SKIP_2) | instid1(SALU_CYCLE_1)
	v_cmp_gt_i64_e32 vcc_lo, s[16:17], v[143:144]
	v_dual_mov_b32 v144, 0 :: v_dual_mov_b32 v143, 0
	s_and_b32 s33, s3, vcc_lo
	s_and_saveexec_b32 s4, s33
	s_cbranch_execz .LBB51_10
; %bb.9:                                ;   in Loop: Header=BB51_3 Depth=1
	v_add_co_u32 v143, vcc_lo, v131, v3
	v_add_co_ci_u32_e32 v144, vcc_lo, v132, v4, vcc_lo
	v_add_co_u32 v145, vcc_lo, v133, v3
	v_add_co_ci_u32_e32 v146, vcc_lo, v134, v4, vcc_lo
	global_load_b32 v143, v[143:144], off
	global_load_b32 v144, v[145:146], off
.LBB51_10:                              ;   in Loop: Header=BB51_3 Depth=1
	s_or_b32 exec_lo, exec_lo, s4
	v_add_co_u32 v145, vcc_lo, v5, 2
	v_add_co_ci_u32_e32 v146, vcc_lo, 0, v6, vcc_lo
	s_delay_alu instid0(VALU_DEP_1) | instskip(SKIP_2) | instid1(SALU_CYCLE_1)
	v_cmp_gt_i64_e32 vcc_lo, s[16:17], v[145:146]
	v_mov_b32_e32 v145, 0
	s_and_b32 s33, s3, vcc_lo
	s_and_saveexec_b32 s4, s33
	s_cbranch_execz .LBB51_12
; %bb.11:                               ;   in Loop: Header=BB51_3 Depth=1
	v_add_co_u32 v145, vcc_lo, v127, v3
	v_add_co_ci_u32_e32 v146, vcc_lo, v128, v4, vcc_lo
	v_add_co_u32 v147, vcc_lo, v129, v3
	v_add_co_ci_u32_e32 v148, vcc_lo, v130, v4, vcc_lo
	global_load_b32 v7, v[145:146], off
	global_load_b32 v145, v[147:148], off
.LBB51_12:                              ;   in Loop: Header=BB51_3 Depth=1
	s_or_b32 exec_lo, exec_lo, s4
	v_add_co_u32 v146, vcc_lo, v5, 3
	v_add_co_ci_u32_e32 v147, vcc_lo, 0, v6, vcc_lo
	v_mov_b32_e32 v148, 0
	s_delay_alu instid0(VALU_DEP_2) | instskip(SKIP_2) | instid1(SALU_CYCLE_1)
	v_cmp_gt_i64_e32 vcc_lo, s[16:17], v[146:147]
	v_dual_mov_b32 v146, 0 :: v_dual_mov_b32 v147, 0
	s_and_b32 s33, s3, vcc_lo
	s_and_saveexec_b32 s4, s33
	s_cbranch_execz .LBB51_14
; %bb.13:                               ;   in Loop: Header=BB51_3 Depth=1
	v_add_co_u32 v147, vcc_lo, v123, v3
	v_add_co_ci_u32_e32 v148, vcc_lo, v124, v4, vcc_lo
	v_add_co_u32 v149, vcc_lo, v125, v3
	v_add_co_ci_u32_e32 v150, vcc_lo, v126, v4, vcc_lo
	global_load_b32 v147, v[147:148], off
	global_load_b32 v148, v[149:150], off
.LBB51_14:                              ;   in Loop: Header=BB51_3 Depth=1
	s_or_b32 exec_lo, exec_lo, s4
	v_add_co_u32 v149, vcc_lo, v5, 4
	v_add_co_ci_u32_e32 v150, vcc_lo, 0, v6, vcc_lo
	s_delay_alu instid0(VALU_DEP_1) | instskip(SKIP_2) | instid1(SALU_CYCLE_1)
	v_cmp_gt_i64_e32 vcc_lo, s[16:17], v[149:150]
	v_mov_b32_e32 v150, 0
	s_and_b32 s33, s3, vcc_lo
	s_and_saveexec_b32 s4, s33
	s_cbranch_execz .LBB51_16
; %bb.15:                               ;   in Loop: Header=BB51_3 Depth=1
	v_add_co_u32 v149, vcc_lo, v119, v3
	v_add_co_ci_u32_e32 v150, vcc_lo, v120, v4, vcc_lo
	v_add_co_u32 v151, vcc_lo, v121, v3
	v_add_co_ci_u32_e32 v152, vcc_lo, v122, v4, vcc_lo
	global_load_b32 v146, v[149:150], off
	global_load_b32 v150, v[151:152], off
.LBB51_16:                              ;   in Loop: Header=BB51_3 Depth=1
	s_or_b32 exec_lo, exec_lo, s4
	v_add_co_u32 v151, vcc_lo, v5, 5
	v_add_co_ci_u32_e32 v152, vcc_lo, 0, v6, vcc_lo
	v_mov_b32_e32 v149, 0
	s_delay_alu instid0(VALU_DEP_2) | instskip(SKIP_2) | instid1(SALU_CYCLE_1)
	v_cmp_gt_i64_e32 vcc_lo, s[16:17], v[151:152]
	v_dual_mov_b32 v152, 0 :: v_dual_mov_b32 v151, 0
	s_and_b32 s33, s3, vcc_lo
	s_and_saveexec_b32 s4, s33
	s_cbranch_execz .LBB51_18
; %bb.17:                               ;   in Loop: Header=BB51_3 Depth=1
	v_add_co_u32 v151, vcc_lo, v115, v3
	v_add_co_ci_u32_e32 v152, vcc_lo, v116, v4, vcc_lo
	v_add_co_u32 v153, vcc_lo, v117, v3
	v_add_co_ci_u32_e32 v154, vcc_lo, v118, v4, vcc_lo
	global_load_b32 v151, v[151:152], off
	global_load_b32 v152, v[153:154], off
.LBB51_18:                              ;   in Loop: Header=BB51_3 Depth=1
	;; [unrolled: 35-line block ×5, first 2 shown]
	s_or_b32 exec_lo, exec_lo, s4
	v_add_co_u32 v165, vcc_lo, v5, 12
	v_add_co_ci_u32_e32 v166, vcc_lo, 0, v6, vcc_lo
	v_mov_b32_e32 v167, 0
	s_delay_alu instid0(VALU_DEP_2) | instskip(SKIP_1) | instid1(SALU_CYCLE_1)
	v_cmp_gt_i64_e32 vcc_lo, s[16:17], v[165:166]
	s_and_b32 s33, s3, vcc_lo
	s_and_saveexec_b32 s4, s33
	s_cbranch_execz .LBB51_32
; %bb.31:                               ;   in Loop: Header=BB51_3 Depth=1
	v_add_co_u32 v165, vcc_lo, v87, v3
	v_add_co_ci_u32_e32 v166, vcc_lo, v88, v4, vcc_lo
	v_add_co_u32 v167, vcc_lo, v89, v3
	v_add_co_ci_u32_e32 v168, vcc_lo, v90, v4, vcc_lo
	global_load_b32 v161, v[165:166], off
	global_load_b32 v167, v[167:168], off
.LBB51_32:                              ;   in Loop: Header=BB51_3 Depth=1
	s_or_b32 exec_lo, exec_lo, s4
	v_add_co_u32 v165, vcc_lo, v5, 13
	v_add_co_ci_u32_e32 v166, vcc_lo, 0, v6, vcc_lo
	v_mov_b32_e32 v168, 0
	v_mov_b32_e32 v170, 0
	s_delay_alu instid0(VALU_DEP_3) | instskip(SKIP_2) | instid1(SALU_CYCLE_1)
	v_cmp_gt_i64_e32 vcc_lo, s[16:17], v[165:166]
	v_mov_b32_e32 v166, 0
	s_and_b32 s33, s3, vcc_lo
	s_and_saveexec_b32 s4, s33
	s_cbranch_execz .LBB51_34
; %bb.33:                               ;   in Loop: Header=BB51_3 Depth=1
	v_add_co_u32 v168, vcc_lo, v83, v3
	v_add_co_ci_u32_e32 v169, vcc_lo, v84, v4, vcc_lo
	v_add_co_u32 v170, vcc_lo, v85, v3
	v_add_co_ci_u32_e32 v171, vcc_lo, v86, v4, vcc_lo
	global_load_b32 v168, v[168:169], off
	global_load_b32 v170, v[170:171], off
.LBB51_34:                              ;   in Loop: Header=BB51_3 Depth=1
	s_or_b32 exec_lo, exec_lo, s4
	v_add_co_u32 v171, vcc_lo, v5, 14
	v_add_co_ci_u32_e32 v172, vcc_lo, 0, v6, vcc_lo
	s_delay_alu instid0(VALU_DEP_1) | instskip(SKIP_2) | instid1(SALU_CYCLE_1)
	v_cmp_gt_i64_e32 vcc_lo, s[16:17], v[171:172]
	v_mov_b32_e32 v172, 0
	s_and_b32 s33, s3, vcc_lo
	s_and_saveexec_b32 s4, s33
	s_cbranch_execz .LBB51_36
; %bb.35:                               ;   in Loop: Header=BB51_3 Depth=1
	v_add_co_u32 v165, vcc_lo, v79, v3
	v_add_co_ci_u32_e32 v166, vcc_lo, v80, v4, vcc_lo
	v_add_co_u32 v171, vcc_lo, v81, v3
	v_add_co_ci_u32_e32 v172, vcc_lo, v82, v4, vcc_lo
	global_load_b32 v166, v[165:166], off
	global_load_b32 v172, v[171:172], off
.LBB51_36:                              ;   in Loop: Header=BB51_3 Depth=1
	s_or_b32 exec_lo, exec_lo, s4
	v_add_co_u32 v173, vcc_lo, v5, 15
	v_add_co_ci_u32_e32 v174, vcc_lo, 0, v6, vcc_lo
	v_mov_b32_e32 v171, 0
	v_mov_b32_e32 v175, 0
	s_delay_alu instid0(VALU_DEP_3) | instskip(SKIP_2) | instid1(SALU_CYCLE_1)
	v_cmp_gt_i64_e32 vcc_lo, s[16:17], v[173:174]
	v_mov_b32_e32 v173, 0
	s_and_b32 s33, s3, vcc_lo
	s_and_saveexec_b32 s4, s33
	s_cbranch_execz .LBB51_38
; %bb.37:                               ;   in Loop: Header=BB51_3 Depth=1
	v_add_co_u32 v173, vcc_lo, v75, v3
	v_add_co_ci_u32_e32 v174, vcc_lo, v76, v4, vcc_lo
	v_add_co_u32 v175, vcc_lo, v77, v3
	v_add_co_ci_u32_e32 v176, vcc_lo, v78, v4, vcc_lo
	global_load_b32 v173, v[173:174], off
	global_load_b32 v175, v[175:176], off
.LBB51_38:                              ;   in Loop: Header=BB51_3 Depth=1
	s_or_b32 exec_lo, exec_lo, s4
	v_add_co_u32 v176, vcc_lo, v5, 16
	v_add_co_ci_u32_e32 v177, vcc_lo, 0, v6, vcc_lo
	s_delay_alu instid0(VALU_DEP_1) | instskip(SKIP_2) | instid1(SALU_CYCLE_1)
	v_cmp_gt_i64_e32 vcc_lo, s[16:17], v[176:177]
	v_mov_b32_e32 v177, 0
	;; [unrolled: 36-line block ×5, first 2 shown]
	s_and_b32 s33, s3, vcc_lo
	s_and_saveexec_b32 s4, s33
	s_cbranch_execz .LBB51_52
; %bb.51:                               ;   in Loop: Header=BB51_3 Depth=1
	v_add_co_u32 v188, vcc_lo, v48, v3
	v_add_co_ci_u32_e32 v189, vcc_lo, v49, v4, vcc_lo
	v_add_co_u32 v190, vcc_lo, v50, v3
	v_add_co_ci_u32_e32 v191, vcc_lo, v51, v4, vcc_lo
	global_load_b32 v182, v[188:189], off
	global_load_b32 v189, v[190:191], off
.LBB51_52:                              ;   in Loop: Header=BB51_3 Depth=1
	s_or_b32 exec_lo, exec_lo, s4
	v_add_co_u32 v190, vcc_lo, v5, 23
	v_add_co_ci_u32_e32 v191, vcc_lo, 0, v6, vcc_lo
	v_mov_b32_e32 v186, 0
	v_mov_b32_e32 v188, 0
	s_delay_alu instid0(VALU_DEP_3) | instskip(SKIP_2) | instid1(SALU_CYCLE_1)
	v_cmp_gt_i64_e32 vcc_lo, s[16:17], v[190:191]
	v_mov_b32_e32 v190, 0
	s_and_b32 s33, s3, vcc_lo
	s_and_saveexec_b32 s4, s33
	s_cbranch_execz .LBB51_54
; %bb.53:                               ;   in Loop: Header=BB51_3 Depth=1
	v_add_co_u32 v190, vcc_lo, v44, v3
	v_add_co_ci_u32_e32 v191, vcc_lo, v45, v4, vcc_lo
	v_add_co_u32 v192, vcc_lo, v46, v3
	v_add_co_ci_u32_e32 v193, vcc_lo, v47, v4, vcc_lo
	global_load_b32 v188, v[190:191], off
	global_load_b32 v190, v[192:193], off
.LBB51_54:                              ;   in Loop: Header=BB51_3 Depth=1
	s_or_b32 exec_lo, exec_lo, s4
	v_add_co_u32 v191, vcc_lo, v5, 24
	v_add_co_ci_u32_e32 v192, vcc_lo, 0, v6, vcc_lo
	v_mov_b32_e32 v193, 0
	s_delay_alu instid0(VALU_DEP_2) | instskip(SKIP_1) | instid1(SALU_CYCLE_1)
	v_cmp_gt_i64_e32 vcc_lo, s[16:17], v[191:192]
	s_and_b32 s33, s3, vcc_lo
	s_and_saveexec_b32 s4, s33
	s_cbranch_execz .LBB51_56
; %bb.55:                               ;   in Loop: Header=BB51_3 Depth=1
	v_add_co_u32 v191, vcc_lo, v40, v3
	v_add_co_ci_u32_e32 v192, vcc_lo, v41, v4, vcc_lo
	v_add_co_u32 v193, vcc_lo, v42, v3
	v_add_co_ci_u32_e32 v194, vcc_lo, v43, v4, vcc_lo
	global_load_b32 v186, v[191:192], off
	global_load_b32 v193, v[193:194], off
.LBB51_56:                              ;   in Loop: Header=BB51_3 Depth=1
	s_or_b32 exec_lo, exec_lo, s4
	v_add_co_u32 v191, vcc_lo, v5, 25
	v_add_co_ci_u32_e32 v192, vcc_lo, 0, v6, vcc_lo
	v_mov_b32_e32 v194, 0
	s_delay_alu instid0(VALU_DEP_2) | instskip(SKIP_2) | instid1(SALU_CYCLE_1)
	v_cmp_gt_i64_e32 vcc_lo, s[16:17], v[191:192]
	v_dual_mov_b32 v191, 0 :: v_dual_mov_b32 v192, 0
	s_and_b32 s33, s3, vcc_lo
	s_and_saveexec_b32 s4, s33
	s_cbranch_execz .LBB51_58
; %bb.57:                               ;   in Loop: Header=BB51_3 Depth=1
	v_add_co_u32 v194, vcc_lo, v36, v3
	v_add_co_ci_u32_e32 v195, vcc_lo, v37, v4, vcc_lo
	v_add_co_u32 v196, vcc_lo, v38, v3
	v_add_co_ci_u32_e32 v197, vcc_lo, v39, v4, vcc_lo
	global_load_b32 v192, v[194:195], off
	global_load_b32 v194, v[196:197], off
.LBB51_58:                              ;   in Loop: Header=BB51_3 Depth=1
	s_or_b32 exec_lo, exec_lo, s4
	v_add_co_u32 v195, vcc_lo, v5, 26
	v_add_co_ci_u32_e32 v196, vcc_lo, 0, v6, vcc_lo
	s_delay_alu instid0(VALU_DEP_1) | instskip(SKIP_2) | instid1(SALU_CYCLE_1)
	v_cmp_gt_i64_e32 vcc_lo, s[16:17], v[195:196]
	v_mov_b32_e32 v196, 0
	s_and_b32 s33, s3, vcc_lo
	s_and_saveexec_b32 s4, s33
	s_cbranch_execz .LBB51_60
; %bb.59:                               ;   in Loop: Header=BB51_3 Depth=1
	v_add_co_u32 v195, vcc_lo, v32, v3
	v_add_co_ci_u32_e32 v196, vcc_lo, v33, v4, vcc_lo
	v_add_co_u32 v197, vcc_lo, v34, v3
	v_add_co_ci_u32_e32 v198, vcc_lo, v35, v4, vcc_lo
	global_load_b32 v191, v[195:196], off
	global_load_b32 v196, v[197:198], off
.LBB51_60:                              ;   in Loop: Header=BB51_3 Depth=1
	s_or_b32 exec_lo, exec_lo, s4
	v_add_co_u32 v197, vcc_lo, v5, 27
	v_add_co_ci_u32_e32 v198, vcc_lo, 0, v6, vcc_lo
	v_mov_b32_e32 v195, 0
	s_delay_alu instid0(VALU_DEP_2) | instskip(SKIP_2) | instid1(SALU_CYCLE_1)
	v_cmp_gt_i64_e32 vcc_lo, s[16:17], v[197:198]
	v_dual_mov_b32 v198, 0 :: v_dual_mov_b32 v197, 0
	s_and_b32 s33, s3, vcc_lo
	s_and_saveexec_b32 s4, s33
	s_cbranch_execz .LBB51_62
; %bb.61:                               ;   in Loop: Header=BB51_3 Depth=1
	v_add_co_u32 v197, vcc_lo, v28, v3
	v_add_co_ci_u32_e32 v198, vcc_lo, v29, v4, vcc_lo
	v_add_co_u32 v199, vcc_lo, v30, v3
	v_add_co_ci_u32_e32 v200, vcc_lo, v31, v4, vcc_lo
	global_load_b32 v197, v[197:198], off
	global_load_b32 v198, v[199:200], off
.LBB51_62:                              ;   in Loop: Header=BB51_3 Depth=1
	s_or_b32 exec_lo, exec_lo, s4
	v_add_co_u32 v199, vcc_lo, v5, 28
	v_add_co_ci_u32_e32 v200, vcc_lo, 0, v6, vcc_lo
	s_delay_alu instid0(VALU_DEP_1) | instskip(SKIP_2) | instid1(SALU_CYCLE_1)
	v_cmp_gt_i64_e32 vcc_lo, s[16:17], v[199:200]
	v_mov_b32_e32 v199, 0
	;; [unrolled: 35-line block ×3, first 2 shown]
	s_and_b32 s33, s3, vcc_lo
	s_and_saveexec_b32 s4, s33
	s_cbranch_execz .LBB51_68
; %bb.67:                               ;   in Loop: Header=BB51_3 Depth=1
	v_add_co_u32 v203, vcc_lo, v16, v3
	v_add_co_ci_u32_e32 v204, vcc_lo, v17, v4, vcc_lo
	v_add_co_u32 v205, vcc_lo, v18, v3
	v_add_co_ci_u32_e32 v206, vcc_lo, v19, v4, vcc_lo
	global_load_b32 v200, v[203:204], off
	global_load_b32 v203, v[205:206], off
.LBB51_68:                              ;   in Loop: Header=BB51_3 Depth=1
	s_or_b32 exec_lo, exec_lo, s4
	v_add_co_u32 v204, vcc_lo, v5, 31
	v_add_co_ci_u32_e32 v205, vcc_lo, 0, v6, vcc_lo
	v_mov_b32_e32 v165, 0
	v_mov_b32_e32 v169, 0
	s_mov_b32 s4, 0
	s_delay_alu instid0(VALU_DEP_3) | instskip(SKIP_1) | instid1(SALU_CYCLE_1)
	v_cmp_gt_i64_e32 vcc_lo, s[16:17], v[204:205]
	s_and_b32 s34, s3, vcc_lo
	s_and_saveexec_b32 s33, s34
	s_cbranch_execz .LBB51_70
; %bb.69:                               ;   in Loop: Header=BB51_3 Depth=1
	v_add_co_u32 v204, vcc_lo, v1, v3
	v_add_co_ci_u32_e32 v205, vcc_lo, v13, v4, vcc_lo
	v_add_co_u32 v206, vcc_lo, v14, v3
	v_add_co_ci_u32_e32 v207, vcc_lo, v15, v4, vcc_lo
	global_load_b32 v165, v[204:205], off
	global_load_b32 v169, v[206:207], off
.LBB51_70:                              ;   in Loop: Header=BB51_3 Depth=1
	s_or_b32 exec_lo, exec_lo, s33
	s_waitcnt vmcnt(1)
	ds_bpermute_b32 v204, v2, v140
	ds_bpermute_b32 v208, v2, v140 offset:4
	ds_bpermute_b32 v210, v2, v140 offset:8
	s_waitcnt vmcnt(0)
	ds_bpermute_b32 v205, v2, v141
	ds_bpermute_b32 v207, v2, v141 offset:4
	ds_bpermute_b32 v212, v2, v140 offset:12
	;; [unrolled: 1-line block ×16, first 2 shown]
	s_waitcnt lgkmcnt(19)
	v_sub_f32_e32 v8, v8, v204
	ds_bpermute_b32 v204, v2, v140 offset:36
	s_waitcnt lgkmcnt(18)
	v_sub_f32_e32 v210, v145, v210
	v_sub_f32_e32 v144, v144, v208
	ds_bpermute_b32 v208, v2, v140 offset:44
	v_mul_f32_e32 v8, v142, v8
	ds_bpermute_b32 v224, v2, v141 offset:40
	s_waitcnt lgkmcnt(19)
	v_fma_f32 v145, v8, v205, v139
	v_mul_f32_e32 v205, v7, v210
	v_mul_f32_e32 v144, v143, v144
	v_add_f32_e32 v206, v227, v142
	ds_bpermute_b32 v142, v2, v141 offset:44
	ds_bpermute_b32 v8, v2, v141 offset:48
	s_waitcnt lgkmcnt(20)
	v_fmac_f32_e32 v145, v144, v207
	s_waitcnt lgkmcnt(19)
	v_dual_add_f32 v143, v206, v143 :: v_dual_sub_f32 v148, v148, v212
	ds_bpermute_b32 v144, v2, v140 offset:48
	s_waitcnt lgkmcnt(19)
	v_fmac_f32_e32 v145, v205, v209
	v_add_f32_e32 v7, v143, v7
	s_waitcnt lgkmcnt(18)
	v_dual_sub_f32 v143, v150, v214 :: v_dual_mul_f32 v148, v147, v148
	ds_bpermute_b32 v150, v2, v141 offset:52
	v_add_f32_e32 v7, v7, v147
	v_mul_f32_e32 v143, v146, v143
	s_waitcnt lgkmcnt(17)
	v_sub_f32_e32 v147, v152, v216
	s_waitcnt lgkmcnt(14)
	v_dual_sub_f32 v152, v156, v220 :: v_dual_add_f32 v7, v7, v146
	v_dual_sub_f32 v146, v154, v218 :: v_dual_fmac_f32 v145, v148, v211
	ds_bpermute_b32 v148, v2, v140 offset:52
	s_waitcnt lgkmcnt(13)
	v_dual_mul_f32 v147, v151, v147 :: v_dual_sub_f32 v154, v162, v225
	v_dual_add_f32 v7, v7, v151 :: v_dual_mul_f32 v146, v149, v146
	v_fmac_f32_e32 v145, v143, v213
	v_dual_sub_f32 v151, v158, v222 :: v_dual_mul_f32 v152, v155, v152
	s_delay_alu instid0(VALU_DEP_4)
	v_mul_f32_e32 v154, v157, v154
	s_waitcnt lgkmcnt(2)
	v_sub_f32_e32 v144, v167, v144
	v_fmac_f32_e32 v145, v147, v215
	v_mul_f32_e32 v151, v153, v151
	ds_bpermute_b32 v147, v2, v140 offset:56
	ds_bpermute_b32 v143, v2, v141 offset:56
	v_dual_mul_f32 v144, v161, v144 :: v_dual_fmac_f32 v145, v146, v217
	ds_bpermute_b32 v146, v2, v141 offset:60
	s_waitcnt lgkmcnt(3)
	v_dual_fmac_f32 v145, v152, v219 :: v_dual_sub_f32 v148, v170, v148
	v_add_f32_e32 v7, v7, v149
	v_sub_f32_e32 v149, v160, v204
	ds_bpermute_b32 v152, v2, v140 offset:60
	v_dual_fmac_f32 v145, v151, v221 :: v_dual_mul_f32 v148, v168, v148
	v_add_f32_e32 v7, v7, v155
	v_mul_f32_e32 v149, v159, v149
	ds_bpermute_b32 v151, v2, v141 offset:64
	v_add_f32_e32 v7, v7, v153
	v_sub_f32_e32 v153, v164, v208
	v_fmac_f32_e32 v145, v149, v223
	ds_bpermute_b32 v149, v2, v140 offset:64
	s_waitcnt lgkmcnt(5)
	v_sub_f32_e32 v147, v172, v147
	v_mul_f32_e32 v153, v163, v153
	v_fmac_f32_e32 v145, v154, v224
	ds_bpermute_b32 v154, v2, v140 offset:68
	v_mul_f32_e32 v147, v166, v147
	v_fmac_f32_e32 v145, v153, v142
	ds_bpermute_b32 v142, v2, v140 offset:72
	v_fmac_f32_e32 v145, v144, v8
	ds_bpermute_b32 v8, v2, v141 offset:68
	s_waitcnt lgkmcnt(5)
	v_dual_sub_f32 v144, v175, v152 :: v_dual_fmac_f32 v145, v148, v150
	ds_bpermute_b32 v150, v2, v140 offset:76
	ds_bpermute_b32 v148, v2, v141 offset:72
	v_dual_mul_f32 v144, v173, v144 :: v_dual_fmac_f32 v145, v147, v143
	s_waitcnt lgkmcnt(5)
	v_sub_f32_e32 v143, v177, v149
	ds_bpermute_b32 v147, v2, v140 offset:80
	s_waitcnt lgkmcnt(5)
	v_sub_f32_e32 v149, v179, v154
	v_fmac_f32_e32 v145, v144, v146
	v_mul_f32_e32 v143, v171, v143
	ds_bpermute_b32 v144, v2, v141 offset:76
	v_mul_f32_e32 v146, v176, v149
	ds_bpermute_b32 v149, v2, v140 offset:84
	s_waitcnt lgkmcnt(6)
	v_dual_sub_f32 v142, v181, v142 :: v_dual_fmac_f32 v145, v143, v151
	ds_bpermute_b32 v143, v2, v141 offset:80
	v_mul_f32_e32 v142, v174, v142
	s_waitcnt lgkmcnt(5)
	v_dual_fmac_f32 v145, v146, v8 :: v_dual_sub_f32 v8, v183, v150
	ds_bpermute_b32 v146, v2, v140 offset:88
	ds_bpermute_b32 v150, v2, v141 offset:84
	s_waitcnt lgkmcnt(6)
	v_fmac_f32_e32 v145, v142, v148
	v_mul_f32_e32 v8, v180, v8
	ds_bpermute_b32 v142, v2, v140 offset:92
	s_waitcnt lgkmcnt(6)
	v_sub_f32_e32 v147, v185, v147
	ds_bpermute_b32 v148, v2, v140 offset:96
	s_waitcnt lgkmcnt(6)
	v_fmac_f32_e32 v145, v8, v144
	ds_bpermute_b32 v8, v2, v141 offset:88
	s_waitcnt lgkmcnt(6)
	v_dual_mul_f32 v144, v178, v147 :: v_dual_sub_f32 v147, v187, v149
	v_add_f32_e32 v7, v7, v159
	ds_bpermute_b32 v149, v2, v140 offset:104
	s_waitcnt lgkmcnt(6)
	v_fmac_f32_e32 v145, v144, v143
	ds_bpermute_b32 v143, v2, v141 offset:92
	v_mul_f32_e32 v144, v184, v147
	ds_bpermute_b32 v147, v2, v140 offset:100
	s_waitcnt lgkmcnt(7)
	v_dual_sub_f32 v146, v189, v146 :: v_dual_add_f32 v7, v7, v157
	s_waitcnt lgkmcnt(6)
	v_fmac_f32_e32 v145, v144, v150
	ds_bpermute_b32 v144, v2, v141 offset:96
	s_waitcnt lgkmcnt(6)
	v_sub_f32_e32 v142, v190, v142
	v_dual_mul_f32 v146, v182, v146 :: v_dual_add_f32 v7, v7, v163
	ds_bpermute_b32 v150, v2, v141 offset:116
	s_waitcnt lgkmcnt(5)
	v_dual_mul_f32 v142, v188, v142 :: v_dual_fmac_f32 v145, v146, v8
	v_sub_f32_e32 v146, v193, v148
	ds_bpermute_b32 v8, v2, v141 offset:100
	ds_bpermute_b32 v148, v2, v140 offset:108
	s_waitcnt lgkmcnt(5)
	v_fmac_f32_e32 v145, v142, v143
	v_mul_f32_e32 v142, v186, v146
	s_waitcnt lgkmcnt(4)
	v_dual_sub_f32 v146, v194, v147 :: v_dual_add_f32 v7, v7, v161
	ds_bpermute_b32 v143, v2, v141 offset:104
	ds_bpermute_b32 v147, v2, v140 offset:112
	s_waitcnt lgkmcnt(5)
	v_dual_fmac_f32 v145, v142, v144 :: v_dual_mul_f32 v144, v192, v146
	v_sub_f32_e32 v146, v196, v149
	ds_bpermute_b32 v149, v2, v140 offset:116
	v_add_f32_e32 v7, v7, v168
	ds_bpermute_b32 v142, v2, v141 offset:108
	s_waitcnt lgkmcnt(5)
	v_dual_fmac_f32 v145, v144, v8 :: v_dual_mul_f32 v8, v191, v146
	s_waitcnt lgkmcnt(4)
	v_sub_f32_e32 v148, v198, v148
	ds_bpermute_b32 v144, v2, v141 offset:112
	ds_bpermute_b32 v146, v2, v140 offset:120
	s_waitcnt lgkmcnt(5)
	v_dual_fmac_f32 v145, v8, v143 :: v_dual_mul_f32 v8, v197, v148
	s_waitcnt lgkmcnt(4)
	v_sub_f32_e32 v143, v199, v147
	ds_bpermute_b32 v147, v2, v141 offset:120
	s_waitcnt lgkmcnt(4)
	v_dual_sub_f32 v148, v202, v149 :: v_dual_add_f32 v7, v7, v166
	s_waitcnt lgkmcnt(3)
	v_fmac_f32_e32 v145, v8, v142
	v_mul_f32_e32 v143, v195, v143
	ds_bpermute_b32 v8, v2, v141 offset:124
	v_add_f32_e32 v7, v7, v173
	s_waitcnt lgkmcnt(3)
	v_fmac_f32_e32 v145, v143, v144
	s_waitcnt lgkmcnt(2)
	v_sub_f32_e32 v141, v203, v146
	v_add_f32_e32 v7, v7, v171
	s_delay_alu instid0(VALU_DEP_1) | instskip(NEXT) | instid1(VALU_DEP_1)
	v_add_f32_e32 v7, v7, v176
	v_add_f32_e32 v7, v7, v174
	s_delay_alu instid0(VALU_DEP_1) | instskip(NEXT) | instid1(VALU_DEP_1)
	v_add_f32_e32 v7, v7, v180
	;; [unrolled: 3-line block ×5, first 2 shown]
	v_add_f32_e32 v7, v7, v191
	s_delay_alu instid0(VALU_DEP_1) | instskip(SKIP_2) | instid1(VALU_DEP_1)
	v_add_f32_e32 v142, v7, v197
	ds_bpermute_b32 v7, v2, v140 offset:124
	v_mul_f32_e32 v140, v201, v148
	v_dual_add_f32 v142, v142, v195 :: v_dual_fmac_f32 v145, v140, v150
	v_mul_f32_e32 v140, v200, v141
	s_delay_alu instid0(VALU_DEP_2) | instskip(SKIP_1) | instid1(VALU_DEP_1)
	v_add_f32_e32 v141, v142, v201
	s_waitcnt lgkmcnt(2)
	v_dual_fmac_f32 v145, v140, v147 :: v_dual_add_f32 v140, v141, v200
	s_and_b32 vcc_lo, exec_lo, s4
	s_cbranch_vccnz .LBB51_72
	s_branch .LBB51_139
.LBB51_71:                              ;   in Loop: Header=BB51_3 Depth=1
                                        ; implicit-def: $vgpr8
                                        ; implicit-def: $vgpr165
                                        ; implicit-def: $vgpr169
                                        ; implicit-def: $vgpr7
                                        ; implicit-def: $vgpr140
                                        ; implicit-def: $vgpr145
	s_cbranch_execz .LBB51_139
.LBB51_72:                              ;   in Loop: Header=BB51_3 Depth=1
	s_load_b32 s4, s[12:13], 0x0
	s_waitcnt lgkmcnt(0)
	v_mov_b32_e32 v8, 0
	v_mov_b32_e32 v140, 0
	s_cmp_lt_u32 s14, s4
	s_cselect_b32 s4, 12, 18
	s_delay_alu instid0(SALU_CYCLE_1)
	s_add_u32 s34, s12, s4
	s_addc_u32 s35, s13, 0
	s_mov_b32 s4, exec_lo
	global_load_u16 v7, v2, s[34:35]
	s_waitcnt vmcnt(0)
	v_mad_u32_u24 v7, v9, v7, v11
	s_delay_alu instid0(VALU_DEP_1) | instskip(NEXT) | instid1(VALU_DEP_1)
	v_and_b32_e32 v7, 31, v7
	v_add_co_u32 v5, vcc_lo, v5, v7
	v_add_co_ci_u32_e32 v6, vcc_lo, 0, v6, vcc_lo
	v_mov_b32_e32 v7, 0
	s_delay_alu instid0(VALU_DEP_2)
	v_cmpx_gt_i64_e64 s[16:17], v[5:6]
	s_cbranch_execz .LBB51_74
; %bb.73:                               ;   in Loop: Header=BB51_3 Depth=1
	v_lshlrev_b64 v[5:6], 2, v[5:6]
	s_delay_alu instid0(VALU_DEP_1) | instskip(NEXT) | instid1(VALU_DEP_2)
	v_add_co_u32 v7, vcc_lo, s8, v5
	v_add_co_ci_u32_e32 v8, vcc_lo, s9, v6, vcc_lo
	v_add_co_u32 v5, vcc_lo, s10, v5
	v_add_co_ci_u32_e32 v6, vcc_lo, s11, v6, vcc_lo
	global_load_b32 v7, v[7:8], off
	global_load_b32 v8, v[5:6], off
.LBB51_74:                              ;   in Loop: Header=BB51_3 Depth=1
	s_or_b32 exec_lo, exec_lo, s4
	v_mov_b32_e32 v141, 0
	s_and_saveexec_b32 s4, s3
	s_cbranch_execz .LBB51_76
; %bb.75:                               ;   in Loop: Header=BB51_3 Depth=1
	v_add_co_u32 v5, vcc_lo, v135, v3
	v_add_co_ci_u32_e32 v6, vcc_lo, v136, v4, vcc_lo
	v_add_co_u32 v141, vcc_lo, v137, v3
	v_add_co_ci_u32_e32 v142, vcc_lo, v138, v4, vcc_lo
	global_load_b32 v140, v[5:6], off
	global_load_b32 v141, v[141:142], off
.LBB51_76:                              ;   in Loop: Header=BB51_3 Depth=1
	s_or_b32 exec_lo, exec_lo, s4
	v_dual_mov_b32 v5, 0 :: v_dual_mov_b32 v6, 0
	v_mov_b32_e32 v142, 0
	s_and_saveexec_b32 s4, s3
	s_cbranch_execz .LBB51_78
; %bb.77:                               ;   in Loop: Header=BB51_3 Depth=1
	v_add_co_u32 v142, vcc_lo, v131, v3
	v_add_co_ci_u32_e32 v143, vcc_lo, v132, v4, vcc_lo
	v_add_co_u32 v144, vcc_lo, v133, v3
	v_add_co_ci_u32_e32 v145, vcc_lo, v134, v4, vcc_lo
	global_load_b32 v6, v[142:143], off
	global_load_b32 v142, v[144:145], off
.LBB51_78:                              ;   in Loop: Header=BB51_3 Depth=1
	s_or_b32 exec_lo, exec_lo, s4
	v_mov_b32_e32 v145, 0
	s_and_saveexec_b32 s4, s3
	s_cbranch_execz .LBB51_80
; %bb.79:                               ;   in Loop: Header=BB51_3 Depth=1
	v_add_co_u32 v143, vcc_lo, v127, v3
	v_add_co_ci_u32_e32 v144, vcc_lo, v128, v4, vcc_lo
	v_add_co_u32 v145, vcc_lo, v129, v3
	v_add_co_ci_u32_e32 v146, vcc_lo, v130, v4, vcc_lo
	global_load_b32 v5, v[143:144], off
	global_load_b32 v145, v[145:146], off
.LBB51_80:                              ;   in Loop: Header=BB51_3 Depth=1
	s_or_b32 exec_lo, exec_lo, s4
	v_dual_mov_b32 v143, 0 :: v_dual_mov_b32 v144, 0
	v_mov_b32_e32 v146, 0
	s_and_saveexec_b32 s4, s3
	s_cbranch_execz .LBB51_82
; %bb.81:                               ;   in Loop: Header=BB51_3 Depth=1
	v_add_co_u32 v146, vcc_lo, v123, v3
	v_add_co_ci_u32_e32 v147, vcc_lo, v124, v4, vcc_lo
	v_add_co_u32 v148, vcc_lo, v125, v3
	v_add_co_ci_u32_e32 v149, vcc_lo, v126, v4, vcc_lo
	global_load_b32 v144, v[146:147], off
	global_load_b32 v146, v[148:149], off
.LBB51_82:                              ;   in Loop: Header=BB51_3 Depth=1
	;; [unrolled: 25-line block ×6, first 2 shown]
	s_or_b32 exec_lo, exec_lo, s4
	v_mov_b32_e32 v166, 0
	s_and_saveexec_b32 s4, s3
	s_cbranch_execz .LBB51_100
; %bb.99:                               ;   in Loop: Header=BB51_3 Depth=1
	v_add_co_u32 v163, vcc_lo, v87, v3
	v_add_co_ci_u32_e32 v164, vcc_lo, v88, v4, vcc_lo
	v_add_co_u32 v165, vcc_lo, v89, v3
	v_add_co_ci_u32_e32 v166, vcc_lo, v90, v4, vcc_lo
	global_load_b32 v159, v[163:164], off
	global_load_b32 v166, v[165:166], off
.LBB51_100:                             ;   in Loop: Header=BB51_3 Depth=1
	s_or_b32 exec_lo, exec_lo, s4
	v_dual_mov_b32 v163, 0 :: v_dual_mov_b32 v164, 0
	v_mov_b32_e32 v168, 0
	s_and_saveexec_b32 s4, s3
	s_cbranch_execz .LBB51_102
; %bb.101:                              ;   in Loop: Header=BB51_3 Depth=1
	v_add_co_u32 v164, vcc_lo, v83, v3
	v_add_co_ci_u32_e32 v165, vcc_lo, v84, v4, vcc_lo
	v_add_co_u32 v167, vcc_lo, v85, v3
	v_add_co_ci_u32_e32 v168, vcc_lo, v86, v4, vcc_lo
	global_load_b32 v164, v[164:165], off
	global_load_b32 v168, v[167:168], off
.LBB51_102:                             ;   in Loop: Header=BB51_3 Depth=1
	s_or_b32 exec_lo, exec_lo, s4
	v_mov_b32_e32 v171, 0
	s_and_saveexec_b32 s4, s3
	s_cbranch_execz .LBB51_104
; %bb.103:                              ;   in Loop: Header=BB51_3 Depth=1
	v_add_co_u32 v169, vcc_lo, v79, v3
	v_add_co_ci_u32_e32 v170, vcc_lo, v80, v4, vcc_lo
	v_add_co_u32 v171, vcc_lo, v81, v3
	v_add_co_ci_u32_e32 v172, vcc_lo, v82, v4, vcc_lo
	global_load_b32 v163, v[169:170], off
	global_load_b32 v171, v[171:172], off
.LBB51_104:                             ;   in Loop: Header=BB51_3 Depth=1
	s_or_b32 exec_lo, exec_lo, s4
	v_dual_mov_b32 v167, 0 :: v_dual_mov_b32 v170, 0
	v_mov_b32_e32 v174, 0
	s_and_saveexec_b32 s4, s3
	s_cbranch_execz .LBB51_106
; %bb.105:                              ;   in Loop: Header=BB51_3 Depth=1
	v_add_co_u32 v169, vcc_lo, v75, v3
	v_add_co_ci_u32_e32 v170, vcc_lo, v76, v4, vcc_lo
	v_add_co_u32 v172, vcc_lo, v77, v3
	v_add_co_ci_u32_e32 v173, vcc_lo, v78, v4, vcc_lo
	global_load_b32 v170, v[169:170], off
	global_load_b32 v174, v[172:173], off
.LBB51_106:                             ;   in Loop: Header=BB51_3 Depth=1
	s_or_b32 exec_lo, exec_lo, s4
	v_mov_b32_e32 v175, 0
	s_and_saveexec_b32 s4, s3
	s_cbranch_execz .LBB51_108
; %bb.107:                              ;   in Loop: Header=BB51_3 Depth=1
	v_add_co_u32 v172, vcc_lo, v71, v3
	v_add_co_ci_u32_e32 v173, vcc_lo, v72, v4, vcc_lo
	v_add_co_u32 v175, vcc_lo, v73, v3
	v_add_co_ci_u32_e32 v176, vcc_lo, v74, v4, vcc_lo
	global_load_b32 v167, v[172:173], off
	global_load_b32 v175, v[175:176], off
.LBB51_108:                             ;   in Loop: Header=BB51_3 Depth=1
	;; [unrolled: 25-line block ×6, first 2 shown]
	s_or_b32 exec_lo, exec_lo, s4
	v_mov_b32_e32 v187, 0
	v_mov_b32_e32 v189, 0
	;; [unrolled: 1-line block ×3, first 2 shown]
	s_and_saveexec_b32 s4, s3
	s_cbranch_execz .LBB51_126
; %bb.125:                              ;   in Loop: Header=BB51_3 Depth=1
	v_add_co_u32 v192, vcc_lo, v36, v3
	v_add_co_ci_u32_e32 v193, vcc_lo, v37, v4, vcc_lo
	v_add_co_u32 v194, vcc_lo, v38, v3
	v_add_co_ci_u32_e32 v195, vcc_lo, v39, v4, vcc_lo
	global_load_b32 v189, v[192:193], off
	global_load_b32 v193, v[194:195], off
.LBB51_126:                             ;   in Loop: Header=BB51_3 Depth=1
	s_or_b32 exec_lo, exec_lo, s4
	v_mov_b32_e32 v195, 0
	s_and_saveexec_b32 s4, s3
	s_cbranch_execz .LBB51_128
; %bb.127:                              ;   in Loop: Header=BB51_3 Depth=1
	v_add_co_u32 v194, vcc_lo, v32, v3
	v_add_co_ci_u32_e32 v195, vcc_lo, v33, v4, vcc_lo
	v_add_co_u32 v196, vcc_lo, v34, v3
	v_add_co_ci_u32_e32 v197, vcc_lo, v35, v4, vcc_lo
	global_load_b32 v187, v[194:195], off
	global_load_b32 v195, v[196:197], off
.LBB51_128:                             ;   in Loop: Header=BB51_3 Depth=1
	s_or_b32 exec_lo, exec_lo, s4
	v_mov_b32_e32 v192, 0
	v_mov_b32_e32 v194, 0
	;; [unrolled: 1-line block ×3, first 2 shown]
	s_and_saveexec_b32 s4, s3
	s_cbranch_execz .LBB51_130
; %bb.129:                              ;   in Loop: Header=BB51_3 Depth=1
	v_add_co_u32 v196, vcc_lo, v28, v3
	v_add_co_ci_u32_e32 v197, vcc_lo, v29, v4, vcc_lo
	v_add_co_u32 v198, vcc_lo, v30, v3
	v_add_co_ci_u32_e32 v199, vcc_lo, v31, v4, vcc_lo
	global_load_b32 v194, v[196:197], off
	global_load_b32 v196, v[198:199], off
.LBB51_130:                             ;   in Loop: Header=BB51_3 Depth=1
	s_or_b32 exec_lo, exec_lo, s4
	v_mov_b32_e32 v197, 0
	s_and_saveexec_b32 s4, s3
	s_cbranch_execz .LBB51_132
; %bb.131:                              ;   in Loop: Header=BB51_3 Depth=1
	v_add_co_u32 v197, vcc_lo, v24, v3
	v_add_co_ci_u32_e32 v198, vcc_lo, v25, v4, vcc_lo
	v_add_co_u32 v199, vcc_lo, v26, v3
	v_add_co_ci_u32_e32 v200, vcc_lo, v27, v4, vcc_lo
	global_load_b32 v192, v[197:198], off
	global_load_b32 v197, v[199:200], off
.LBB51_132:                             ;   in Loop: Header=BB51_3 Depth=1
	s_or_b32 exec_lo, exec_lo, s4
	v_dual_mov_b32 v198, 0 :: v_dual_mov_b32 v199, 0
	v_mov_b32_e32 v200, 0
	s_and_saveexec_b32 s4, s3
	s_cbranch_execz .LBB51_134
; %bb.133:                              ;   in Loop: Header=BB51_3 Depth=1
	v_add_co_u32 v199, vcc_lo, v20, v3
	v_add_co_ci_u32_e32 v200, vcc_lo, v21, v4, vcc_lo
	v_add_co_u32 v201, vcc_lo, v22, v3
	v_add_co_ci_u32_e32 v202, vcc_lo, v23, v4, vcc_lo
	global_load_b32 v199, v[199:200], off
	global_load_b32 v200, v[201:202], off
.LBB51_134:                             ;   in Loop: Header=BB51_3 Depth=1
	s_or_b32 exec_lo, exec_lo, s4
	v_mov_b32_e32 v201, 0
	s_and_saveexec_b32 s4, s3
	s_cbranch_execz .LBB51_136
; %bb.135:                              ;   in Loop: Header=BB51_3 Depth=1
	v_add_co_u32 v201, vcc_lo, v16, v3
	v_add_co_ci_u32_e32 v202, vcc_lo, v17, v4, vcc_lo
	v_add_co_u32 v203, vcc_lo, v18, v3
	v_add_co_ci_u32_e32 v204, vcc_lo, v19, v4, vcc_lo
	global_load_b32 v198, v[201:202], off
	global_load_b32 v201, v[203:204], off
.LBB51_136:                             ;   in Loop: Header=BB51_3 Depth=1
	s_or_b32 exec_lo, exec_lo, s4
	v_mov_b32_e32 v165, 0
	v_mov_b32_e32 v169, 0
	s_and_saveexec_b32 s4, s3
	s_cbranch_execz .LBB51_138
; %bb.137:                              ;   in Loop: Header=BB51_3 Depth=1
	v_add_co_u32 v202, vcc_lo, v1, v3
	v_add_co_ci_u32_e32 v203, vcc_lo, v13, v4, vcc_lo
	v_add_co_u32 v204, vcc_lo, v14, v3
	v_add_co_ci_u32_e32 v205, vcc_lo, v15, v4, vcc_lo
	global_load_b32 v165, v[202:203], off
	global_load_b32 v169, v[204:205], off
.LBB51_138:                             ;   in Loop: Header=BB51_3 Depth=1
	s_or_b32 exec_lo, exec_lo, s4
	s_waitcnt vmcnt(1)
	ds_bpermute_b32 v202, v2, v7
	ds_bpermute_b32 v206, v2, v7 offset:4
	ds_bpermute_b32 v208, v2, v7 offset:8
	;; [unrolled: 1-line block ×3, first 2 shown]
	s_waitcnt vmcnt(0)
	ds_bpermute_b32 v203, v2, v8
	ds_bpermute_b32 v205, v2, v8 offset:4
	v_add_f32_e32 v204, v227, v140
	ds_bpermute_b32 v207, v2, v8 offset:8
	ds_bpermute_b32 v212, v2, v7 offset:16
	;; [unrolled: 1-line block ×13, first 2 shown]
	s_waitcnt lgkmcnt(18)
	v_sub_f32_e32 v141, v141, v202
	s_waitcnt lgkmcnt(16)
	v_dual_sub_f32 v142, v142, v206 :: v_dual_sub_f32 v145, v145, v208
	s_waitcnt lgkmcnt(15)
	v_sub_f32_e32 v146, v146, v210
	ds_bpermute_b32 v202, v2, v7 offset:36
	ds_bpermute_b32 v221, v2, v8 offset:36
	;; [unrolled: 1-line block ×3, first 2 shown]
	v_mul_f32_e32 v145, v5, v145
	v_mul_f32_e32 v140, v140, v141
	;; [unrolled: 1-line block ×3, first 2 shown]
	ds_bpermute_b32 v206, v2, v7 offset:44
	ds_bpermute_b32 v141, v2, v8 offset:44
	s_waitcnt lgkmcnt(19)
	v_fmac_f32_e32 v139, v140, v203
	v_add_f32_e32 v6, v204, v6
	ds_bpermute_b32 v140, v2, v8 offset:48
	s_waitcnt lgkmcnt(19)
	v_fmac_f32_e32 v139, v142, v205
	s_waitcnt lgkmcnt(17)
	v_dual_add_f32 v5, v6, v5 :: v_dual_sub_f32 v6, v149, v212
	v_mul_f32_e32 v146, v144, v146
	ds_bpermute_b32 v142, v2, v7 offset:48
	v_fmac_f32_e32 v139, v145, v207
	s_waitcnt lgkmcnt(16)
	v_dual_add_f32 v5, v5, v144 :: v_dual_sub_f32 v144, v150, v214
	v_mul_f32_e32 v6, v143, v6
	s_waitcnt lgkmcnt(13)
	v_sub_f32_e32 v149, v154, v218
	v_fmac_f32_e32 v139, v146, v209
	ds_bpermute_b32 v146, v2, v7 offset:52
	v_dual_add_f32 v5, v5, v143 :: v_dual_mul_f32 v144, v148, v144
	s_waitcnt lgkmcnt(11)
	v_sub_f32_e32 v150, v161, v223
	v_fmac_f32_e32 v139, v6, v211
	v_sub_f32_e32 v143, v153, v216
	v_add_f32_e32 v5, v5, v148
	v_dual_sub_f32 v148, v157, v220 :: v_dual_mul_f32 v149, v152, v149
	s_delay_alu instid0(VALU_DEP_4)
	v_fmac_f32_e32 v139, v144, v213
	ds_bpermute_b32 v144, v2, v7 offset:56
	v_mul_f32_e32 v150, v155, v150
	v_mul_f32_e32 v148, v151, v148
	s_waitcnt lgkmcnt(2)
	v_dual_mul_f32 v143, v147, v143 :: v_dual_sub_f32 v142, v166, v142
	v_add_f32_e32 v5, v5, v147
	v_sub_f32_e32 v147, v158, v202
	ds_bpermute_b32 v145, v2, v8 offset:52
	ds_bpermute_b32 v6, v2, v8 offset:56
	v_mul_f32_e32 v142, v159, v142
	s_waitcnt lgkmcnt(3)
	v_dual_sub_f32 v146, v168, v146 :: v_dual_fmac_f32 v139, v143, v215
	ds_bpermute_b32 v143, v2, v8 offset:60
	v_mul_f32_e32 v146, v164, v146
	s_waitcnt lgkmcnt(3)
	v_dual_sub_f32 v144, v171, v144 :: v_dual_fmac_f32 v139, v149, v217
	v_mul_f32_e32 v147, v156, v147
	ds_bpermute_b32 v149, v2, v7 offset:60
	v_add_f32_e32 v5, v5, v152
	v_dual_mul_f32 v144, v163, v144 :: v_dual_fmac_f32 v139, v148, v219
	ds_bpermute_b32 v148, v2, v8 offset:64
	v_fmac_f32_e32 v139, v147, v221
	ds_bpermute_b32 v147, v2, v7 offset:64
	v_fmac_f32_e32 v139, v150, v222
	ds_bpermute_b32 v150, v2, v7 offset:68
	v_add_f32_e32 v5, v5, v151
	v_sub_f32_e32 v151, v162, v206
	s_delay_alu instid0(VALU_DEP_1) | instskip(NEXT) | instid1(VALU_DEP_1)
	v_mul_f32_e32 v151, v160, v151
	v_fmac_f32_e32 v139, v151, v141
	ds_bpermute_b32 v141, v2, v7 offset:72
	v_fmac_f32_e32 v139, v142, v140
	ds_bpermute_b32 v140, v2, v8 offset:68
	s_waitcnt lgkmcnt(5)
	v_sub_f32_e32 v142, v174, v149
	v_fmac_f32_e32 v139, v146, v145
	ds_bpermute_b32 v146, v2, v7 offset:76
	ds_bpermute_b32 v145, v2, v8 offset:72
	v_mul_f32_e32 v142, v170, v142
	s_waitcnt lgkmcnt(5)
	v_dual_fmac_f32 v139, v144, v6 :: v_dual_sub_f32 v6, v175, v147
	ds_bpermute_b32 v147, v2, v7 offset:80
	s_waitcnt lgkmcnt(5)
	v_dual_sub_f32 v144, v178, v150 :: v_dual_add_f32 v5, v5, v156
	v_dual_fmac_f32 v139, v142, v143 :: v_dual_mul_f32 v6, v167, v6
	ds_bpermute_b32 v143, v2, v8 offset:76
	s_waitcnt lgkmcnt(5)
	v_dual_mul_f32 v142, v173, v144 :: v_dual_sub_f32 v141, v180, v141
	ds_bpermute_b32 v144, v2, v7 offset:84
	v_fmac_f32_e32 v139, v6, v148
	ds_bpermute_b32 v6, v2, v8 offset:80
	v_mul_f32_e32 v141, v172, v141
	s_waitcnt lgkmcnt(6)
	v_fmac_f32_e32 v139, v142, v140
	ds_bpermute_b32 v140, v2, v7 offset:88
	s_waitcnt lgkmcnt(6)
	v_sub_f32_e32 v142, v182, v146
	ds_bpermute_b32 v146, v2, v8 offset:84
	v_add_f32_e32 v5, v5, v155
	s_waitcnt lgkmcnt(6)
	v_fmac_f32_e32 v139, v141, v145
	s_waitcnt lgkmcnt(5)
	v_sub_f32_e32 v145, v184, v147
	v_mul_f32_e32 v141, v177, v142
	ds_bpermute_b32 v142, v2, v7 offset:92
	s_waitcnt lgkmcnt(5)
	v_fmac_f32_e32 v139, v141, v143
	ds_bpermute_b32 v141, v2, v8 offset:88
	v_mul_f32_e32 v143, v176, v145
	ds_bpermute_b32 v145, v2, v7 offset:96
	s_waitcnt lgkmcnt(5)
	v_dual_sub_f32 v144, v186, v144 :: v_dual_fmac_f32 v139, v143, v6
	ds_bpermute_b32 v6, v2, v8 offset:92
	s_waitcnt lgkmcnt(5)
	v_sub_f32_e32 v140, v188, v140
	v_mul_f32_e32 v143, v181, v144
	ds_bpermute_b32 v144, v2, v7 offset:100
	v_add_f32_e32 v5, v5, v160
	v_mul_f32_e32 v140, v179, v140
	s_waitcnt lgkmcnt(5)
	v_fmac_f32_e32 v139, v143, v146
	s_waitcnt lgkmcnt(4)
	v_sub_f32_e32 v142, v190, v142
	ds_bpermute_b32 v143, v2, v8 offset:96
	ds_bpermute_b32 v146, v2, v7 offset:104
	v_add_f32_e32 v5, v5, v159
	s_waitcnt lgkmcnt(5)
	v_fmac_f32_e32 v139, v140, v141
	ds_bpermute_b32 v140, v2, v8 offset:100
	s_waitcnt lgkmcnt(5)
	v_dual_mul_f32 v141, v185, v142 :: v_dual_sub_f32 v142, v191, v145
	ds_bpermute_b32 v145, v2, v7 offset:108
	s_waitcnt lgkmcnt(5)
	v_fmac_f32_e32 v139, v141, v6
	ds_bpermute_b32 v141, v2, v8 offset:104
	v_mul_f32_e32 v6, v183, v142
	s_waitcnt lgkmcnt(5)
	v_sub_f32_e32 v142, v193, v144
	ds_bpermute_b32 v144, v2, v7 offset:112
	s_waitcnt lgkmcnt(5)
	v_dual_fmac_f32 v139, v6, v143 :: v_dual_mul_f32 v6, v189, v142
	ds_bpermute_b32 v142, v2, v8 offset:108
	s_waitcnt lgkmcnt(5)
	v_sub_f32_e32 v143, v195, v146
	ds_bpermute_b32 v146, v2, v7 offset:116
	v_add_f32_e32 v5, v5, v164
	s_waitcnt lgkmcnt(5)
	v_fmac_f32_e32 v139, v6, v140
	ds_bpermute_b32 v140, v2, v8 offset:112
	s_waitcnt lgkmcnt(5)
	v_dual_mul_f32 v6, v187, v143 :: v_dual_sub_f32 v143, v196, v145
	ds_bpermute_b32 v145, v2, v7 offset:120
	ds_bpermute_b32 v7, v2, v7 offset:124
	s_waitcnt lgkmcnt(6)
	v_fmac_f32_e32 v139, v6, v141
	ds_bpermute_b32 v141, v2, v8 offset:116
	s_waitcnt lgkmcnt(6)
	v_dual_mul_f32 v6, v194, v143 :: v_dual_sub_f32 v143, v197, v144
	s_waitcnt lgkmcnt(5)
	s_delay_alu instid0(VALU_DEP_1)
	v_dual_fmac_f32 v139, v6, v142 :: v_dual_mul_f32 v142, v192, v143
	s_waitcnt lgkmcnt(4)
	v_sub_f32_e32 v143, v200, v146
	ds_bpermute_b32 v6, v2, v8 offset:120
	ds_bpermute_b32 v8, v2, v8 offset:124
	s_waitcnt lgkmcnt(5)
	v_dual_fmac_f32 v139, v142, v140 :: v_dual_mul_f32 v140, v199, v143
	s_waitcnt lgkmcnt(4)
	v_sub_f32_e32 v142, v201, v145
	v_add_f32_e32 v5, v5, v163
	s_waitcnt lgkmcnt(2)
	s_delay_alu instid0(VALU_DEP_2) | instskip(NEXT) | instid1(VALU_DEP_2)
	v_dual_fmac_f32 v139, v140, v141 :: v_dual_mul_f32 v140, v198, v142
	v_add_f32_e32 v5, v5, v170
	s_delay_alu instid0(VALU_DEP_1) | instskip(SKIP_1) | instid1(VALU_DEP_3)
	v_add_f32_e32 v5, v5, v167
	s_waitcnt lgkmcnt(1)
	v_fmac_f32_e32 v139, v140, v6
	s_delay_alu instid0(VALU_DEP_2) | instskip(NEXT) | instid1(VALU_DEP_2)
	v_add_f32_e32 v5, v5, v173
	v_mov_b32_e32 v145, v139
	s_delay_alu instid0(VALU_DEP_2) | instskip(NEXT) | instid1(VALU_DEP_1)
	v_add_f32_e32 v5, v5, v172
	v_add_f32_e32 v5, v5, v177
	s_delay_alu instid0(VALU_DEP_1) | instskip(NEXT) | instid1(VALU_DEP_1)
	v_add_f32_e32 v5, v5, v176
	v_add_f32_e32 v5, v5, v181
	s_delay_alu instid0(VALU_DEP_1) | instskip(NEXT) | instid1(VALU_DEP_1)
	;; [unrolled: 3-line block ×5, first 2 shown]
	v_add_f32_e32 v5, v5, v192
	v_add_f32_e32 v5, v5, v199
	s_delay_alu instid0(VALU_DEP_1)
	v_add_f32_e32 v140, v5, v198
.LBB51_139:                             ;   in Loop: Header=BB51_3 Depth=1
	v_add_co_u32 v1, vcc_lo, v1, s26
	v_add_co_ci_u32_e32 v13, vcc_lo, s27, v13, vcc_lo
	v_add_co_u32 v14, vcc_lo, v14, s26
	v_add_co_ci_u32_e32 v15, vcc_lo, s27, v15, vcc_lo
	;; [unrolled: 2-line block ×61, first 2 shown]
	v_add_co_u32 v133, vcc_lo, v133, s26
	s_waitcnt lgkmcnt(0)
	v_sub_f32_e32 v5, v169, v7
	v_add_co_ci_u32_e32 v134, vcc_lo, s27, v134, vcc_lo
	v_add_co_u32 v135, vcc_lo, v135, s26
	s_add_u32 s28, s28, s31
	v_add_co_ci_u32_e32 v136, vcc_lo, s27, v136, vcc_lo
	v_mul_f32_e32 v5, v165, v5
	s_addc_u32 s29, s29, 0
	v_add_co_u32 v137, vcc_lo, v137, s26
	v_add_co_ci_u32_e32 v138, vcc_lo, s27, v138, vcc_lo
	v_cmp_lt_i64_e64 s4, s[28:29], s[16:17]
	v_add_co_u32 v10, vcc_lo, v10, s31
	v_add_f32_e32 v227, v140, v165
	v_fmac_f32_e32 v145, v5, v8
	v_add_co_ci_u32_e32 v12, vcc_lo, 0, v12, vcc_lo
	s_add_u32 s24, s24, s31
	s_addc_u32 s25, s25, 0
	s_and_b32 vcc_lo, exec_lo, s4
	s_cbranch_vccz .LBB51_142
; %bb.140:                              ;   in Loop: Header=BB51_3 Depth=1
	v_mov_b32_e32 v139, v145
	s_branch .LBB51_3
.LBB51_141:
	s_mov_b32 s5, -1
                                        ; implicit-def: $vgpr227
                                        ; implicit-def: $vgpr145
.LBB51_142:
	s_delay_alu instid0(SALU_CYCLE_1)
	s_and_not1_b32 vcc_lo, exec_lo, s5
	s_cbranch_vccnz .LBB51_220
; %bb.143:
	v_mov_b32_e32 v227, 0
	v_mov_b32_e32 v145, 0
	s_and_not1_b32 vcc_lo, exec_lo, s30
	s_cbranch_vccnz .LBB51_220
; %bb.144:
	v_bfe_u32 v7, v226, 10, 10
	s_add_u32 s4, s0, 64
	s_addc_u32 s5, s1, 0
	s_lshl_b64 s[12:13], s[6:7], 2
	s_delay_alu instid0(VALU_DEP_1) | instskip(SKIP_3) | instid1(VALU_DEP_1)
	v_lshlrev_b32_e32 v0, 7, v7
	v_lshlrev_b32_e32 v180, 5, v7
	scratch_store_b32 off, v7, off offset:304 ; 4-byte Folded Spill
	v_add_co_u32 v121, s3, v0, s12
	v_add_co_ci_u32_e64 v122, null, 0, s13, s3
	s_delay_alu instid0(VALU_DEP_2) | instskip(NEXT) | instid1(VALU_DEP_2)
	v_add_co_u32 v11, vcc_lo, v121, 4
	v_add_co_ci_u32_e32 v0, vcc_lo, 0, v122, vcc_lo
	v_add_co_u32 v15, vcc_lo, v121, 8
	v_add_co_ci_u32_e32 v5, vcc_lo, 0, v122, vcc_lo
	v_add_co_u32 v19, vcc_lo, v121, 12
	s_delay_alu instid0(VALU_DEP_4) | instskip(SKIP_3) | instid1(VALU_DEP_3)
	v_mul_lo_u32 v18, s18, v0
	v_add_co_ci_u32_e32 v0, vcc_lo, 0, v122, vcc_lo
	v_add_co_u32 v24, vcc_lo, v121, 16
	v_add_co_ci_u32_e32 v9, vcc_lo, 0, v122, vcc_lo
	v_mul_lo_u32 v22, s18, v0
	v_add_co_u32 v0, s3, v180, s6
	s_delay_alu instid0(VALU_DEP_1) | instskip(SKIP_1) | instid1(VALU_DEP_3)
	v_add_co_ci_u32_e64 v133, null, 0, 0, s3
	v_add_co_u32 v25, vcc_lo, v121, 20
	v_mul_lo_u32 v14, s19, v0
	s_delay_alu instid0(VALU_DEP_3)
	v_mul_lo_u32 v16, s18, v133
	v_mad_u64_u32 v[136:137], null, s18, v0, 0
	v_mad_u64_u32 v[1:2], null, s18, v11, s[20:21]
	v_mul_lo_u32 v17, s19, v11
	v_add_co_ci_u32_e32 v13, vcc_lo, 0, v122, vcc_lo
	v_mul_lo_u32 v26, s18, v9
	v_mad_u64_u32 v[9:10], null, s18, v11, s[22:23]
	v_mad_u64_u32 v[3:4], null, s18, v15, s[20:21]
	v_mul_lo_u32 v20, s18, v5
	v_mul_lo_u32 v21, s19, v15
	v_mad_u64_u32 v[5:6], null, s18, v19, s[20:21]
	v_mul_lo_u32 v23, s19, v19
	v_mul_lo_u32 v28, s18, v13
	v_add3_u32 v137, v137, v16, v14
	v_mad_u64_u32 v[13:14], null, s18, v15, s[22:23]
	v_mad_u64_u32 v[15:16], null, s18, v19, s[22:23]
	v_add3_u32 v2, v17, v2, v18
	v_mad_u64_u32 v[7:8], null, s18, v24, s[20:21]
	v_mul_lo_u32 v27, s19, v24
	v_add3_u32 v10, v17, v10, v18
	v_mad_u64_u32 v[17:18], null, s18, v24, s[22:23]
	v_add_co_u32 v30, vcc_lo, v121, 24
	v_add3_u32 v4, v21, v4, v20
	v_add3_u32 v6, v23, v6, v22
	v_mad_u64_u32 v[11:12], null, s18, v25, s[20:21]
	v_mul_lo_u32 v29, s19, v25
	v_add_co_ci_u32_e32 v31, vcc_lo, 0, v122, vcc_lo
	v_add3_u32 v14, v21, v14, v20
	v_add3_u32 v16, v23, v16, v22
	v_mad_u64_u32 v[21:22], null, s18, v25, s[22:23]
	v_mad_u64_u32 v[19:20], null, s18, v30, s[20:21]
	v_mul_lo_u32 v32, s19, v30
	v_mad_u64_u32 v[23:24], null, s18, v30, s[22:23]
	v_add_co_u32 v30, vcc_lo, v121, 28
	v_add3_u32 v8, v27, v8, v26
	v_add3_u32 v18, v27, v18, v26
	v_add_co_ci_u32_e32 v27, vcc_lo, 0, v122, vcc_lo
	v_mul_lo_u32 v31, s18, v31
	v_add3_u32 v12, v29, v12, v28
	v_add3_u32 v22, v29, v22, v28
	v_mad_u64_u32 v[25:26], null, s18, v30, s[20:21]
	v_mul_lo_u32 v29, s18, v27
	v_mul_lo_u32 v33, s19, v30
	v_mad_u64_u32 v[27:28], null, s18, v30, s[22:23]
	v_add_co_u32 v34, vcc_lo, v121, 32
	v_add_co_ci_u32_e32 v30, vcc_lo, 0, v122, vcc_lo
	v_add3_u32 v20, v32, v20, v31
	v_add3_u32 v24, v32, v24, v31
	;; [unrolled: 1-line block ×4, first 2 shown]
	v_mul_lo_u32 v33, s18, v30
	v_mul_lo_u32 v35, s19, v34
	v_mad_u64_u32 v[29:30], null, s18, v34, s[20:21]
	v_mad_u64_u32 v[31:32], null, s18, v34, s[22:23]
	v_add_co_u32 v37, vcc_lo, v121, 36
	v_lshlrev_b64 v[138:139], 2, v[136:137]
	s_load_b32 s3, s[0:1], 0x44
	s_delay_alu instid0(VALU_DEP_4) | instskip(NEXT) | instid1(VALU_DEP_3)
	v_add3_u32 v30, v35, v30, v33
	v_mul_lo_u32 v39, s19, v37
	v_add3_u32 v32, v35, v32, v33
	v_add_co_ci_u32_e32 v33, vcc_lo, 0, v122, vcc_lo
	v_mad_u64_u32 v[35:36], null, s18, v37, s[22:23]
	v_add_co_u32 v41, vcc_lo, v121, 40
	s_delay_alu instid0(VALU_DEP_3) | instskip(SKIP_2) | instid1(VALU_DEP_4)
	v_mul_lo_u32 v38, s18, v33
	v_mad_u64_u32 v[33:34], null, s18, v37, s[20:21]
	v_add_co_ci_u32_e32 v37, vcc_lo, 0, v122, vcc_lo
	v_mul_lo_u32 v43, s19, v41
	v_add_co_u32 v45, vcc_lo, v121, 44
	v_add3_u32 v36, v39, v36, v38
	v_add3_u32 v34, v39, v34, v38
	v_mul_lo_u32 v42, s18, v37
	v_mad_u64_u32 v[37:38], null, s18, v41, s[20:21]
	v_mad_u64_u32 v[39:40], null, s18, v41, s[22:23]
	v_add_co_ci_u32_e32 v41, vcc_lo, 0, v122, vcc_lo
	v_mul_lo_u32 v47, s19, v45
	v_add_co_u32 v49, vcc_lo, v121, 48
	v_add3_u32 v38, v43, v38, v42
	v_add3_u32 v40, v43, v40, v42
	v_mul_lo_u32 v46, s18, v41
	v_mad_u64_u32 v[41:42], null, s18, v45, s[20:21]
	;; [unrolled: 8-line block ×20, first 2 shown]
	v_mad_u64_u32 v[115:116], null, s18, v117, s[22:23]
	v_add_co_ci_u32_e32 v117, vcc_lo, 0, v122, vcc_lo
	v_mul_lo_u32 v125, s19, v123
	s_waitcnt lgkmcnt(0)
	s_lshl_b32 s3, s3, 5
	s_delay_alu instid0(VALU_DEP_4)
	v_add3_u32 v114, v119, v114, v118
	v_mul_lo_u32 v124, s18, v117
	v_add3_u32 v116, v119, v116, v118
	v_mad_u64_u32 v[117:118], null, s18, v123, s[20:21]
	v_mad_u64_u32 v[119:120], null, s18, v123, s[22:23]
	s_mul_i32 s12, s19, s3
	s_mul_hi_u32 s13, s18, s3
	s_delay_alu instid0(SALU_CYCLE_1) | instskip(NEXT) | instid1(VALU_DEP_2)
	s_add_i32 s13, s13, s12
	v_add3_u32 v118, v125, v118, v124
	s_mul_i32 s12, s18, s3
	s_delay_alu instid0(VALU_DEP_2) | instskip(SKIP_3) | instid1(VALU_DEP_2)
	v_add3_u32 v120, v125, v120, v124
	v_add_co_u32 v125, vcc_lo, 0x7c, v121
	v_add_co_ci_u32_e32 v121, vcc_lo, 0, v122, vcc_lo
	s_lshl_b64 s[12:13], s[12:13], 2
	v_mul_lo_u32 v127, s19, v125
	v_mad_u64_u32 v[123:124], null, s18, v125, s[22:23]
	s_delay_alu instid0(VALU_DEP_3) | instskip(SKIP_2) | instid1(VALU_DEP_3)
	v_mul_lo_u32 v126, s18, v121
	v_mad_u64_u32 v[121:122], null, s18, v125, s[20:21]
	v_add_co_u32 v125, vcc_lo, v0, 31
	v_add3_u32 v124, v127, v124, v126
	s_delay_alu instid0(VALU_DEP_3) | instskip(SKIP_1) | instid1(VALU_DEP_4)
	v_add3_u32 v122, v127, v122, v126
	v_add_co_ci_u32_e32 v126, vcc_lo, 0, v133, vcc_lo
	v_mul_lo_u32 v127, s19, v125
	v_mad_u64_u32 v[178:179], null, s18, v125, 0
	s_delay_alu instid0(VALU_DEP_3) | instskip(SKIP_1) | instid1(VALU_DEP_1)
	v_mul_lo_u32 v126, s18, v126
	v_add_co_u32 v125, vcc_lo, v0, 30
	v_mad_u64_u32 v[129:130], null, s18, v125, 0
	s_delay_alu instid0(VALU_DEP_3) | instskip(SKIP_3) | instid1(VALU_DEP_3)
	v_add3_u32 v179, v179, v126, v127
	v_add_co_ci_u32_e32 v126, vcc_lo, 0, v133, vcc_lo
	v_mul_lo_u32 v127, s19, v125
	v_add_co_u32 v125, vcc_lo, v0, 29
	v_mul_lo_u32 v126, s18, v126
	v_lshlrev_b64 v[178:179], 2, v[178:179]
	s_delay_alu instid0(VALU_DEP_3) | instskip(NEXT) | instid1(VALU_DEP_3)
	v_mad_u64_u32 v[131:132], null, s18, v125, 0
	v_add3_u32 v130, v130, v126, v127
	v_add_co_ci_u32_e32 v126, vcc_lo, 0, v133, vcc_lo
	v_mul_lo_u32 v127, s19, v125
	v_add_co_u32 v125, vcc_lo, v0, 28
	s_delay_alu instid0(VALU_DEP_3) | instskip(SKIP_1) | instid1(VALU_DEP_3)
	v_mul_lo_u32 v126, s18, v126
	v_lshlrev_b64 v[129:130], 2, v[129:130]
	v_mad_u64_u32 v[134:135], null, s18, v125, 0
	s_delay_alu instid0(VALU_DEP_3) | instskip(SKIP_3) | instid1(VALU_DEP_3)
	v_add3_u32 v132, v132, v126, v127
	v_add_co_ci_u32_e32 v126, vcc_lo, 0, v133, vcc_lo
	v_mul_lo_u32 v127, s19, v125
	v_add_co_u32 v125, vcc_lo, v0, 27
	v_mul_lo_u32 v126, s18, v126
	s_delay_alu instid0(VALU_DEP_2) | instskip(NEXT) | instid1(VALU_DEP_2)
	v_mad_u64_u32 v[140:141], null, s18, v125, 0
	v_add3_u32 v135, v135, v126, v127
	v_add_co_ci_u32_e32 v126, vcc_lo, 0, v133, vcc_lo
	v_mul_lo_u32 v127, s19, v125
	v_add_co_u32 v125, vcc_lo, v0, 26
	s_delay_alu instid0(VALU_DEP_3) | instskip(NEXT) | instid1(VALU_DEP_2)
	v_mul_lo_u32 v126, s18, v126
	v_mad_u64_u32 v[142:143], null, s18, v125, 0
	s_delay_alu instid0(VALU_DEP_2) | instskip(SKIP_3) | instid1(VALU_DEP_3)
	v_add3_u32 v141, v141, v126, v127
	v_add_co_ci_u32_e32 v126, vcc_lo, 0, v133, vcc_lo
	v_mul_lo_u32 v127, s19, v125
	v_add_co_u32 v125, vcc_lo, v0, 25
	v_mul_lo_u32 v126, s18, v126
	s_delay_alu instid0(VALU_DEP_2) | instskip(NEXT) | instid1(VALU_DEP_2)
	v_mad_u64_u32 v[144:145], null, s18, v125, 0
	v_add3_u32 v143, v143, v126, v127
	v_add_co_ci_u32_e32 v126, vcc_lo, 0, v133, vcc_lo
	v_mul_lo_u32 v127, s19, v125
	v_add_co_u32 v125, vcc_lo, v0, 24
	s_delay_alu instid0(VALU_DEP_3) | instskip(NEXT) | instid1(VALU_DEP_2)
	v_mul_lo_u32 v126, s18, v126
	v_mad_u64_u32 v[146:147], null, s18, v125, 0
	s_delay_alu instid0(VALU_DEP_2) | instskip(SKIP_3) | instid1(VALU_DEP_3)
	;; [unrolled: 15-line block ×12, first 2 shown]
	v_add3_u32 v245, v245, v126, v127
	v_add_co_ci_u32_e32 v126, vcc_lo, 0, v133, vcc_lo
	v_mul_lo_u32 v127, s19, v125
	v_add_co_u32 v125, vcc_lo, v0, 3
	v_mul_lo_u32 v126, s18, v126
	s_delay_alu instid0(VALU_DEP_2) | instskip(NEXT) | instid1(VALU_DEP_2)
	v_mad_u64_u32 v[252:253], null, s18, v125, 0
	v_add3_u32 v249, v249, v126, v127
	v_add_co_ci_u32_e32 v126, vcc_lo, 0, v133, vcc_lo
	v_mul_lo_u32 v127, s19, v125
	v_add_co_u32 v0, vcc_lo, v0, 2
	s_delay_alu instid0(VALU_DEP_3) | instskip(SKIP_1) | instid1(VALU_DEP_3)
	v_mul_lo_u32 v126, s18, v126
	v_add_co_ci_u32_e32 v125, vcc_lo, 0, v133, vcc_lo
	v_mul_lo_u32 v128, s19, v0
	s_delay_alu instid0(VALU_DEP_3) | instskip(NEXT) | instid1(VALU_DEP_3)
	v_add3_u32 v253, v253, v126, v127
	v_mul_lo_u32 v127, s18, v125
	v_mad_u64_u32 v[125:126], null, s18, v0, 0
	s_delay_alu instid0(VALU_DEP_1)
	v_add3_u32 v126, v126, v127, v128
	v_add_co_u32 v127, vcc_lo, v136, s18
	v_add_co_ci_u32_e32 v128, vcc_lo, s19, v137, vcc_lo
	v_add_co_u32 v136, vcc_lo, s20, v138
	v_add_co_ci_u32_e32 v137, vcc_lo, s21, v139, vcc_lo
	v_add_co_u32 v138, vcc_lo, s22, v138
	v_add_co_ci_u32_e32 v139, vcc_lo, s23, v139, vcc_lo
	v_add_co_u32 v0, vcc_lo, s20, v178
	v_lshlrev_b64 v[125:126], 2, v[125:126]
	scratch_store_b32 off, v0, off          ; 4-byte Folded Spill
	v_add_co_ci_u32_e32 v0, vcc_lo, s21, v179, vcc_lo
	scratch_store_b32 off, v0, off offset:4 ; 4-byte Folded Spill
	v_add_co_u32 v0, vcc_lo, s22, v178
	scratch_store_b32 off, v0, off offset:8 ; 4-byte Folded Spill
	v_add_co_ci_u32_e32 v0, vcc_lo, s23, v179, vcc_lo
	scratch_store_b32 off, v0, off offset:12 ; 4-byte Folded Spill
	v_add_co_u32 v0, vcc_lo, s20, v129
	scratch_store_b32 off, v0, off offset:16 ; 4-byte Folded Spill
	;; [unrolled: 4-line block ×3, first 2 shown]
	v_add_co_ci_u32_e32 v0, vcc_lo, s23, v130, vcc_lo
	v_lshlrev_b64 v[129:130], 2, v[131:132]
	v_mov_b32_e32 v131, v226
	s_clause 0x1
	scratch_store_b32 off, v0, off offset:28
	scratch_store_b32 off, v131, off offset:312
	v_add_co_u32 v0, vcc_lo, s20, v129
	scratch_store_b32 off, v0, off offset:32 ; 4-byte Folded Spill
	v_add_co_ci_u32_e32 v0, vcc_lo, s21, v130, vcc_lo
	scratch_store_b32 off, v0, off offset:36 ; 4-byte Folded Spill
	v_add_co_u32 v0, vcc_lo, s22, v129
	scratch_store_b32 off, v0, off offset:40 ; 4-byte Folded Spill
	v_add_co_ci_u32_e32 v0, vcc_lo, s23, v130, vcc_lo
	v_lshlrev_b64 v[129:130], 2, v[134:135]
	scratch_store_b32 off, v0, off offset:44 ; 4-byte Folded Spill
	v_add_co_u32 v0, vcc_lo, s20, v129
	scratch_store_b32 off, v0, off offset:48 ; 4-byte Folded Spill
	v_add_co_ci_u32_e32 v0, vcc_lo, s21, v130, vcc_lo
	scratch_store_b32 off, v0, off offset:52 ; 4-byte Folded Spill
	v_add_co_u32 v0, vcc_lo, s22, v129
	scratch_store_b32 off, v0, off offset:56 ; 4-byte Folded Spill
	v_add_co_ci_u32_e32 v0, vcc_lo, s23, v130, vcc_lo
	v_lshlrev_b64 v[129:130], 2, v[140:141]
	scratch_store_b32 off, v0, off offset:60 ; 4-byte Folded Spill
	;; [unrolled: 9-line block ×4, first 2 shown]
	v_add_co_u32 v0, vcc_lo, s20, v129
	scratch_store_b32 off, v0, off offset:96 ; 4-byte Folded Spill
	v_add_co_ci_u32_e32 v0, vcc_lo, s21, v130, vcc_lo
	scratch_store_b32 off, v0, off offset:100 ; 4-byte Folded Spill
	v_add_co_u32 v0, vcc_lo, s22, v129
	scratch_store_b32 off, v0, off offset:104 ; 4-byte Folded Spill
	v_add_co_ci_u32_e32 v0, vcc_lo, s23, v130, vcc_lo
	v_lshlrev_b64 v[129:130], 2, v[146:147]
	v_mov_b32_e32 v146, 0
	scratch_store_b32 off, v0, off offset:108 ; 4-byte Folded Spill
	v_add_co_u32 v0, vcc_lo, s20, v129
	scratch_store_b32 off, v0, off offset:112 ; 4-byte Folded Spill
	v_add_co_ci_u32_e32 v0, vcc_lo, s21, v130, vcc_lo
	scratch_store_b32 off, v0, off offset:116 ; 4-byte Folded Spill
	v_add_co_u32 v0, vcc_lo, s22, v129
	scratch_store_b32 off, v0, off offset:120 ; 4-byte Folded Spill
	v_add_co_ci_u32_e32 v0, vcc_lo, s23, v130, vcc_lo
	v_lshlrev_b64 v[129:130], 2, v[148:149]
	scratch_store_b32 off, v0, off offset:124 ; 4-byte Folded Spill
	v_add_co_u32 v0, vcc_lo, s20, v129
	scratch_store_b32 off, v0, off offset:128 ; 4-byte Folded Spill
	v_add_co_ci_u32_e32 v0, vcc_lo, s21, v130, vcc_lo
	scratch_store_b32 off, v0, off offset:132 ; 4-byte Folded Spill
	v_add_co_u32 v0, vcc_lo, s22, v129
	scratch_store_b32 off, v0, off offset:136 ; 4-byte Folded Spill
	v_add_co_ci_u32_e32 v0, vcc_lo, s23, v130, vcc_lo
	v_lshlrev_b64 v[129:130], 2, v[150:151]
	;; [unrolled: 9-line block ×6, first 2 shown]
	scratch_store_b32 off, v0, off offset:204 ; 4-byte Folded Spill
	v_add_co_u32 v192, vcc_lo, s20, v129
	v_add_co_ci_u32_e32 v193, vcc_lo, s21, v130, vcc_lo
	v_add_co_u32 v194, vcc_lo, s22, v129
	v_add_co_ci_u32_e32 v195, vcc_lo, s23, v130, vcc_lo
	v_lshlrev_b64 v[129:130], 2, v[160:161]
	s_delay_alu instid0(VALU_DEP_1) | instskip(NEXT) | instid1(VALU_DEP_2)
	v_add_co_u32 v196, vcc_lo, s20, v129
	v_add_co_ci_u32_e32 v197, vcc_lo, s21, v130, vcc_lo
	v_add_co_u32 v198, vcc_lo, s22, v129
	v_add_co_ci_u32_e32 v199, vcc_lo, s23, v130, vcc_lo
	v_lshlrev_b64 v[129:130], 2, v[162:163]
	s_delay_alu instid0(VALU_DEP_1) | instskip(NEXT) | instid1(VALU_DEP_2)
	;; [unrolled: 6-line block ×15, first 2 shown]
	v_add_co_u32 v252, vcc_lo, s20, v129
	v_add_co_ci_u32_e32 v253, vcc_lo, s21, v130, vcc_lo
	v_add_co_u32 v254, vcc_lo, s22, v129
	v_add_co_ci_u32_e32 v255, vcc_lo, s23, v130, vcc_lo
	v_add_co_u32 v134, vcc_lo, s20, v125
	v_add_co_ci_u32_e32 v0, vcc_lo, s21, v126, vcc_lo
	v_add_co_u32 v133, vcc_lo, s22, v125
	v_add_co_ci_u32_e32 v135, vcc_lo, s23, v126, vcc_lo
	v_lshlrev_b64 v[125:126], 2, v[127:128]
	v_mov_b32_e32 v127, 0
	s_delay_alu instid0(VALU_DEP_2) | instskip(NEXT) | instid1(VALU_DEP_3)
	v_add_co_u32 v140, vcc_lo, s20, v125
	v_add_co_ci_u32_e32 v141, vcc_lo, s21, v126, vcc_lo
	v_add_co_u32 v142, vcc_lo, s22, v125
	v_and_b32_e32 v125, 0x3ff, v131
	v_add_co_ci_u32_e32 v143, vcc_lo, s23, v126, vcc_lo
	v_mov_b32_e32 v126, 0
	s_clause 0x1
	scratch_store_b32 off, v127, off offset:208
	scratch_store_b32 off, v125, off offset:308
	v_add_nc_u32_e32 v125, s15, v125
	s_mov_b64 s[20:21], 31
	v_mov_b32_e32 v144, v126
	s_mov_b64 s[22:23], s[6:7]
	s_delay_alu instid0(VALU_DEP_2)
	v_lshlrev_b64 v[127:128], 2, v[125:126]
.LBB51_145:                             ; =>This Inner Loop Header: Depth=1
	s_add_u32 s24, s6, s20
	s_addc_u32 s25, 0, s21
	v_add_co_u32 v129, vcc_lo, s6, v180
	v_cmp_ge_i64_e64 s7, s[24:25], s[16:17]
	v_add_co_ci_u32_e32 v130, vcc_lo, 0, v144, vcc_lo
	scratch_store_b32 off, v180, off offset:212 ; 4-byte Folded Spill
	s_and_b32 vcc_lo, exec_lo, s7
	s_cbranch_vccz .LBB51_213
; %bb.146:                              ;   in Loop: Header=BB51_145 Depth=1
	s_load_b32 s7, s[4:5], 0xc
	s_clause 0x1
	scratch_load_b32 v125, off, off offset:304
	scratch_load_b32 v131, off, off offset:308
	v_dual_mov_b32 v147, 0 :: v_dual_mov_b32 v180, 0
	s_waitcnt lgkmcnt(0)
	s_and_b32 s7, s7, 0xffff
	s_waitcnt vmcnt(0)
	v_mad_u32_u24 v125, v125, s7, v131
	s_mov_b32 s7, exec_lo
	s_delay_alu instid0(VALU_DEP_1) | instskip(NEXT) | instid1(VALU_DEP_1)
	v_and_b32_e32 v125, 31, v125
	v_add_co_u32 v131, vcc_lo, v129, v125
	v_add_co_ci_u32_e32 v132, vcc_lo, 0, v130, vcc_lo
	v_mov_b32_e32 v125, 0
	s_delay_alu instid0(VALU_DEP_2)
	v_cmpx_gt_i64_e64 s[16:17], v[131:132]
	s_cbranch_execz .LBB51_148
; %bb.147:                              ;   in Loop: Header=BB51_145 Depth=1
	v_lshlrev_b64 v[131:132], 2, v[131:132]
	s_delay_alu instid0(VALU_DEP_1) | instskip(NEXT) | instid1(VALU_DEP_2)
	v_add_co_u32 v147, vcc_lo, s8, v131
	v_add_co_ci_u32_e32 v148, vcc_lo, s9, v132, vcc_lo
	v_add_co_u32 v131, vcc_lo, s10, v131
	v_add_co_ci_u32_e32 v132, vcc_lo, s11, v132, vcc_lo
	global_load_b32 v125, v[147:148], off
	global_load_b32 v147, v[131:132], off
.LBB51_148:                             ;   in Loop: Header=BB51_145 Depth=1
	s_or_b32 exec_lo, exec_lo, s7
	v_mov_b32_e32 v189, 0
	s_mov_b32 s7, exec_lo
	v_cmpx_gt_i64_e64 s[16:17], v[129:130]
	s_cbranch_execz .LBB51_150
; %bb.149:                              ;   in Loop: Header=BB51_145 Depth=1
	v_add_co_u32 v131, vcc_lo, v136, v127
	v_add_co_ci_u32_e32 v132, vcc_lo, v137, v128, vcc_lo
	v_add_co_u32 v148, vcc_lo, v138, v127
	v_add_co_ci_u32_e32 v149, vcc_lo, v139, v128, vcc_lo
	global_load_b32 v180, v[131:132], off
	global_load_b32 v189, v[148:149], off
.LBB51_150:                             ;   in Loop: Header=BB51_145 Depth=1
	s_or_b32 exec_lo, exec_lo, s7
	v_add_co_u32 v131, vcc_lo, v129, 1
	v_add_co_ci_u32_e32 v132, vcc_lo, 0, v130, vcc_lo
	v_mov_b32_e32 v145, 0
	v_mov_b32_e32 v181, 0
	;; [unrolled: 1-line block ×3, first 2 shown]
	s_mov_b32 s7, exec_lo
	v_cmpx_gt_i64_e64 s[16:17], v[131:132]
	s_cbranch_execz .LBB51_152
; %bb.151:                              ;   in Loop: Header=BB51_145 Depth=1
	v_add_co_u32 v131, vcc_lo, v140, v127
	v_add_co_ci_u32_e32 v132, vcc_lo, v141, v128, vcc_lo
	v_add_co_u32 v148, vcc_lo, v142, v127
	v_add_co_ci_u32_e32 v149, vcc_lo, v143, v128, vcc_lo
	global_load_b32 v181, v[131:132], off
	global_load_b32 v191, v[148:149], off
.LBB51_152:                             ;   in Loop: Header=BB51_145 Depth=1
	s_or_b32 exec_lo, exec_lo, s7
	v_add_co_u32 v131, vcc_lo, v129, 2
	v_add_co_ci_u32_e32 v132, vcc_lo, 0, v130, vcc_lo
	s_delay_alu instid0(VALU_DEP_1)
	v_cmp_gt_i64_e32 vcc_lo, s[16:17], v[131:132]
	v_mov_b32_e32 v131, 0
	scratch_store_b32 off, v131, off offset:228 ; 4-byte Folded Spill
	s_and_saveexec_b32 s7, vcc_lo
	s_cbranch_execz .LBB51_154
; %bb.153:                              ;   in Loop: Header=BB51_145 Depth=1
	v_add_co_u32 v131, vcc_lo, v134, v127
	v_add_co_ci_u32_e32 v132, vcc_lo, v0, v128, vcc_lo
	v_add_co_u32 v148, vcc_lo, v133, v127
	v_add_co_ci_u32_e32 v149, vcc_lo, v135, v128, vcc_lo
	global_load_b32 v145, v[131:132], off
	global_load_b32 v131, v[148:149], off
	s_waitcnt vmcnt(0)
	scratch_store_b32 off, v131, off offset:228 ; 4-byte Folded Spill
.LBB51_154:                             ;   in Loop: Header=BB51_145 Depth=1
	s_or_b32 exec_lo, exec_lo, s7
	v_add_co_u32 v131, vcc_lo, v129, 3
	v_add_co_ci_u32_e32 v132, vcc_lo, 0, v130, vcc_lo
	v_mov_b32_e32 v182, 0
	s_delay_alu instid0(VALU_DEP_2)
	v_cmp_gt_i64_e32 vcc_lo, s[16:17], v[131:132]
	v_mov_b32_e32 v131, 0
	scratch_store_b32 off, v131, off offset:216 ; 4-byte Folded Spill
	v_mov_b32_e32 v131, 0
	scratch_store_b32 off, v131, off offset:232 ; 4-byte Folded Spill
	s_and_saveexec_b32 s7, vcc_lo
	s_cbranch_execz .LBB51_156
; %bb.155:                              ;   in Loop: Header=BB51_145 Depth=1
	v_add_co_u32 v131, vcc_lo, v252, v127
	v_add_co_ci_u32_e32 v132, vcc_lo, v253, v128, vcc_lo
	v_add_co_u32 v148, vcc_lo, v254, v127
	v_add_co_ci_u32_e32 v149, vcc_lo, v255, v128, vcc_lo
	global_load_b32 v131, v[131:132], off
	s_waitcnt vmcnt(0)
	scratch_store_b32 off, v131, off offset:216 ; 4-byte Folded Spill
	global_load_b32 v131, v[148:149], off
	s_waitcnt vmcnt(0)
	scratch_store_b32 off, v131, off offset:232 ; 4-byte Folded Spill
.LBB51_156:                             ;   in Loop: Header=BB51_145 Depth=1
	s_or_b32 exec_lo, exec_lo, s7
	v_add_co_u32 v131, vcc_lo, v129, 4
	v_add_co_ci_u32_e32 v132, vcc_lo, 0, v130, vcc_lo
	s_delay_alu instid0(VALU_DEP_1)
	v_cmp_gt_i64_e32 vcc_lo, s[16:17], v[131:132]
	v_mov_b32_e32 v131, 0
	scratch_store_b32 off, v131, off offset:236 ; 4-byte Folded Spill
	s_and_saveexec_b32 s7, vcc_lo
	s_cbranch_execz .LBB51_158
; %bb.157:                              ;   in Loop: Header=BB51_145 Depth=1
	v_add_co_u32 v131, vcc_lo, v248, v127
	v_add_co_ci_u32_e32 v132, vcc_lo, v249, v128, vcc_lo
	v_add_co_u32 v148, vcc_lo, v250, v127
	v_add_co_ci_u32_e32 v149, vcc_lo, v251, v128, vcc_lo
	global_load_b32 v182, v[131:132], off
	global_load_b32 v131, v[148:149], off
	s_waitcnt vmcnt(0)
	scratch_store_b32 off, v131, off offset:236 ; 4-byte Folded Spill
.LBB51_158:                             ;   in Loop: Header=BB51_145 Depth=1
	s_or_b32 exec_lo, exec_lo, s7
	v_add_co_u32 v131, vcc_lo, v129, 5
	v_add_co_ci_u32_e32 v132, vcc_lo, 0, v130, vcc_lo
	v_dual_mov_b32 v186, 0 :: v_dual_mov_b32 v187, 0
	s_delay_alu instid0(VALU_DEP_2)
	v_cmp_gt_i64_e32 vcc_lo, s[16:17], v[131:132]
	v_mov_b32_e32 v131, 0
	scratch_store_b32 off, v131, off offset:240 ; 4-byte Folded Spill
	s_and_saveexec_b32 s7, vcc_lo
	s_cbranch_execz .LBB51_160
; %bb.159:                              ;   in Loop: Header=BB51_145 Depth=1
	v_add_co_u32 v131, vcc_lo, v244, v127
	v_add_co_ci_u32_e32 v132, vcc_lo, v245, v128, vcc_lo
	v_add_co_u32 v148, vcc_lo, v246, v127
	v_add_co_ci_u32_e32 v149, vcc_lo, v247, v128, vcc_lo
	global_load_b32 v187, v[131:132], off
	global_load_b32 v131, v[148:149], off
	s_waitcnt vmcnt(0)
	scratch_store_b32 off, v131, off offset:240 ; 4-byte Folded Spill
.LBB51_160:                             ;   in Loop: Header=BB51_145 Depth=1
	s_or_b32 exec_lo, exec_lo, s7
	v_add_co_u32 v131, vcc_lo, v129, 6
	v_add_co_ci_u32_e32 v132, vcc_lo, 0, v130, vcc_lo
	s_delay_alu instid0(VALU_DEP_1)
	v_cmp_gt_i64_e32 vcc_lo, s[16:17], v[131:132]
	v_mov_b32_e32 v131, 0
	scratch_store_b32 off, v131, off offset:244 ; 4-byte Folded Spill
	s_and_saveexec_b32 s7, vcc_lo
	s_cbranch_execz .LBB51_162
; %bb.161:                              ;   in Loop: Header=BB51_145 Depth=1
	v_add_co_u32 v131, vcc_lo, v240, v127
	v_add_co_ci_u32_e32 v132, vcc_lo, v241, v128, vcc_lo
	v_add_co_u32 v148, vcc_lo, v242, v127
	v_add_co_ci_u32_e32 v149, vcc_lo, v243, v128, vcc_lo
	global_load_b32 v186, v[131:132], off
	global_load_b32 v131, v[148:149], off
	s_waitcnt vmcnt(0)
	scratch_store_b32 off, v131, off offset:244 ; 4-byte Folded Spill
.LBB51_162:                             ;   in Loop: Header=BB51_145 Depth=1
	s_or_b32 exec_lo, exec_lo, s7
	v_add_co_u32 v131, vcc_lo, v129, 7
	v_add_co_ci_u32_e32 v132, vcc_lo, 0, v130, vcc_lo
	v_mov_b32_e32 v188, 0
	s_delay_alu instid0(VALU_DEP_2)
	v_cmp_gt_i64_e32 vcc_lo, s[16:17], v[131:132]
	v_mov_b32_e32 v131, 0
	scratch_store_b32 off, v131, off offset:220 ; 4-byte Folded Spill
	v_mov_b32_e32 v131, 0
	scratch_store_b32 off, v131, off offset:248 ; 4-byte Folded Spill
	s_and_saveexec_b32 s7, vcc_lo
	s_cbranch_execz .LBB51_164
; %bb.163:                              ;   in Loop: Header=BB51_145 Depth=1
	v_add_co_u32 v131, vcc_lo, v236, v127
	v_add_co_ci_u32_e32 v132, vcc_lo, v237, v128, vcc_lo
	v_add_co_u32 v148, vcc_lo, v238, v127
	v_add_co_ci_u32_e32 v149, vcc_lo, v239, v128, vcc_lo
	global_load_b32 v131, v[131:132], off
	s_waitcnt vmcnt(0)
	scratch_store_b32 off, v131, off offset:220 ; 4-byte Folded Spill
	global_load_b32 v131, v[148:149], off
	s_waitcnt vmcnt(0)
	scratch_store_b32 off, v131, off offset:248 ; 4-byte Folded Spill
.LBB51_164:                             ;   in Loop: Header=BB51_145 Depth=1
	s_or_b32 exec_lo, exec_lo, s7
	v_add_co_u32 v131, vcc_lo, v129, 8
	v_add_co_ci_u32_e32 v132, vcc_lo, 0, v130, vcc_lo
	s_delay_alu instid0(VALU_DEP_1)
	v_cmp_gt_i64_e32 vcc_lo, s[16:17], v[131:132]
	v_mov_b32_e32 v131, 0
	scratch_store_b32 off, v131, off offset:252 ; 4-byte Folded Spill
	s_and_saveexec_b32 s7, vcc_lo
	s_cbranch_execz .LBB51_166
; %bb.165:                              ;   in Loop: Header=BB51_145 Depth=1
	v_add_co_u32 v131, vcc_lo, v232, v127
	v_add_co_ci_u32_e32 v132, vcc_lo, v233, v128, vcc_lo
	v_add_co_u32 v148, vcc_lo, v234, v127
	v_add_co_ci_u32_e32 v149, vcc_lo, v235, v128, vcc_lo
	global_load_b32 v188, v[131:132], off
	global_load_b32 v131, v[148:149], off
	s_waitcnt vmcnt(0)
	scratch_store_b32 off, v131, off offset:252 ; 4-byte Folded Spill
.LBB51_166:                             ;   in Loop: Header=BB51_145 Depth=1
	s_or_b32 exec_lo, exec_lo, s7
	v_add_co_u32 v131, vcc_lo, v129, 9
	v_add_co_ci_u32_e32 v132, vcc_lo, 0, v130, vcc_lo
	v_mov_b32_e32 v148, 0
	v_mov_b32_e32 v190, 0
	s_delay_alu instid0(VALU_DEP_3)
	v_cmp_gt_i64_e32 vcc_lo, s[16:17], v[131:132]
	v_mov_b32_e32 v131, 0
	s_clause 0x1
	scratch_store_b32 off, v148, off offset:224
	scratch_store_b32 off, v131, off offset:256
	s_and_saveexec_b32 s7, vcc_lo
	s_cbranch_execz .LBB51_168
; %bb.167:                              ;   in Loop: Header=BB51_145 Depth=1
	v_add_co_u32 v131, vcc_lo, v228, v127
	v_add_co_ci_u32_e32 v132, vcc_lo, v229, v128, vcc_lo
	v_add_co_u32 v148, vcc_lo, v230, v127
	v_add_co_ci_u32_e32 v149, vcc_lo, v231, v128, vcc_lo
	global_load_b32 v190, v[131:132], off
	global_load_b32 v131, v[148:149], off
	s_waitcnt vmcnt(0)
	scratch_store_b32 off, v131, off offset:256 ; 4-byte Folded Spill
.LBB51_168:                             ;   in Loop: Header=BB51_145 Depth=1
	s_or_b32 exec_lo, exec_lo, s7
	v_add_co_u32 v131, vcc_lo, v129, 10
	v_add_co_ci_u32_e32 v132, vcc_lo, 0, v130, vcc_lo
	s_delay_alu instid0(VALU_DEP_1)
	v_cmp_gt_i64_e32 vcc_lo, s[16:17], v[131:132]
	v_mov_b32_e32 v131, 0
	scratch_store_b32 off, v131, off offset:260 ; 4-byte Folded Spill
	s_and_saveexec_b32 s7, vcc_lo
	s_cbranch_execz .LBB51_170
; %bb.169:                              ;   in Loop: Header=BB51_145 Depth=1
	v_add_co_u32 v131, vcc_lo, v224, v127
	v_add_co_ci_u32_e32 v132, vcc_lo, v225, v128, vcc_lo
	v_add_co_u32 v148, vcc_lo, v226, v127
	v_add_co_ci_u32_e32 v149, vcc_lo, v227, v128, vcc_lo
	global_load_b32 v131, v[131:132], off
	s_waitcnt vmcnt(0)
	scratch_store_b32 off, v131, off offset:224 ; 4-byte Folded Spill
	global_load_b32 v131, v[148:149], off
	s_waitcnt vmcnt(0)
	scratch_store_b32 off, v131, off offset:260 ; 4-byte Folded Spill
.LBB51_170:                             ;   in Loop: Header=BB51_145 Depth=1
	s_or_b32 exec_lo, exec_lo, s7
	v_add_co_u32 v131, vcc_lo, v129, 11
	v_add_co_ci_u32_e32 v132, vcc_lo, 0, v130, vcc_lo
	v_dual_mov_b32 v148, 0 :: v_dual_mov_b32 v149, 0
	s_delay_alu instid0(VALU_DEP_2)
	v_cmp_gt_i64_e32 vcc_lo, s[16:17], v[131:132]
	v_mov_b32_e32 v131, 0
	scratch_store_b32 off, v131, off offset:264 ; 4-byte Folded Spill
	s_and_saveexec_b32 s7, vcc_lo
	s_cbranch_execz .LBB51_172
; %bb.171:                              ;   in Loop: Header=BB51_145 Depth=1
	v_add_co_u32 v131, vcc_lo, v220, v127
	v_add_co_ci_u32_e32 v132, vcc_lo, v221, v128, vcc_lo
	v_add_co_u32 v150, vcc_lo, v222, v127
	v_add_co_ci_u32_e32 v151, vcc_lo, v223, v128, vcc_lo
	global_load_b32 v149, v[131:132], off
	global_load_b32 v131, v[150:151], off
	s_waitcnt vmcnt(0)
	scratch_store_b32 off, v131, off offset:264 ; 4-byte Folded Spill
.LBB51_172:                             ;   in Loop: Header=BB51_145 Depth=1
	s_or_b32 exec_lo, exec_lo, s7
	v_add_co_u32 v131, vcc_lo, v129, 12
	v_add_co_ci_u32_e32 v132, vcc_lo, 0, v130, vcc_lo
	s_delay_alu instid0(VALU_DEP_1)
	v_cmp_gt_i64_e32 vcc_lo, s[16:17], v[131:132]
	v_mov_b32_e32 v131, 0
	scratch_store_b32 off, v131, off offset:268 ; 4-byte Folded Spill
	s_and_saveexec_b32 s7, vcc_lo
	s_cbranch_execz .LBB51_174
; %bb.173:                              ;   in Loop: Header=BB51_145 Depth=1
	v_add_co_u32 v131, vcc_lo, v216, v127
	v_add_co_ci_u32_e32 v132, vcc_lo, v217, v128, vcc_lo
	v_add_co_u32 v150, vcc_lo, v218, v127
	v_add_co_ci_u32_e32 v151, vcc_lo, v219, v128, vcc_lo
	global_load_b32 v148, v[131:132], off
	global_load_b32 v131, v[150:151], off
	s_waitcnt vmcnt(0)
	scratch_store_b32 off, v131, off offset:268 ; 4-byte Folded Spill
.LBB51_174:                             ;   in Loop: Header=BB51_145 Depth=1
	s_or_b32 exec_lo, exec_lo, s7
	v_add_co_u32 v131, vcc_lo, v129, 13
	v_add_co_ci_u32_e32 v132, vcc_lo, 0, v130, vcc_lo
	v_mov_b32_e32 v150, 0
	s_delay_alu instid0(VALU_DEP_2)
	v_cmp_gt_i64_e32 vcc_lo, s[16:17], v[131:132]
	v_dual_mov_b32 v131, 0 :: v_dual_mov_b32 v132, 0
	scratch_store_b32 off, v132, off offset:276 ; 4-byte Folded Spill
	s_and_saveexec_b32 s7, vcc_lo
	s_cbranch_execz .LBB51_176
; %bb.175:                              ;   in Loop: Header=BB51_145 Depth=1
	v_add_co_u32 v131, vcc_lo, v212, v127
	v_add_co_ci_u32_e32 v132, vcc_lo, v213, v128, vcc_lo
	v_add_co_u32 v151, vcc_lo, v214, v127
	v_add_co_ci_u32_e32 v152, vcc_lo, v215, v128, vcc_lo
	global_load_b32 v131, v[131:132], off
	global_load_b32 v132, v[151:152], off
	s_waitcnt vmcnt(0)
	scratch_store_b32 off, v132, off offset:276 ; 4-byte Folded Spill
.LBB51_176:                             ;   in Loop: Header=BB51_145 Depth=1
	s_or_b32 exec_lo, exec_lo, s7
	v_add_co_u32 v151, vcc_lo, v129, 14
	v_add_co_ci_u32_e32 v152, vcc_lo, 0, v130, vcc_lo
	v_mov_b32_e32 v132, 0
	s_mov_b32 s7, exec_lo
	scratch_store_b32 off, v132, off offset:284 ; 4-byte Folded Spill
	v_cmpx_gt_i64_e64 s[16:17], v[151:152]
	s_cbranch_execz .LBB51_178
; %bb.177:                              ;   in Loop: Header=BB51_145 Depth=1
	v_add_co_u32 v150, vcc_lo, v208, v127
	v_add_co_ci_u32_e32 v151, vcc_lo, v209, v128, vcc_lo
	v_add_co_u32 v152, vcc_lo, v210, v127
	v_add_co_ci_u32_e32 v153, vcc_lo, v211, v128, vcc_lo
	global_load_b32 v150, v[150:151], off
	global_load_b32 v132, v[152:153], off
	s_waitcnt vmcnt(0)
	scratch_store_b32 off, v132, off offset:284 ; 4-byte Folded Spill
.LBB51_178:                             ;   in Loop: Header=BB51_145 Depth=1
	s_or_b32 exec_lo, exec_lo, s7
	v_add_co_u32 v152, vcc_lo, v129, 15
	v_add_co_ci_u32_e32 v153, vcc_lo, 0, v130, vcc_lo
	v_dual_mov_b32 v151, 0 :: v_dual_mov_b32 v132, 0
	s_delay_alu instid0(VALU_DEP_2)
	v_cmp_gt_i64_e32 vcc_lo, s[16:17], v[152:153]
	v_mov_b32_e32 v152, 0
	scratch_store_b32 off, v132, off offset:292 ; 4-byte Folded Spill
	s_and_saveexec_b32 s7, vcc_lo
	s_cbranch_execz .LBB51_180
; %bb.179:                              ;   in Loop: Header=BB51_145 Depth=1
	v_add_co_u32 v152, vcc_lo, v204, v127
	v_add_co_ci_u32_e32 v153, vcc_lo, v205, v128, vcc_lo
	v_add_co_u32 v154, vcc_lo, v206, v127
	v_add_co_ci_u32_e32 v155, vcc_lo, v207, v128, vcc_lo
	global_load_b32 v152, v[152:153], off
	global_load_b32 v132, v[154:155], off
	s_waitcnt vmcnt(0)
	scratch_store_b32 off, v132, off offset:292 ; 4-byte Folded Spill
.LBB51_180:                             ;   in Loop: Header=BB51_145 Depth=1
	s_or_b32 exec_lo, exec_lo, s7
	v_add_co_u32 v153, vcc_lo, v129, 16
	v_add_co_ci_u32_e32 v154, vcc_lo, 0, v130, vcc_lo
	v_mov_b32_e32 v132, 0
	s_mov_b32 s7, exec_lo
	scratch_store_b32 off, v132, off offset:272 ; 4-byte Folded Spill
	v_cmpx_gt_i64_e64 s[16:17], v[153:154]
	s_cbranch_execz .LBB51_182
; %bb.181:                              ;   in Loop: Header=BB51_145 Depth=1
	v_add_co_u32 v153, vcc_lo, v200, v127
	v_add_co_ci_u32_e32 v154, vcc_lo, v201, v128, vcc_lo
	v_add_co_u32 v155, vcc_lo, v202, v127
	v_add_co_ci_u32_e32 v156, vcc_lo, v203, v128, vcc_lo
	global_load_b32 v151, v[153:154], off
	global_load_b32 v132, v[155:156], off
	s_waitcnt vmcnt(0)
	scratch_store_b32 off, v132, off offset:272 ; 4-byte Folded Spill
.LBB51_182:                             ;   in Loop: Header=BB51_145 Depth=1
	s_or_b32 exec_lo, exec_lo, s7
	v_add_co_u32 v154, vcc_lo, v129, 17
	v_add_co_ci_u32_e32 v155, vcc_lo, 0, v130, vcc_lo
	v_dual_mov_b32 v153, 0 :: v_dual_mov_b32 v132, 0
	s_delay_alu instid0(VALU_DEP_2)
	v_cmp_gt_i64_e32 vcc_lo, s[16:17], v[154:155]
	v_mov_b32_e32 v154, 0
	;; [unrolled: 38-line block ×3, first 2 shown]
	scratch_store_b32 off, v132, off offset:296 ; 4-byte Folded Spill
	s_and_saveexec_b32 s7, vcc_lo
	s_cbranch_execz .LBB51_188
; %bb.187:                              ;   in Loop: Header=BB51_145 Depth=1
	scratch_load_b32 v132, off, off offset:192 ; 4-byte Folded Reload
	s_waitcnt vmcnt(0)
	v_add_co_u32 v156, vcc_lo, v132, v127
	scratch_load_b32 v132, off, off offset:196 ; 4-byte Folded Reload
	s_waitcnt vmcnt(0)
	v_add_co_ci_u32_e32 v157, vcc_lo, v132, v128, vcc_lo
	scratch_load_b32 v132, off, off offset:200 ; 4-byte Folded Reload
	s_waitcnt vmcnt(0)
	v_add_co_u32 v158, vcc_lo, v132, v127
	scratch_load_b32 v132, off, off offset:204 ; 4-byte Folded Reload
	s_waitcnt vmcnt(0)
	v_add_co_ci_u32_e32 v159, vcc_lo, v132, v128, vcc_lo
	global_load_b32 v156, v[156:157], off
	global_load_b32 v132, v[158:159], off
	s_waitcnt vmcnt(0)
	scratch_store_b32 off, v132, off offset:296 ; 4-byte Folded Spill
.LBB51_188:                             ;   in Loop: Header=BB51_145 Depth=1
	s_or_b32 exec_lo, exec_lo, s7
	v_add_co_u32 v157, vcc_lo, v129, 20
	v_add_co_ci_u32_e32 v158, vcc_lo, 0, v130, vcc_lo
	v_mov_b32_e32 v132, 0
	s_mov_b32 s7, exec_lo
	scratch_store_b32 off, v132, off offset:300 ; 4-byte Folded Spill
	v_cmpx_gt_i64_e64 s[16:17], v[157:158]
	s_cbranch_execz .LBB51_190
; %bb.189:                              ;   in Loop: Header=BB51_145 Depth=1
	scratch_load_b32 v132, off, off offset:176 ; 4-byte Folded Reload
	s_waitcnt vmcnt(0)
	v_add_co_u32 v157, vcc_lo, v132, v127
	scratch_load_b32 v132, off, off offset:180 ; 4-byte Folded Reload
	s_waitcnt vmcnt(0)
	v_add_co_ci_u32_e32 v158, vcc_lo, v132, v128, vcc_lo
	scratch_load_b32 v132, off, off offset:184 ; 4-byte Folded Reload
	s_waitcnt vmcnt(0)
	v_add_co_u32 v159, vcc_lo, v132, v127
	scratch_load_b32 v132, off, off offset:188 ; 4-byte Folded Reload
	s_waitcnt vmcnt(0)
	v_add_co_ci_u32_e32 v160, vcc_lo, v132, v128, vcc_lo
	global_load_b32 v155, v[157:158], off
	global_load_b32 v132, v[159:160], off
	s_waitcnt vmcnt(0)
	scratch_store_b32 off, v132, off offset:300 ; 4-byte Folded Spill
.LBB51_190:                             ;   in Loop: Header=BB51_145 Depth=1
	s_or_b32 exec_lo, exec_lo, s7
	v_add_co_u32 v160, vcc_lo, v129, 21
	v_add_co_ci_u32_e32 v161, vcc_lo, 0, v130, vcc_lo
	v_dual_mov_b32 v157, 0 :: v_dual_mov_b32 v158, 0
	s_delay_alu instid0(VALU_DEP_2)
	v_cmp_gt_i64_e32 vcc_lo, s[16:17], v[160:161]
	v_mov_b32_e32 v160, 0
	s_and_saveexec_b32 s7, vcc_lo
	s_cbranch_execz .LBB51_192
; %bb.191:                              ;   in Loop: Header=BB51_145 Depth=1
	scratch_load_b32 v132, off, off offset:160 ; 4-byte Folded Reload
	s_waitcnt vmcnt(0)
	v_add_co_u32 v160, vcc_lo, v132, v127
	scratch_load_b32 v132, off, off offset:164 ; 4-byte Folded Reload
	s_waitcnt vmcnt(0)
	v_add_co_ci_u32_e32 v161, vcc_lo, v132, v128, vcc_lo
	scratch_load_b32 v132, off, off offset:168 ; 4-byte Folded Reload
	s_waitcnt vmcnt(0)
	v_add_co_u32 v162, vcc_lo, v132, v127
	scratch_load_b32 v132, off, off offset:172 ; 4-byte Folded Reload
	s_waitcnt vmcnt(0)
	v_add_co_ci_u32_e32 v163, vcc_lo, v132, v128, vcc_lo
	global_load_b32 v158, v[160:161], off
	global_load_b32 v160, v[162:163], off
.LBB51_192:                             ;   in Loop: Header=BB51_145 Depth=1
	s_or_b32 exec_lo, exec_lo, s7
	v_add_co_u32 v161, vcc_lo, v129, 22
	v_add_co_ci_u32_e32 v162, vcc_lo, 0, v130, vcc_lo
	s_delay_alu instid0(VALU_DEP_1)
	v_cmp_gt_i64_e32 vcc_lo, s[16:17], v[161:162]
	v_mov_b32_e32 v162, 0
	s_and_saveexec_b32 s7, vcc_lo
	s_cbranch_execz .LBB51_194
; %bb.193:                              ;   in Loop: Header=BB51_145 Depth=1
	scratch_load_b32 v132, off, off offset:144 ; 4-byte Folded Reload
	s_waitcnt vmcnt(0)
	v_add_co_u32 v161, vcc_lo, v132, v127
	scratch_load_b32 v132, off, off offset:148 ; 4-byte Folded Reload
	s_waitcnt vmcnt(0)
	v_add_co_ci_u32_e32 v162, vcc_lo, v132, v128, vcc_lo
	scratch_load_b32 v132, off, off offset:152 ; 4-byte Folded Reload
	s_waitcnt vmcnt(0)
	v_add_co_u32 v163, vcc_lo, v132, v127
	scratch_load_b32 v132, off, off offset:156 ; 4-byte Folded Reload
	s_waitcnt vmcnt(0)
	v_add_co_ci_u32_e32 v164, vcc_lo, v132, v128, vcc_lo
	global_load_b32 v157, v[161:162], off
	global_load_b32 v162, v[163:164], off
.LBB51_194:                             ;   in Loop: Header=BB51_145 Depth=1
	s_or_b32 exec_lo, exec_lo, s7
	v_add_co_u32 v163, vcc_lo, v129, 23
	v_add_co_ci_u32_e32 v164, vcc_lo, 0, v130, vcc_lo
	v_dual_mov_b32 v132, 0 :: v_dual_mov_b32 v161, 0
	s_delay_alu instid0(VALU_DEP_2)
	v_cmp_gt_i64_e32 vcc_lo, s[16:17], v[163:164]
	v_mov_b32_e32 v164, 0
	s_and_saveexec_b32 s7, vcc_lo
	s_cbranch_execz .LBB51_196
; %bb.195:                              ;   in Loop: Header=BB51_145 Depth=1
	scratch_load_b32 v159, off, off offset:128 ; 4-byte Folded Reload
	s_waitcnt vmcnt(0)
	v_add_co_u32 v163, vcc_lo, v159, v127
	scratch_load_b32 v159, off, off offset:132 ; 4-byte Folded Reload
	s_waitcnt vmcnt(0)
	v_add_co_ci_u32_e32 v164, vcc_lo, v159, v128, vcc_lo
	scratch_load_b32 v159, off, off offset:136 ; 4-byte Folded Reload
	s_waitcnt vmcnt(0)
	v_add_co_u32 v165, vcc_lo, v159, v127
	scratch_load_b32 v159, off, off offset:140 ; 4-byte Folded Reload
	s_waitcnt vmcnt(0)
	v_add_co_ci_u32_e32 v166, vcc_lo, v159, v128, vcc_lo
	global_load_b32 v161, v[163:164], off
	global_load_b32 v164, v[165:166], off
.LBB51_196:                             ;   in Loop: Header=BB51_145 Depth=1
	s_or_b32 exec_lo, exec_lo, s7
	v_add_co_u32 v165, vcc_lo, v129, 24
	v_add_co_ci_u32_e32 v166, vcc_lo, 0, v130, vcc_lo
	s_delay_alu instid0(VALU_DEP_1)
	v_cmp_gt_i64_e32 vcc_lo, s[16:17], v[165:166]
	v_mov_b32_e32 v166, 0
	s_and_saveexec_b32 s7, vcc_lo
	s_cbranch_execz .LBB51_198
; %bb.197:                              ;   in Loop: Header=BB51_145 Depth=1
	scratch_load_b32 v132, off, off offset:112 ; 4-byte Folded Reload
	s_waitcnt vmcnt(0)
	v_add_co_u32 v165, vcc_lo, v132, v127
	scratch_load_b32 v132, off, off offset:116 ; 4-byte Folded Reload
	s_waitcnt vmcnt(0)
	v_add_co_ci_u32_e32 v166, vcc_lo, v132, v128, vcc_lo
	scratch_load_b32 v132, off, off offset:120 ; 4-byte Folded Reload
	s_waitcnt vmcnt(0)
	v_add_co_u32 v167, vcc_lo, v132, v127
	scratch_load_b32 v132, off, off offset:124 ; 4-byte Folded Reload
	s_waitcnt vmcnt(0)
	v_add_co_ci_u32_e32 v168, vcc_lo, v132, v128, vcc_lo
	global_load_b32 v132, v[165:166], off
	global_load_b32 v166, v[167:168], off
.LBB51_198:                             ;   in Loop: Header=BB51_145 Depth=1
	s_or_b32 exec_lo, exec_lo, s7
	v_add_co_u32 v167, vcc_lo, v129, 25
	v_add_co_ci_u32_e32 v168, vcc_lo, 0, v130, vcc_lo
	v_mov_b32_e32 v163, 0
	v_mov_b32_e32 v165, 0
	s_delay_alu instid0(VALU_DEP_3)
	v_cmp_gt_i64_e32 vcc_lo, s[16:17], v[167:168]
	v_mov_b32_e32 v167, 0
	s_and_saveexec_b32 s7, vcc_lo
	s_cbranch_execz .LBB51_200
; %bb.199:                              ;   in Loop: Header=BB51_145 Depth=1
	scratch_load_b32 v159, off, off offset:96 ; 4-byte Folded Reload
	s_waitcnt vmcnt(0)
	v_add_co_u32 v167, vcc_lo, v159, v127
	scratch_load_b32 v159, off, off offset:100 ; 4-byte Folded Reload
	s_waitcnt vmcnt(0)
	v_add_co_ci_u32_e32 v168, vcc_lo, v159, v128, vcc_lo
	scratch_load_b32 v159, off, off offset:104 ; 4-byte Folded Reload
	s_waitcnt vmcnt(0)
	v_add_co_u32 v169, vcc_lo, v159, v127
	scratch_load_b32 v159, off, off offset:108 ; 4-byte Folded Reload
	s_waitcnt vmcnt(0)
	v_add_co_ci_u32_e32 v170, vcc_lo, v159, v128, vcc_lo
	global_load_b32 v165, v[167:168], off
	global_load_b32 v167, v[169:170], off
.LBB51_200:                             ;   in Loop: Header=BB51_145 Depth=1
	s_or_b32 exec_lo, exec_lo, s7
	v_add_co_u32 v168, vcc_lo, v129, 26
	v_add_co_ci_u32_e32 v169, vcc_lo, 0, v130, vcc_lo
	s_delay_alu instid0(VALU_DEP_1)
	v_cmp_gt_i64_e32 vcc_lo, s[16:17], v[168:169]
	v_mov_b32_e32 v169, 0
	s_and_saveexec_b32 s7, vcc_lo
	s_cbranch_execz .LBB51_202
; %bb.201:                              ;   in Loop: Header=BB51_145 Depth=1
	scratch_load_b32 v159, off, off offset:80 ; 4-byte Folded Reload
	s_waitcnt vmcnt(0)
	v_add_co_u32 v168, vcc_lo, v159, v127
	scratch_load_b32 v159, off, off offset:84 ; 4-byte Folded Reload
	s_waitcnt vmcnt(0)
	v_add_co_ci_u32_e32 v169, vcc_lo, v159, v128, vcc_lo
	scratch_load_b32 v159, off, off offset:88 ; 4-byte Folded Reload
	s_waitcnt vmcnt(0)
	v_add_co_u32 v170, vcc_lo, v159, v127
	scratch_load_b32 v159, off, off offset:92 ; 4-byte Folded Reload
	s_waitcnt vmcnt(0)
	v_add_co_ci_u32_e32 v171, vcc_lo, v159, v128, vcc_lo
	global_load_b32 v163, v[168:169], off
	global_load_b32 v169, v[170:171], off
.LBB51_202:                             ;   in Loop: Header=BB51_145 Depth=1
	s_or_b32 exec_lo, exec_lo, s7
	v_add_co_u32 v170, vcc_lo, v129, 27
	v_add_co_ci_u32_e32 v171, vcc_lo, 0, v130, vcc_lo
	v_mov_b32_e32 v168, 0
	s_delay_alu instid0(VALU_DEP_2)
	v_cmp_gt_i64_e32 vcc_lo, s[16:17], v[170:171]
	v_dual_mov_b32 v171, 0 :: v_dual_mov_b32 v170, 0
	s_and_saveexec_b32 s7, vcc_lo
	s_cbranch_execz .LBB51_204
; %bb.203:                              ;   in Loop: Header=BB51_145 Depth=1
	scratch_load_b32 v159, off, off offset:64 ; 4-byte Folded Reload
	s_waitcnt vmcnt(0)
	v_add_co_u32 v170, vcc_lo, v159, v127
	scratch_load_b32 v159, off, off offset:68 ; 4-byte Folded Reload
	s_waitcnt vmcnt(0)
	v_add_co_ci_u32_e32 v171, vcc_lo, v159, v128, vcc_lo
	scratch_load_b32 v159, off, off offset:72 ; 4-byte Folded Reload
	s_waitcnt vmcnt(0)
	v_add_co_u32 v172, vcc_lo, v159, v127
	scratch_load_b32 v159, off, off offset:76 ; 4-byte Folded Reload
	s_waitcnt vmcnt(0)
	v_add_co_ci_u32_e32 v173, vcc_lo, v159, v128, vcc_lo
	global_load_b32 v170, v[170:171], off
	global_load_b32 v171, v[172:173], off
.LBB51_204:                             ;   in Loop: Header=BB51_145 Depth=1
	s_or_b32 exec_lo, exec_lo, s7
	v_add_co_u32 v172, vcc_lo, v129, 28
	v_add_co_ci_u32_e32 v173, vcc_lo, 0, v130, vcc_lo
	v_mov_b32_e32 v174, 0
	s_mov_b32 s7, exec_lo
	s_delay_alu instid0(VALU_DEP_2)
	v_cmpx_gt_i64_e64 s[16:17], v[172:173]
	s_cbranch_execz .LBB51_206
; %bb.205:                              ;   in Loop: Header=BB51_145 Depth=1
	scratch_load_b32 v159, off, off offset:48 ; 4-byte Folded Reload
	s_waitcnt vmcnt(0)
	v_add_co_u32 v172, vcc_lo, v159, v127
	scratch_load_b32 v159, off, off offset:52 ; 4-byte Folded Reload
	s_waitcnt vmcnt(0)
	v_add_co_ci_u32_e32 v173, vcc_lo, v159, v128, vcc_lo
	scratch_load_b32 v159, off, off offset:56 ; 4-byte Folded Reload
	s_waitcnt vmcnt(0)
	v_add_co_u32 v174, vcc_lo, v159, v127
	scratch_load_b32 v159, off, off offset:60 ; 4-byte Folded Reload
	s_waitcnt vmcnt(0)
	v_add_co_ci_u32_e32 v175, vcc_lo, v159, v128, vcc_lo
	global_load_b32 v168, v[172:173], off
	global_load_b32 v174, v[174:175], off
.LBB51_206:                             ;   in Loop: Header=BB51_145 Depth=1
	s_or_b32 exec_lo, exec_lo, s7
	v_add_co_u32 v172, vcc_lo, v129, 29
	v_add_co_ci_u32_e32 v173, vcc_lo, 0, v130, vcc_lo
	v_dual_mov_b32 v175, 0 :: v_dual_mov_b32 v176, 0
	v_mov_b32_e32 v177, 0
	s_mov_b32 s7, exec_lo
	s_delay_alu instid0(VALU_DEP_3)
	v_cmpx_gt_i64_e64 s[16:17], v[172:173]
	s_cbranch_execz .LBB51_208
; %bb.207:                              ;   in Loop: Header=BB51_145 Depth=1
	scratch_load_b32 v159, off, off offset:32 ; 4-byte Folded Reload
	s_waitcnt vmcnt(0)
	v_add_co_u32 v172, vcc_lo, v159, v127
	scratch_load_b32 v159, off, off offset:36 ; 4-byte Folded Reload
	s_waitcnt vmcnt(0)
	v_add_co_ci_u32_e32 v173, vcc_lo, v159, v128, vcc_lo
	scratch_load_b32 v159, off, off offset:40 ; 4-byte Folded Reload
	s_waitcnt vmcnt(0)
	v_add_co_u32 v177, vcc_lo, v159, v127
	scratch_load_b32 v159, off, off offset:44 ; 4-byte Folded Reload
	s_waitcnt vmcnt(0)
	v_add_co_ci_u32_e32 v178, vcc_lo, v159, v128, vcc_lo
	global_load_b32 v176, v[172:173], off
	global_load_b32 v177, v[177:178], off
.LBB51_208:                             ;   in Loop: Header=BB51_145 Depth=1
	s_or_b32 exec_lo, exec_lo, s7
	v_add_co_u32 v172, vcc_lo, v129, 30
	v_add_co_ci_u32_e32 v173, vcc_lo, 0, v130, vcc_lo
	v_mov_b32_e32 v178, 0
	s_mov_b32 s7, exec_lo
	s_delay_alu instid0(VALU_DEP_2)
	v_cmpx_gt_i64_e64 s[16:17], v[172:173]
	s_cbranch_execz .LBB51_210
; %bb.209:                              ;   in Loop: Header=BB51_145 Depth=1
	scratch_load_b32 v159, off, off offset:16 ; 4-byte Folded Reload
	s_waitcnt vmcnt(0)
	v_add_co_u32 v172, vcc_lo, v159, v127
	scratch_load_b32 v159, off, off offset:20 ; 4-byte Folded Reload
	s_waitcnt vmcnt(0)
	v_add_co_ci_u32_e32 v173, vcc_lo, v159, v128, vcc_lo
	scratch_load_b32 v159, off, off offset:24 ; 4-byte Folded Reload
	s_waitcnt vmcnt(0)
	v_add_co_u32 v178, vcc_lo, v159, v127
	scratch_load_b32 v159, off, off offset:28 ; 4-byte Folded Reload
	s_waitcnt vmcnt(0)
	v_add_co_ci_u32_e32 v179, vcc_lo, v159, v128, vcc_lo
	global_load_b32 v175, v[172:173], off
	global_load_b32 v178, v[178:179], off
.LBB51_210:                             ;   in Loop: Header=BB51_145 Depth=1
	s_or_b32 exec_lo, exec_lo, s7
	v_add_co_u32 v172, vcc_lo, v129, 31
	v_add_co_ci_u32_e32 v173, vcc_lo, 0, v130, vcc_lo
	v_dual_mov_b32 v184, v182 :: v_dual_mov_b32 v183, v145
	s_waitcnt vmcnt(1)
	v_mov_b32_e32 v182, v180
	s_delay_alu instid0(VALU_DEP_3)
	v_cmp_gt_i64_e32 vcc_lo, s[16:17], v[172:173]
	v_dual_mov_b32 v173, 0 :: v_dual_mov_b32 v172, 0
	s_mov_b32 s7, 0
	s_and_saveexec_b32 s15, vcc_lo
	s_cbranch_execz .LBB51_212
; %bb.211:                              ;   in Loop: Header=BB51_145 Depth=1
	scratch_load_b32 v159, off, off         ; 4-byte Folded Reload
	s_waitcnt vmcnt(0)
	v_add_co_u32 v172, vcc_lo, v159, v127
	scratch_load_b32 v159, off, off offset:4 ; 4-byte Folded Reload
	s_waitcnt vmcnt(0)
	v_add_co_ci_u32_e32 v173, vcc_lo, v159, v128, vcc_lo
	scratch_load_b32 v159, off, off offset:8 ; 4-byte Folded Reload
	s_waitcnt vmcnt(0)
	v_add_co_u32 v179, vcc_lo, v159, v127
	scratch_load_b32 v159, off, off offset:12 ; 4-byte Folded Reload
	s_waitcnt vmcnt(0)
	v_add_co_ci_u32_e32 v180, vcc_lo, v159, v128, vcc_lo
	global_load_b32 v172, v[172:173], off
	global_load_b32 v173, v[179:180], off
.LBB51_212:                             ;   in Loop: Header=BB51_145 Depth=1
	s_or_b32 exec_lo, exec_lo, s15
	scratch_load_b32 v159, off, off offset:228 ; 4-byte Folded Reload
	ds_bpermute_b32 v179, v126, v125
	ds_bpermute_b32 v180, v126, v125 offset:4
	scratch_load_b32 v185, off, off offset:216 ; 4-byte Folded Reload
	s_waitcnt vmcnt(2) lgkmcnt(0)
	v_dual_sub_f32 v179, v189, v179 :: v_dual_sub_f32 v180, v191, v180
	scratch_load_b32 v189, off, off offset:220 ; 4-byte Folded Reload
	v_mov_b32_e32 v191, v190
	v_mul_f32_e32 v145, v182, v179
	ds_bpermute_b32 v179, v126, v147
	s_waitcnt lgkmcnt(0)
	v_fma_f32 v145, v145, v179, v146
	v_mul_f32_e32 v179, v181, v180
	ds_bpermute_b32 v180, v126, v147 offset:4
	s_waitcnt lgkmcnt(0)
	v_fmac_f32_e32 v145, v179, v180
	ds_bpermute_b32 v179, v126, v125 offset:8
	ds_bpermute_b32 v180, v126, v147 offset:8
	s_waitcnt vmcnt(2) lgkmcnt(1)
	v_sub_f32_e32 v179, v159, v179
	scratch_load_b32 v159, off, off offset:232 ; 4-byte Folded Reload
	v_mul_f32_e32 v179, v183, v179
	s_waitcnt lgkmcnt(0)
	s_delay_alu instid0(VALU_DEP_1)
	v_fmac_f32_e32 v145, v179, v180
	ds_bpermute_b32 v179, v126, v125 offset:12
	ds_bpermute_b32 v180, v126, v147 offset:12
	s_waitcnt vmcnt(0) lgkmcnt(1)
	v_sub_f32_e32 v179, v159, v179
	scratch_load_b32 v159, off, off offset:236 ; 4-byte Folded Reload
	v_mul_f32_e32 v179, v185, v179
	s_waitcnt lgkmcnt(0)
	s_delay_alu instid0(VALU_DEP_1)
	;; [unrolled: 9-line block ×7, first 2 shown]
	v_fmac_f32_e32 v145, v179, v180
	ds_bpermute_b32 v179, v126, v125 offset:36
	ds_bpermute_b32 v180, v126, v147 offset:36
	s_waitcnt vmcnt(0) lgkmcnt(1)
	v_sub_f32_e32 v179, v159, v179
	scratch_load_b32 v159, off, off offset:260 ; 4-byte Folded Reload
	v_mul_f32_e32 v179, v190, v179
	scratch_load_b32 v190, off, off offset:224 ; 4-byte Folded Reload
	s_waitcnt lgkmcnt(0)
	v_fmac_f32_e32 v145, v179, v180
	ds_bpermute_b32 v179, v126, v125 offset:40
	ds_bpermute_b32 v180, v126, v147 offset:40
	s_waitcnt vmcnt(1) lgkmcnt(1)
	v_sub_f32_e32 v179, v159, v179
	scratch_load_b32 v159, off, off offset:264 ; 4-byte Folded Reload
	s_waitcnt vmcnt(1)
	v_mul_f32_e32 v179, v190, v179
	s_waitcnt lgkmcnt(0)
	s_delay_alu instid0(VALU_DEP_1)
	v_fmac_f32_e32 v145, v179, v180
	ds_bpermute_b32 v179, v126, v125 offset:44
	ds_bpermute_b32 v180, v126, v147 offset:44
	s_waitcnt vmcnt(0) lgkmcnt(1)
	v_sub_f32_e32 v179, v159, v179
	scratch_load_b32 v159, off, off offset:268 ; 4-byte Folded Reload
	v_mul_f32_e32 v179, v149, v179
	s_waitcnt lgkmcnt(0)
	s_delay_alu instid0(VALU_DEP_1)
	v_fmac_f32_e32 v145, v179, v180
	ds_bpermute_b32 v179, v126, v125 offset:48
	ds_bpermute_b32 v180, v126, v147 offset:48
	s_waitcnt vmcnt(0) lgkmcnt(1)
	v_sub_f32_e32 v179, v159, v179
	scratch_load_b32 v159, off, off offset:276 ; 4-byte Folded Reload
	;; [unrolled: 9-line block ×5, first 2 shown]
	v_mul_f32_e32 v179, v152, v179
	s_waitcnt lgkmcnt(0)
	s_delay_alu instid0(VALU_DEP_1)
	v_fmac_f32_e32 v145, v179, v180
	ds_bpermute_b32 v180, v126, v125 offset:64
	s_waitcnt vmcnt(0)
	v_add_f32_e32 v179, v159, v182
	s_clause 0x1
	scratch_load_b32 v159, off, off offset:272
	scratch_load_b32 v182, off, off offset:288
	v_add_f32_e32 v179, v179, v181
	ds_bpermute_b32 v181, v126, v125 offset:68
	v_add_f32_e32 v179, v179, v183
	s_delay_alu instid0(VALU_DEP_1) | instskip(NEXT) | instid1(VALU_DEP_1)
	v_add_f32_e32 v179, v179, v185
	v_add_f32_e32 v179, v179, v184
	s_delay_alu instid0(VALU_DEP_1) | instskip(NEXT) | instid1(VALU_DEP_1)
	v_add_f32_e32 v179, v179, v187
	;; [unrolled: 3-line block ×4, first 2 shown]
	v_add_f32_e32 v179, v179, v190
	s_delay_alu instid0(VALU_DEP_1)
	v_add_f32_e32 v149, v179, v149
	ds_bpermute_b32 v179, v126, v147 offset:64
	v_add_f32_e32 v148, v149, v148
	ds_bpermute_b32 v149, v126, v125 offset:72
	v_add_f32_e32 v131, v148, v131
	ds_bpermute_b32 v148, v126, v147 offset:72
	v_add_f32_e32 v131, v131, v150
	ds_bpermute_b32 v150, v126, v125 offset:80
	v_add_f32_e32 v131, v131, v152
	s_delay_alu instid0(VALU_DEP_1) | instskip(NEXT) | instid1(VALU_DEP_1)
	v_add_f32_e32 v131, v131, v151
	v_add_f32_e32 v131, v131, v154
	s_delay_alu instid0(VALU_DEP_1) | instskip(NEXT) | instid1(VALU_DEP_1)
	v_add_f32_e32 v131, v131, v153
	;; [unrolled: 3-line block ×7, first 2 shown]
	v_add_f32_e32 v131, v131, v176
	s_waitcnt vmcnt(1) lgkmcnt(5)
	v_sub_f32_e32 v180, v159, v180
	scratch_load_b32 v159, off, off offset:280 ; 4-byte Folded Reload
	s_waitcnt vmcnt(1) lgkmcnt(2)
	v_sub_f32_e32 v149, v182, v149
	ds_bpermute_b32 v182, v126, v125 offset:84
	v_mul_f32_e32 v180, v151, v180
	scratch_load_b32 v151, off, off offset:296 ; 4-byte Folded Reload
	v_mul_f32_e32 v149, v153, v149
	ds_bpermute_b32 v153, v126, v125 offset:96
	v_fmac_f32_e32 v145, v180, v179
	ds_bpermute_b32 v179, v126, v147 offset:68
	ds_bpermute_b32 v180, v126, v125 offset:76
	s_waitcnt vmcnt(1)
	v_sub_f32_e32 v181, v159, v181
	ds_bpermute_b32 v159, v126, v147 offset:76
	s_waitcnt vmcnt(0) lgkmcnt(1)
	v_dual_mul_f32 v152, v154, v181 :: v_dual_sub_f32 v151, v151, v180
	ds_bpermute_b32 v181, v126, v147 offset:80
	ds_bpermute_b32 v154, v126, v125 offset:100
	v_fmac_f32_e32 v145, v152, v179
	ds_bpermute_b32 v152, v126, v125 offset:88
	ds_bpermute_b32 v179, v126, v147 offset:84
	v_dual_fmac_f32 v145, v149, v148 :: v_dual_mul_f32 v148, v156, v151
	scratch_load_b32 v151, off, off offset:300 ; 4-byte Folded Reload
	ds_bpermute_b32 v149, v126, v125 offset:92
	s_waitcnt lgkmcnt(5)
	v_fmac_f32_e32 v145, v148, v159
	ds_bpermute_b32 v148, v126, v147 offset:88
	s_waitcnt lgkmcnt(3)
	v_sub_f32_e32 v152, v162, v152
	s_waitcnt lgkmcnt(1)
	s_delay_alu instid0(VALU_DEP_1) | instskip(SKIP_1) | instid1(VALU_DEP_1)
	v_dual_mul_f32 v152, v157, v152 :: v_dual_sub_f32 v149, v164, v149
	s_waitcnt vmcnt(0)
	v_dual_mul_f32 v149, v161, v149 :: v_dual_sub_f32 v150, v151, v150
	v_sub_f32_e32 v151, v160, v182
	s_delay_alu instid0(VALU_DEP_1)
	v_dual_mul_f32 v150, v155, v150 :: v_dual_mul_f32 v151, v158, v151
	ds_bpermute_b32 v155, v126, v125 offset:104
	v_fmac_f32_e32 v145, v150, v181
	ds_bpermute_b32 v150, v126, v147 offset:92
	v_fmac_f32_e32 v145, v151, v179
	ds_bpermute_b32 v151, v126, v147 offset:96
	s_waitcnt lgkmcnt(3)
	v_fmac_f32_e32 v145, v152, v148
	ds_bpermute_b32 v148, v126, v147 offset:100
	v_sub_f32_e32 v152, v166, v153
	ds_bpermute_b32 v153, v126, v125 offset:108
	s_waitcnt lgkmcnt(3)
	v_fmac_f32_e32 v145, v149, v150
	v_mul_f32_e32 v149, v132, v152
	ds_bpermute_b32 v150, v126, v147 offset:104
	v_sub_f32_e32 v152, v167, v154
	ds_bpermute_b32 v154, v126, v125 offset:112
	s_waitcnt lgkmcnt(4)
	v_fmac_f32_e32 v145, v149, v151
	ds_bpermute_b32 v149, v126, v147 offset:108
	v_mul_f32_e32 v151, v165, v152
	v_sub_f32_e32 v152, v169, v155
	ds_bpermute_b32 v155, v126, v125 offset:116
	s_waitcnt lgkmcnt(5)
	v_fmac_f32_e32 v145, v151, v148
	ds_bpermute_b32 v148, v126, v147 offset:112
	ds_bpermute_b32 v151, v126, v125 offset:120
	v_mul_f32_e32 v132, v163, v152
	s_waitcnt lgkmcnt(6)
	v_sub_f32_e32 v152, v171, v153
	ds_bpermute_b32 v153, v126, v147 offset:116
	ds_bpermute_b32 v125, v126, v125 offset:124
	s_waitcnt lgkmcnt(7)
	v_dual_fmac_f32 v145, v132, v150 :: v_dual_mul_f32 v132, v170, v152
	s_waitcnt lgkmcnt(6)
	v_sub_f32_e32 v150, v174, v154
	ds_bpermute_b32 v152, v126, v147 offset:120
	s_waitcnt lgkmcnt(6)
	v_fmac_f32_e32 v145, v132, v149
	s_waitcnt lgkmcnt(5)
	v_dual_mul_f32 v149, v168, v150 :: v_dual_sub_f32 v150, v177, v155
	ds_bpermute_b32 v132, v126, v147 offset:124
	s_waitcnt lgkmcnt(5)
	v_fmac_f32_e32 v145, v149, v148
	s_waitcnt lgkmcnt(4)
	v_dual_mul_f32 v147, v176, v150 :: v_dual_sub_f32 v148, v178, v151
	s_waitcnt lgkmcnt(3)
	s_delay_alu instid0(VALU_DEP_1) | instskip(NEXT) | instid1(VALU_DEP_2)
	v_fmac_f32_e32 v145, v147, v153
	v_mul_f32_e32 v147, v175, v148
	s_waitcnt lgkmcnt(1)
	s_delay_alu instid0(VALU_DEP_1)
	v_fmac_f32_e32 v145, v147, v152
	v_add_f32_e32 v147, v131, v175
	s_and_b32 vcc_lo, exec_lo, s7
	s_cbranch_vccnz .LBB51_214
	s_branch .LBB51_217
.LBB51_213:                             ;   in Loop: Header=BB51_145 Depth=1
                                        ; implicit-def: $vgpr132
                                        ; implicit-def: $vgpr172
                                        ; implicit-def: $vgpr173
                                        ; implicit-def: $vgpr125
                                        ; implicit-def: $vgpr147
                                        ; implicit-def: $vgpr145
	s_cbranch_execz .LBB51_217
.LBB51_214:                             ;   in Loop: Header=BB51_145 Depth=1
	s_load_b32 s7, s[4:5], 0x0
	s_waitcnt lgkmcnt(0)
	s_cmp_lt_u32 s14, s7
	s_cselect_b32 s7, 12, 18
	s_delay_alu instid0(SALU_CYCLE_1)
	s_add_u32 s24, s4, s7
	s_addc_u32 s25, s5, 0
	s_mov_b32 s7, exec_lo
	global_load_u16 v125, v126, s[24:25]
	s_clause 0x1
	scratch_load_b32 v131, off, off offset:304
	scratch_load_b32 v132, off, off offset:308
	s_waitcnt vmcnt(0)
	v_mad_u32_u24 v125, v131, v125, v132
	v_mov_b32_e32 v131, 0
	s_delay_alu instid0(VALU_DEP_2) | instskip(NEXT) | instid1(VALU_DEP_1)
	v_and_b32_e32 v125, 31, v125
	v_add_co_u32 v129, vcc_lo, v129, v125
	v_add_co_ci_u32_e32 v130, vcc_lo, 0, v130, vcc_lo
	v_mov_b32_e32 v125, 0
	s_delay_alu instid0(VALU_DEP_2)
	v_cmpx_gt_i64_e64 s[16:17], v[129:130]
	s_cbranch_execz .LBB51_216
; %bb.215:                              ;   in Loop: Header=BB51_145 Depth=1
	v_lshlrev_b64 v[129:130], 2, v[129:130]
	s_delay_alu instid0(VALU_DEP_1) | instskip(NEXT) | instid1(VALU_DEP_2)
	v_add_co_u32 v131, vcc_lo, s8, v129
	v_add_co_ci_u32_e32 v132, vcc_lo, s9, v130, vcc_lo
	v_add_co_u32 v129, vcc_lo, s10, v129
	v_add_co_ci_u32_e32 v130, vcc_lo, s11, v130, vcc_lo
	global_load_b32 v131, v[131:132], off
	global_load_b32 v125, v[129:130], off
.LBB51_216:                             ;   in Loop: Header=BB51_145 Depth=1
	s_or_b32 exec_lo, exec_lo, s7
	v_add_co_u32 v129, vcc_lo, v138, v127
	v_add_co_ci_u32_e32 v130, vcc_lo, v139, v128, vcc_lo
	s_waitcnt vmcnt(1)
	ds_bpermute_b32 v145, v126, v131 offset:4
	global_load_b32 v132, v[129:130], off
	v_add_co_u32 v129, vcc_lo, v136, v127
	v_add_co_ci_u32_e32 v130, vcc_lo, v137, v128, vcc_lo
	v_add_co_u32 v147, vcc_lo, v9, v127
	v_add_co_ci_u32_e32 v148, vcc_lo, v10, v128, vcc_lo
	global_load_b32 v129, v[129:130], off
	ds_bpermute_b32 v130, v126, v131
	s_waitcnt vmcnt(1) lgkmcnt(0)
	v_sub_f32_e32 v130, v132, v130
	ds_bpermute_b32 v132, v126, v125
	s_waitcnt vmcnt(0)
	v_mul_f32_e32 v130, v129, v130
	s_waitcnt lgkmcnt(0)
	s_delay_alu instid0(VALU_DEP_1)
	v_fmac_f32_e32 v146, v130, v132
	global_load_b32 v132, v[147:148], off
	v_add_co_u32 v147, vcc_lo, v1, v127
	v_add_co_ci_u32_e32 v148, vcc_lo, v2, v128, vcc_lo
	global_load_b32 v130, v[147:148], off
	v_add_co_u32 v147, vcc_lo, v13, v127
	v_add_co_ci_u32_e32 v148, vcc_lo, v14, v128, vcc_lo
	s_waitcnt vmcnt(1)
	v_sub_f32_e32 v132, v132, v145
	ds_bpermute_b32 v145, v126, v125 offset:4
	s_waitcnt vmcnt(0)
	v_mul_f32_e32 v132, v130, v132
	s_waitcnt lgkmcnt(0)
	s_delay_alu instid0(VALU_DEP_1)
	v_fmac_f32_e32 v146, v132, v145
	global_load_b32 v145, v[147:148], off
	v_add_co_u32 v147, vcc_lo, v3, v127
	v_add_co_ci_u32_e32 v148, vcc_lo, v4, v128, vcc_lo
	global_load_b32 v132, v[147:148], off
	ds_bpermute_b32 v147, v126, v131 offset:8
	s_waitcnt vmcnt(1) lgkmcnt(0)
	v_sub_f32_e32 v145, v145, v147
	ds_bpermute_b32 v147, v126, v125 offset:8
	s_waitcnt vmcnt(0)
	v_mul_f32_e32 v145, v132, v145
	s_waitcnt lgkmcnt(0)
	s_delay_alu instid0(VALU_DEP_1)
	v_fmac_f32_e32 v146, v145, v147
	v_add_co_u32 v147, vcc_lo, v15, v127
	v_add_co_ci_u32_e32 v148, vcc_lo, v16, v128, vcc_lo
	global_load_b32 v149, v[147:148], off
	v_add_co_u32 v147, vcc_lo, v5, v127
	v_add_co_ci_u32_e32 v148, vcc_lo, v6, v128, vcc_lo
	global_load_b32 v145, v[147:148], off
	ds_bpermute_b32 v147, v126, v131 offset:12
	ds_bpermute_b32 v148, v126, v125 offset:12
	s_waitcnt vmcnt(1) lgkmcnt(1)
	v_sub_f32_e32 v147, v149, v147
	s_waitcnt vmcnt(0)
	s_delay_alu instid0(VALU_DEP_1) | instskip(SKIP_1) | instid1(VALU_DEP_1)
	v_mul_f32_e32 v147, v145, v147
	s_waitcnt lgkmcnt(0)
	v_fmac_f32_e32 v146, v147, v148
	v_add_co_u32 v147, vcc_lo, v17, v127
	v_add_co_ci_u32_e32 v148, vcc_lo, v18, v128, vcc_lo
	global_load_b32 v149, v[147:148], off
	v_add_co_u32 v147, vcc_lo, v7, v127
	v_add_co_ci_u32_e32 v148, vcc_lo, v8, v128, vcc_lo
	global_load_b32 v147, v[147:148], off
	ds_bpermute_b32 v148, v126, v131 offset:16
	s_waitcnt vmcnt(1) lgkmcnt(0)
	v_sub_f32_e32 v148, v149, v148
	ds_bpermute_b32 v149, v126, v125 offset:16
	s_waitcnt vmcnt(0)
	v_mul_f32_e32 v148, v147, v148
	s_waitcnt lgkmcnt(0)
	s_delay_alu instid0(VALU_DEP_1)
	v_fmac_f32_e32 v146, v148, v149
	v_add_co_u32 v148, vcc_lo, v21, v127
	v_add_co_ci_u32_e32 v149, vcc_lo, v22, v128, vcc_lo
	global_load_b32 v150, v[148:149], off
	v_add_co_u32 v148, vcc_lo, v11, v127
	v_add_co_ci_u32_e32 v149, vcc_lo, v12, v128, vcc_lo
	global_load_b32 v148, v[148:149], off
	ds_bpermute_b32 v149, v126, v131 offset:20
	s_waitcnt vmcnt(1) lgkmcnt(0)
	v_sub_f32_e32 v149, v150, v149
	ds_bpermute_b32 v150, v126, v125 offset:20
	s_waitcnt vmcnt(0)
	v_mul_f32_e32 v149, v148, v149
	s_waitcnt lgkmcnt(0)
	s_delay_alu instid0(VALU_DEP_1)
	v_fmac_f32_e32 v146, v149, v150
	v_add_co_u32 v149, vcc_lo, v23, v127
	v_add_co_ci_u32_e32 v150, vcc_lo, v24, v128, vcc_lo
	global_load_b32 v151, v[149:150], off
	v_add_co_u32 v149, vcc_lo, v19, v127
	v_add_co_ci_u32_e32 v150, vcc_lo, v20, v128, vcc_lo
	global_load_b32 v152, v[149:150], off
	ds_bpermute_b32 v149, v126, v131 offset:24
	ds_bpermute_b32 v150, v126, v125 offset:24
	s_waitcnt vmcnt(1) lgkmcnt(1)
	v_sub_f32_e32 v149, v151, v149
	s_waitcnt vmcnt(0)
	s_delay_alu instid0(VALU_DEP_1) | instskip(SKIP_1) | instid1(VALU_DEP_1)
	v_mul_f32_e32 v149, v152, v149
	s_waitcnt lgkmcnt(0)
	v_fmac_f32_e32 v146, v149, v150
	v_add_co_u32 v149, vcc_lo, v27, v127
	v_add_co_ci_u32_e32 v150, vcc_lo, v28, v128, vcc_lo
	global_load_b32 v151, v[149:150], off
	v_add_co_u32 v149, vcc_lo, v25, v127
	v_add_co_ci_u32_e32 v150, vcc_lo, v26, v128, vcc_lo
	global_load_b32 v153, v[149:150], off
	ds_bpermute_b32 v149, v126, v131 offset:28
	ds_bpermute_b32 v150, v126, v125 offset:28
	s_waitcnt vmcnt(1) lgkmcnt(1)
	v_sub_f32_e32 v149, v151, v149
	s_waitcnt vmcnt(0)
	s_delay_alu instid0(VALU_DEP_1) | instskip(SKIP_1) | instid1(VALU_DEP_1)
	v_mul_f32_e32 v149, v153, v149
	s_waitcnt lgkmcnt(0)
	;; [unrolled: 15-line block ×25, first 2 shown]
	v_fmac_f32_e32 v146, v149, v150
	v_add_co_u32 v149, vcc_lo, v121, v127
	v_add_co_ci_u32_e32 v150, vcc_lo, v122, v128, vcc_lo
	global_load_b32 v172, v[149:150], off
	v_add_co_u32 v149, vcc_lo, v123, v127
	v_add_co_ci_u32_e32 v150, vcc_lo, v124, v128, vcc_lo
	global_load_b32 v173, v[149:150], off
	scratch_load_b32 v149, off, off offset:208 ; 4-byte Folded Reload
	s_waitcnt vmcnt(0)
	v_add_f32_e32 v129, v149, v129
	s_delay_alu instid0(VALU_DEP_1) | instskip(NEXT) | instid1(VALU_DEP_1)
	v_add_f32_e32 v129, v129, v130
	v_add_f32_e32 v129, v129, v132
	ds_bpermute_b32 v132, v126, v125 offset:124
	ds_bpermute_b32 v125, v126, v131 offset:124
	v_add_f32_e32 v129, v129, v145
	v_mov_b32_e32 v145, v146
	s_delay_alu instid0(VALU_DEP_2) | instskip(NEXT) | instid1(VALU_DEP_1)
	v_add_f32_e32 v129, v129, v147
	v_add_f32_e32 v129, v129, v148
	s_delay_alu instid0(VALU_DEP_1) | instskip(NEXT) | instid1(VALU_DEP_1)
	v_add_f32_e32 v129, v129, v152
	v_add_f32_e32 v129, v129, v153
	s_delay_alu instid0(VALU_DEP_1) | instskip(NEXT) | instid1(VALU_DEP_1)
	;; [unrolled: 3-line block ×12, first 2 shown]
	v_add_f32_e32 v129, v129, v176
	v_add_f32_e32 v129, v129, v177
	s_delay_alu instid0(VALU_DEP_1)
	v_add_f32_e32 v147, v129, v178
.LBB51_217:                             ;   in Loop: Header=BB51_145 Depth=1
	s_waitcnt lgkmcnt(0)
	v_sub_f32_e32 v125, v173, v125
	scratch_load_b32 v180, off, off offset:212 ; 4-byte Folded Reload
	v_add_co_u32 v1, vcc_lo, v1, s12
	v_add_co_ci_u32_e32 v2, vcc_lo, s13, v2, vcc_lo
	v_mul_f32_e32 v125, v172, v125
	v_add_co_u32 v3, vcc_lo, v3, s12
	v_add_co_ci_u32_e32 v4, vcc_lo, s13, v4, vcc_lo
	s_delay_alu instid0(VALU_DEP_3)
	v_fmac_f32_e32 v145, v125, v132
	v_add_f32_e32 v125, v147, v172
	v_add_co_u32 v5, vcc_lo, v5, s12
	v_add_co_ci_u32_e32 v6, vcc_lo, s13, v6, vcc_lo
	scratch_store_b32 off, v125, off offset:208 ; 4-byte Folded Spill
	scratch_load_b32 v125, off, off         ; 4-byte Folded Reload
	v_add_co_u32 v7, vcc_lo, v7, s12
	v_add_co_ci_u32_e32 v8, vcc_lo, s13, v8, vcc_lo
	v_add_co_u32 v11, vcc_lo, v11, s12
	v_add_co_ci_u32_e32 v12, vcc_lo, s13, v12, vcc_lo
	;; [unrolled: 2-line block ×61, first 2 shown]
	s_add_u32 s22, s22, s3
	s_addc_u32 s23, s23, 0
	s_add_u32 s20, s20, s3
	v_cmp_ge_i64_e64 s7, s[22:23], s[16:17]
	s_addc_u32 s21, s21, 0
	s_waitcnt vmcnt(1)
	v_add_co_u32 v180, vcc_lo, v180, s3
	v_add_co_ci_u32_e32 v144, vcc_lo, 0, v144, vcc_lo
	s_waitcnt vmcnt(0)
	v_add_co_u32 v125, vcc_lo, v125, s12
	scratch_store_b32 off, v125, off        ; 4-byte Folded Spill
	scratch_load_b32 v125, off, off offset:4 ; 4-byte Folded Reload
	s_waitcnt vmcnt(0)
	v_add_co_ci_u32_e32 v125, vcc_lo, s13, v125, vcc_lo
	scratch_store_b32 off, v125, off offset:4 ; 4-byte Folded Spill
	scratch_load_b32 v125, off, off offset:8 ; 4-byte Folded Reload
	s_waitcnt vmcnt(0)
	v_add_co_u32 v125, vcc_lo, v125, s12
	scratch_store_b32 off, v125, off offset:8 ; 4-byte Folded Spill
	scratch_load_b32 v125, off, off offset:12 ; 4-byte Folded Reload
	s_waitcnt vmcnt(0)
	v_add_co_ci_u32_e32 v125, vcc_lo, s13, v125, vcc_lo
	scratch_store_b32 off, v125, off offset:12 ; 4-byte Folded Spill
	scratch_load_b32 v125, off, off offset:16 ; 4-byte Folded Reload
	s_waitcnt vmcnt(0)
	v_add_co_u32 v125, vcc_lo, v125, s12
	scratch_store_b32 off, v125, off offset:16 ; 4-byte Folded Spill
	;; [unrolled: 8-line block ×25, first 2 shown]
	scratch_load_b32 v125, off, off offset:204 ; 4-byte Folded Reload
	s_waitcnt vmcnt(0)
	v_add_co_ci_u32_e32 v125, vcc_lo, s13, v125, vcc_lo
	v_add_co_u32 v192, vcc_lo, v192, s12
	v_add_co_ci_u32_e32 v193, vcc_lo, s13, v193, vcc_lo
	v_add_co_u32 v194, vcc_lo, v194, s12
	;; [unrolled: 2-line block ×36, first 2 shown]
	v_add_co_ci_u32_e32 v143, vcc_lo, s13, v143, vcc_lo
	s_and_b32 vcc_lo, exec_lo, s7
	scratch_store_b32 off, v125, off offset:204 ; 4-byte Folded Spill
	s_cbranch_vccnz .LBB51_219
; %bb.218:                              ;   in Loop: Header=BB51_145 Depth=1
	v_mov_b32_e32 v146, v145
	s_branch .LBB51_145
.LBB51_219:
	s_clause 0x1
	scratch_load_b32 v226, off, off offset:312
	scratch_load_b32 v227, off, off offset:208
.LBB51_220:
	s_mov_b32 s15, 0
	s_mov_b32 s3, exec_lo
	s_lshl_b64 s[4:5], s[14:15], 6
	s_waitcnt vmcnt(1)
	v_dual_mov_b32 v5, s5 :: v_dual_and_b32 v0, 0x3ff, v226
	s_delay_alu instid0(VALU_DEP_1) | instskip(NEXT) | instid1(VALU_DEP_1)
	v_or_b32_e32 v4, s4, v0
	v_cmpx_gt_i64_e64 s[18:19], v[4:5]
	s_cbranch_execz .LBB51_225
; %bb.221:
	s_clause 0x1
	s_load_b32 s3, s[0:1], 0x4c
	s_load_b128 s[4:7], s[0:1], 0x30
	v_bfe_u32 v0, v226, 10, 10
	v_mov_b32_e32 v1, 0
	s_waitcnt lgkmcnt(0)
	s_lshr_b32 s0, s3, 16
	s_cmp_eq_u64 s[4:5], 0
	s_delay_alu instid0(VALU_DEP_1) | instskip(SKIP_1) | instid1(VALU_DEP_2)
	v_mad_u64_u32 v[2:3], null, s0, s2, v[0:1]
	v_lshlrev_b64 v[0:1], 2, v[4:5]
	v_mul_lo_u32 v3, v3, s18
	s_delay_alu instid0(VALU_DEP_3)
	v_mul_lo_u32 v6, v2, s19
	s_cbranch_scc1 .LBB51_223
; %bb.222:
	v_mad_u64_u32 v[4:5], null, v2, s18, 0
	s_delay_alu instid0(VALU_DEP_1) | instskip(NEXT) | instid1(VALU_DEP_1)
	v_add3_u32 v5, v5, v6, v3
	v_lshlrev_b64 v[4:5], 2, v[4:5]
	s_delay_alu instid0(VALU_DEP_1) | instskip(NEXT) | instid1(VALU_DEP_2)
	v_add_co_u32 v4, vcc_lo, s4, v4
	v_add_co_ci_u32_e32 v5, vcc_lo, s5, v5, vcc_lo
	s_delay_alu instid0(VALU_DEP_2) | instskip(NEXT) | instid1(VALU_DEP_2)
	v_add_co_u32 v4, vcc_lo, v4, v0
	v_add_co_ci_u32_e32 v5, vcc_lo, v5, v1, vcc_lo
	global_store_b32 v[4:5], v145, off
.LBB51_223:
	s_cmp_eq_u64 s[6:7], 0
	s_cbranch_scc1 .LBB51_225
; %bb.224:
	v_mad_u64_u32 v[4:5], null, v2, s18, 0
	s_delay_alu instid0(VALU_DEP_1) | instskip(NEXT) | instid1(VALU_DEP_1)
	v_add3_u32 v5, v5, v6, v3
	v_lshlrev_b64 v[2:3], 2, v[4:5]
	s_delay_alu instid0(VALU_DEP_1) | instskip(NEXT) | instid1(VALU_DEP_2)
	v_add_co_u32 v2, vcc_lo, s6, v2
	v_add_co_ci_u32_e32 v3, vcc_lo, s7, v3, vcc_lo
	s_delay_alu instid0(VALU_DEP_2) | instskip(NEXT) | instid1(VALU_DEP_2)
	v_add_co_u32 v0, vcc_lo, v2, v0
	v_add_co_ci_u32_e32 v1, vcc_lo, v3, v1, vcc_lo
	s_waitcnt vmcnt(0)
	global_store_b32 v[0:1], v227, off
.LBB51_225:
	s_endpgm
	.section	.rodata,"a",@progbits
	.p2align	6, 0x0
	.amdhsa_kernel _ZN2at6native12_GLOBAL__N_135GammaBetaBackwardCUDAKernelTemplateIffLj64ELj1ELj32ELb1ELb0ELb0EEEvllPKT_S5_PKT0_S8_PS3_S9_
		.amdhsa_group_segment_fixed_size 0
		.amdhsa_private_segment_fixed_size 320
		.amdhsa_kernarg_size 320
		.amdhsa_user_sgpr_count 14
		.amdhsa_user_sgpr_dispatch_ptr 0
		.amdhsa_user_sgpr_queue_ptr 0
		.amdhsa_user_sgpr_kernarg_segment_ptr 1
		.amdhsa_user_sgpr_dispatch_id 0
		.amdhsa_user_sgpr_private_segment_size 0
		.amdhsa_wavefront_size32 1
		.amdhsa_uses_dynamic_stack 0
		.amdhsa_enable_private_segment 1
		.amdhsa_system_sgpr_workgroup_id_x 1
		.amdhsa_system_sgpr_workgroup_id_y 1
		.amdhsa_system_sgpr_workgroup_id_z 0
		.amdhsa_system_sgpr_workgroup_info 0
		.amdhsa_system_vgpr_workitem_id 1
		.amdhsa_next_free_vgpr 256
		.amdhsa_next_free_sgpr 36
		.amdhsa_reserve_vcc 1
		.amdhsa_float_round_mode_32 0
		.amdhsa_float_round_mode_16_64 0
		.amdhsa_float_denorm_mode_32 3
		.amdhsa_float_denorm_mode_16_64 3
		.amdhsa_dx10_clamp 1
		.amdhsa_ieee_mode 1
		.amdhsa_fp16_overflow 0
		.amdhsa_workgroup_processor_mode 1
		.amdhsa_memory_ordered 1
		.amdhsa_forward_progress 0
		.amdhsa_shared_vgpr_count 0
		.amdhsa_exception_fp_ieee_invalid_op 0
		.amdhsa_exception_fp_denorm_src 0
		.amdhsa_exception_fp_ieee_div_zero 0
		.amdhsa_exception_fp_ieee_overflow 0
		.amdhsa_exception_fp_ieee_underflow 0
		.amdhsa_exception_fp_ieee_inexact 0
		.amdhsa_exception_int_div_zero 0
	.end_amdhsa_kernel
	.section	.text._ZN2at6native12_GLOBAL__N_135GammaBetaBackwardCUDAKernelTemplateIffLj64ELj1ELj32ELb1ELb0ELb0EEEvllPKT_S5_PKT0_S8_PS3_S9_,"axG",@progbits,_ZN2at6native12_GLOBAL__N_135GammaBetaBackwardCUDAKernelTemplateIffLj64ELj1ELj32ELb1ELb0ELb0EEEvllPKT_S5_PKT0_S8_PS3_S9_,comdat
.Lfunc_end51:
	.size	_ZN2at6native12_GLOBAL__N_135GammaBetaBackwardCUDAKernelTemplateIffLj64ELj1ELj32ELb1ELb0ELb0EEEvllPKT_S5_PKT0_S8_PS3_S9_, .Lfunc_end51-_ZN2at6native12_GLOBAL__N_135GammaBetaBackwardCUDAKernelTemplateIffLj64ELj1ELj32ELb1ELb0ELb0EEEvllPKT_S5_PKT0_S8_PS3_S9_
                                        ; -- End function
	.section	.AMDGPU.csdata,"",@progbits
; Kernel info:
; codeLenInByte = 27660
; NumSgprs: 38
; NumVgprs: 256
; ScratchSize: 320
; MemoryBound: 0
; FloatMode: 240
; IeeeMode: 1
; LDSByteSize: 0 bytes/workgroup (compile time only)
; SGPRBlocks: 4
; VGPRBlocks: 31
; NumSGPRsForWavesPerEU: 38
; NumVGPRsForWavesPerEU: 256
; Occupancy: 5
; WaveLimiterHint : 0
; COMPUTE_PGM_RSRC2:SCRATCH_EN: 1
; COMPUTE_PGM_RSRC2:USER_SGPR: 14
; COMPUTE_PGM_RSRC2:TRAP_HANDLER: 0
; COMPUTE_PGM_RSRC2:TGID_X_EN: 1
; COMPUTE_PGM_RSRC2:TGID_Y_EN: 1
; COMPUTE_PGM_RSRC2:TGID_Z_EN: 0
; COMPUTE_PGM_RSRC2:TIDIG_COMP_CNT: 1
	.section	.text._ZN2at6native12_GLOBAL__N_135GammaBetaBackwardCUDAKernelTemplateIffLj64ELj1ELj8ELb1ELb1ELb0EEEvllPKT_S5_PKT0_S8_PS3_S9_,"axG",@progbits,_ZN2at6native12_GLOBAL__N_135GammaBetaBackwardCUDAKernelTemplateIffLj64ELj1ELj8ELb1ELb1ELb0EEEvllPKT_S5_PKT0_S8_PS3_S9_,comdat
	.globl	_ZN2at6native12_GLOBAL__N_135GammaBetaBackwardCUDAKernelTemplateIffLj64ELj1ELj8ELb1ELb1ELb0EEEvllPKT_S5_PKT0_S8_PS3_S9_ ; -- Begin function _ZN2at6native12_GLOBAL__N_135GammaBetaBackwardCUDAKernelTemplateIffLj64ELj1ELj8ELb1ELb1ELb0EEEvllPKT_S5_PKT0_S8_PS3_S9_
	.p2align	8
	.type	_ZN2at6native12_GLOBAL__N_135GammaBetaBackwardCUDAKernelTemplateIffLj64ELj1ELj8ELb1ELb1ELb0EEEvllPKT_S5_PKT0_S8_PS3_S9_,@function
_ZN2at6native12_GLOBAL__N_135GammaBetaBackwardCUDAKernelTemplateIffLj64ELj1ELj8ELb1ELb1ELb0EEEvllPKT_S5_PKT0_S8_PS3_S9_: ; @_ZN2at6native12_GLOBAL__N_135GammaBetaBackwardCUDAKernelTemplateIffLj64ELj1ELj8ELb1ELb1ELb0EEEvllPKT_S5_PKT0_S8_PS3_S9_
; %bb.0:
	s_load_b128 s[16:19], s[0:1], 0x0
	s_mov_b32 s13, 0
	s_lshl_b32 s12, s15, 3
	v_bfe_u32 v6, v0, 10, 10
	s_mov_b32 s2, s15
	s_waitcnt lgkmcnt(0)
	v_cmp_lt_i64_e64 s3, s[12:13], s[16:17]
	s_delay_alu instid0(VALU_DEP_1)
	s_and_b32 vcc_lo, exec_lo, s3
	s_cbranch_vccnz .LBB52_2
; %bb.1:
	v_bfe_u32 v1, v0, 10, 10
	s_add_u32 s24, s0, 64
	s_addc_u32 s25, s1, 0
	s_mov_b32 s4, 0
	s_mov_b32 s3, s13
	s_branch .LBB52_3
.LBB52_2:
	s_mov_b32 s3, -1
                                        ; implicit-def: $sgpr4
                                        ; implicit-def: $sgpr24_sgpr25
                                        ; implicit-def: $vgpr1
.LBB52_3:
	s_load_b128 s[20:23], s[0:1], 0x30
	v_mov_b32_e32 v17, s4
	v_and_b32_e32 v7, 0x3ff, v0
	v_mov_b32_e32 v9, s4
	s_and_not1_b32 vcc_lo, exec_lo, s3
	s_cbranch_vccnz .LBB52_11
; %bb.4:
	s_clause 0x2
	s_load_b32 s3, s[0:1], 0x4c
	s_load_b32 s15, s[0:1], 0x44
	s_load_b256 s[4:11], s[0:1], 0x10
	v_dual_mov_b32 v1, 0 :: v_dual_lshlrev_b32 v0, 3, v6
	s_add_u32 s24, s0, 64
	s_addc_u32 s25, s1, 0
	v_dual_mov_b32 v8, 8 :: v_dual_mov_b32 v11, 12
	s_delay_alu instid0(VALU_DEP_2) | instskip(NEXT) | instid1(VALU_DEP_1)
	v_add_co_u32 v2, s0, v0, s12
	v_add_co_ci_u32_e64 v3, null, 0, 0, s0
	v_lshl_add_u32 v0, s14, 6, v7
	s_delay_alu instid0(VALU_DEP_3) | instskip(SKIP_1) | instid1(VALU_DEP_4)
	v_mul_lo_u32 v9, s19, v2
	v_mad_u64_u32 v[4:5], null, s18, v2, 0
	v_mul_lo_u32 v18, s18, v3
	s_delay_alu instid0(VALU_DEP_4)
	v_lshlrev_b64 v[16:17], 2, v[0:1]
	v_dual_mov_b32 v10, 4 :: v_dual_mov_b32 v13, 20
	s_waitcnt lgkmcnt(0)
	s_and_b32 s0, s3, 0xffff
	s_lshl_b32 s26, s15, 3
	v_mad_u32_u24 v15, v6, s0, v7
	s_mul_i32 s1, s19, s26
	v_add3_u32 v5, v5, v18, v9
	s_mul_hi_u32 s3, s18, s26
	v_mov_b32_e32 v12, 16
	v_and_b32_e32 v20, 31, v15
	v_dual_mov_b32 v14, 24 :: v_dual_mov_b32 v9, 0
	v_lshlrev_b64 v[18:19], 2, v[4:5]
	v_mov_b32_e32 v15, 28
	s_delay_alu instid0(VALU_DEP_4) | instskip(SKIP_1) | instid1(VALU_DEP_4)
	v_add_co_u32 v2, vcc_lo, v2, v20
	v_add_co_ci_u32_e32 v3, vcc_lo, 0, v3, vcc_lo
	v_add_co_u32 v0, vcc_lo, v18, v16
	v_add_co_ci_u32_e32 v16, vcc_lo, v19, v17, vcc_lo
	s_delay_alu instid0(VALU_DEP_3)
	v_lshlrev_b64 v[4:5], 2, v[2:3]
	v_mov_b32_e32 v17, 0
	v_cmp_gt_u32_e64 s0, 8, v20
	s_mov_b32 s27, 0
	s_add_i32 s31, s3, s1
	s_mul_i32 s30, s18, s26
	s_lshl_b64 s[28:29], s[26:27], 2
	s_lshl_b64 s[30:31], s[30:31], 2
	;; [unrolled: 1-line block ×3, first 2 shown]
	s_branch .LBB52_7
.LBB52_5:                               ;   in Loop: Header=BB52_7 Depth=1
	s_or_b32 exec_lo, exec_lo, s3
.LBB52_6:                               ;   in Loop: Header=BB52_7 Depth=1
	s_delay_alu instid0(SALU_CYCLE_1)
	s_or_b32 exec_lo, exec_lo, s1
	v_add_co_u32 v20, vcc_lo, s4, v0
	v_add_co_ci_u32_e32 v21, vcc_lo, s5, v16, vcc_lo
	v_add_co_u32 v22, vcc_lo, s6, v0
	v_add_co_ci_u32_e32 v23, vcc_lo, s7, v16, vcc_lo
	global_load_b32 v30, v[20:21], off
	v_add_co_u32 v20, vcc_lo, v20, s34
	v_add_co_ci_u32_e32 v21, vcc_lo, s35, v21, vcc_lo
	v_add_co_u32 v24, vcc_lo, v22, s34
	v_add_co_ci_u32_e32 v25, vcc_lo, s35, v23, vcc_lo
	s_delay_alu instid0(VALU_DEP_4) | instskip(NEXT) | instid1(VALU_DEP_4)
	v_add_co_u32 v26, vcc_lo, v20, s34
	v_add_co_ci_u32_e32 v27, vcc_lo, s35, v21, vcc_lo
	s_delay_alu instid0(VALU_DEP_4) | instskip(NEXT) | instid1(VALU_DEP_4)
	v_add_co_u32 v28, vcc_lo, v24, s34
	v_add_co_ci_u32_e32 v29, vcc_lo, s35, v25, vcc_lo
	global_load_b32 v31, v[22:23], off
	global_load_b32 v32, v[20:21], off
	;; [unrolled: 1-line block ×5, first 2 shown]
	v_add_co_u32 v20, vcc_lo, v28, s34
	v_add_co_ci_u32_e32 v21, vcc_lo, s35, v29, vcc_lo
	v_add_co_u32 v22, vcc_lo, v26, s34
	v_add_co_ci_u32_e32 v23, vcc_lo, s35, v27, vcc_lo
	global_load_b32 v36, v[20:21], off
	v_add_co_u32 v24, vcc_lo, v22, s34
	v_add_co_ci_u32_e32 v25, vcc_lo, s35, v23, vcc_lo
	v_add_co_u32 v20, vcc_lo, v20, s34
	v_add_co_ci_u32_e32 v21, vcc_lo, s35, v21, vcc_lo
	s_delay_alu instid0(VALU_DEP_4) | instskip(NEXT) | instid1(VALU_DEP_4)
	v_add_co_u32 v26, vcc_lo, v24, s34
	v_add_co_ci_u32_e32 v27, vcc_lo, s35, v25, vcc_lo
	s_delay_alu instid0(VALU_DEP_4) | instskip(NEXT) | instid1(VALU_DEP_4)
	v_add_co_u32 v28, vcc_lo, v20, s34
	v_add_co_ci_u32_e32 v29, vcc_lo, s35, v21, vcc_lo
	s_clause 0x1
	global_load_b32 v37, v[22:23], off
	global_load_b32 v24, v[24:25], off
	;; [unrolled: 1-line block ×5, first 2 shown]
	v_add_co_u32 v20, vcc_lo, v28, s34
	v_add_co_ci_u32_e32 v21, vcc_lo, s35, v29, vcc_lo
	v_add_co_u32 v22, vcc_lo, v26, s34
	v_add_co_ci_u32_e32 v23, vcc_lo, s35, v27, vcc_lo
	global_load_b32 v26, v[20:21], off
	v_add_co_u32 v20, vcc_lo, v20, s34
	v_add_co_ci_u32_e32 v21, vcc_lo, s35, v21, vcc_lo
	global_load_b32 v27, v[22:23], off
	global_load_b32 v28, v[20:21], off
	v_add_co_u32 v20, vcc_lo, v22, s34
	v_add_co_ci_u32_e32 v21, vcc_lo, s35, v23, vcc_lo
	s_waitcnt vmcnt(16)
	ds_bpermute_b32 v22, v10, v19
	s_waitcnt vmcnt(15)
	ds_bpermute_b32 v23, v1, v18
	ds_bpermute_b32 v29, v8, v19
	global_load_b32 v20, v[20:21], off
	ds_bpermute_b32 v21, v1, v19
	ds_bpermute_b32 v40, v10, v18
	;; [unrolled: 1-line block ×5, first 2 shown]
	v_add_co_u32 v4, vcc_lo, v4, s28
	s_add_u32 s12, s12, s26
	v_add_co_ci_u32_e32 v5, vcc_lo, s29, v5, vcc_lo
	s_addc_u32 s13, s13, 0
	v_add_co_u32 v2, vcc_lo, v2, s26
	v_add_co_ci_u32_e32 v3, vcc_lo, 0, v3, vcc_lo
	v_cmp_lt_i64_e64 s1, s[12:13], s[16:17]
	v_add_co_u32 v0, vcc_lo, v0, s30
	v_add_co_ci_u32_e32 v16, vcc_lo, s31, v16, vcc_lo
	s_delay_alu instid0(VALU_DEP_3)
	s_and_b32 vcc_lo, exec_lo, s1
	s_waitcnt vmcnt(15)
	v_add_f32_e32 v17, v17, v30
	s_waitcnt vmcnt(14) lgkmcnt(4)
	v_sub_f32_e32 v21, v31, v21
	ds_bpermute_b32 v31, v8, v18
	s_waitcnt vmcnt(12)
	v_sub_f32_e32 v22, v33, v22
	ds_bpermute_b32 v33, v11, v18
	v_mul_f32_e32 v21, v30, v21
	ds_bpermute_b32 v30, v13, v18
	v_fmac_f32_e32 v9, v21, v23
	s_waitcnt vmcnt(10)
	v_dual_mul_f32 v21, v32, v22 :: v_dual_sub_f32 v22, v35, v29
	ds_bpermute_b32 v23, v12, v18
	ds_bpermute_b32 v29, v14, v19
	v_add_f32_e32 v17, v17, v32
	s_waitcnt lgkmcnt(8)
	v_fmac_f32_e32 v9, v21, v40
	s_waitcnt vmcnt(9) lgkmcnt(7)
	v_dual_mul_f32 v21, v34, v22 :: v_dual_sub_f32 v22, v36, v41
	ds_bpermute_b32 v19, v15, v19
	s_waitcnt lgkmcnt(5)
	v_fmac_f32_e32 v9, v21, v31
	s_waitcnt vmcnt(8)
	v_mul_f32_e32 v21, v37, v22
	s_waitcnt vmcnt(6)
	v_sub_f32_e32 v22, v25, v42
	ds_bpermute_b32 v25, v14, v18
	ds_bpermute_b32 v18, v15, v18
	s_waitcnt lgkmcnt(6)
	v_fmac_f32_e32 v9, v21, v33
	s_waitcnt vmcnt(4)
	v_dual_mul_f32 v21, v24, v22 :: v_dual_sub_f32 v22, v39, v43
	s_waitcnt lgkmcnt(4)
	s_delay_alu instid0(VALU_DEP_1) | instskip(NEXT) | instid1(VALU_DEP_2)
	v_fmac_f32_e32 v9, v21, v23
	v_mul_f32_e32 v21, v38, v22
	s_waitcnt vmcnt(3) lgkmcnt(3)
	v_dual_sub_f32 v22, v26, v29 :: v_dual_add_f32 v17, v17, v34
	s_delay_alu instid0(VALU_DEP_2) | instskip(SKIP_1) | instid1(VALU_DEP_2)
	v_fmac_f32_e32 v9, v21, v30
	s_waitcnt vmcnt(2)
	v_mul_f32_e32 v21, v27, v22
	s_delay_alu instid0(VALU_DEP_3)
	v_add_f32_e32 v17, v17, v37
	s_waitcnt vmcnt(1) lgkmcnt(2)
	v_sub_f32_e32 v19, v28, v19
	s_waitcnt lgkmcnt(1)
	v_fmac_f32_e32 v9, v21, v25
	v_add_f32_e32 v17, v17, v24
	s_waitcnt vmcnt(0)
	v_mul_f32_e32 v19, v20, v19
	s_delay_alu instid0(VALU_DEP_2) | instskip(SKIP_1) | instid1(VALU_DEP_2)
	v_add_f32_e32 v17, v17, v38
	s_waitcnt lgkmcnt(0)
	v_fmac_f32_e32 v9, v19, v18
	s_delay_alu instid0(VALU_DEP_2) | instskip(NEXT) | instid1(VALU_DEP_1)
	v_add_f32_e32 v17, v17, v27
	v_add_f32_e32 v17, v17, v20
	s_cbranch_vccz .LBB52_10
.LBB52_7:                               ; =>This Inner Loop Header: Depth=1
	v_dual_mov_b32 v18, 0 :: v_dual_mov_b32 v19, 0
	s_and_saveexec_b32 s1, s0
	s_cbranch_execz .LBB52_6
; %bb.8:                                ;   in Loop: Header=BB52_7 Depth=1
	v_dual_mov_b32 v19, 0 :: v_dual_mov_b32 v18, 0
	s_mov_b32 s3, exec_lo
	v_cmpx_gt_i64_e64 s[16:17], v[2:3]
	s_cbranch_execz .LBB52_5
; %bb.9:                                ;   in Loop: Header=BB52_7 Depth=1
	v_add_co_u32 v18, vcc_lo, s8, v4
	v_add_co_ci_u32_e32 v19, vcc_lo, s9, v5, vcc_lo
	v_add_co_u32 v20, vcc_lo, s10, v4
	v_add_co_ci_u32_e32 v21, vcc_lo, s11, v5, vcc_lo
	global_load_b32 v19, v[18:19], off
	global_load_b32 v18, v[20:21], off
	s_branch .LBB52_5
.LBB52_10:
	v_mov_b32_e32 v1, v6
.LBB52_11:
	s_load_b32 s0, s[24:25], 0xc
	v_mov_b32_e32 v2, 0
	s_mov_b32 s15, 0
	s_waitcnt lgkmcnt(0)
	s_lshr_b32 s0, s0, 16
	s_delay_alu instid0(VALU_DEP_1) | instid1(SALU_CYCLE_1)
	v_mad_u64_u32 v[3:4], null, s0, s2, v[1:2]
	s_lshl_b64 s[0:1], s[14:15], 6
	s_cmp_eq_u64 s[20:21], 0
	v_add_co_u32 v0, s0, s0, v7
	s_delay_alu instid0(VALU_DEP_1) | instskip(NEXT) | instid1(VALU_DEP_3)
	v_add_co_ci_u32_e64 v1, null, s1, 0, s0
	v_mul_lo_u32 v2, v4, s18
	s_delay_alu instid0(VALU_DEP_4) | instskip(NEXT) | instid1(VALU_DEP_3)
	v_mul_lo_u32 v4, v3, s19
	v_lshlrev_b64 v[0:1], 2, v[0:1]
	s_cbranch_scc1 .LBB52_13
; %bb.12:
	v_mad_u64_u32 v[5:6], null, v3, s18, 0
	s_delay_alu instid0(VALU_DEP_1) | instskip(NEXT) | instid1(VALU_DEP_1)
	v_add3_u32 v6, v6, v4, v2
	v_lshlrev_b64 v[5:6], 2, v[5:6]
	s_delay_alu instid0(VALU_DEP_1) | instskip(NEXT) | instid1(VALU_DEP_2)
	v_add_co_u32 v5, vcc_lo, s20, v5
	v_add_co_ci_u32_e32 v6, vcc_lo, s21, v6, vcc_lo
	s_delay_alu instid0(VALU_DEP_2) | instskip(NEXT) | instid1(VALU_DEP_2)
	v_add_co_u32 v5, vcc_lo, v5, v0
	v_add_co_ci_u32_e32 v6, vcc_lo, v6, v1, vcc_lo
	global_store_b32 v[5:6], v9, off
.LBB52_13:
	s_cmp_eq_u64 s[22:23], 0
	s_cbranch_scc1 .LBB52_15
; %bb.14:
	v_mad_u64_u32 v[5:6], null, v3, s18, 0
	s_delay_alu instid0(VALU_DEP_1) | instskip(NEXT) | instid1(VALU_DEP_1)
	v_add3_u32 v6, v6, v4, v2
	v_lshlrev_b64 v[2:3], 2, v[5:6]
	s_delay_alu instid0(VALU_DEP_1) | instskip(NEXT) | instid1(VALU_DEP_2)
	v_add_co_u32 v2, vcc_lo, s22, v2
	v_add_co_ci_u32_e32 v3, vcc_lo, s23, v3, vcc_lo
	s_delay_alu instid0(VALU_DEP_2) | instskip(NEXT) | instid1(VALU_DEP_2)
	v_add_co_u32 v0, vcc_lo, v2, v0
	v_add_co_ci_u32_e32 v1, vcc_lo, v3, v1, vcc_lo
	global_store_b32 v[0:1], v17, off
.LBB52_15:
	s_nop 0
	s_sendmsg sendmsg(MSG_DEALLOC_VGPRS)
	s_endpgm
	.section	.rodata,"a",@progbits
	.p2align	6, 0x0
	.amdhsa_kernel _ZN2at6native12_GLOBAL__N_135GammaBetaBackwardCUDAKernelTemplateIffLj64ELj1ELj8ELb1ELb1ELb0EEEvllPKT_S5_PKT0_S8_PS3_S9_
		.amdhsa_group_segment_fixed_size 0
		.amdhsa_private_segment_fixed_size 0
		.amdhsa_kernarg_size 320
		.amdhsa_user_sgpr_count 14
		.amdhsa_user_sgpr_dispatch_ptr 0
		.amdhsa_user_sgpr_queue_ptr 0
		.amdhsa_user_sgpr_kernarg_segment_ptr 1
		.amdhsa_user_sgpr_dispatch_id 0
		.amdhsa_user_sgpr_private_segment_size 0
		.amdhsa_wavefront_size32 1
		.amdhsa_uses_dynamic_stack 0
		.amdhsa_enable_private_segment 0
		.amdhsa_system_sgpr_workgroup_id_x 1
		.amdhsa_system_sgpr_workgroup_id_y 1
		.amdhsa_system_sgpr_workgroup_id_z 0
		.amdhsa_system_sgpr_workgroup_info 0
		.amdhsa_system_vgpr_workitem_id 1
		.amdhsa_next_free_vgpr 44
		.amdhsa_next_free_sgpr 36
		.amdhsa_reserve_vcc 1
		.amdhsa_float_round_mode_32 0
		.amdhsa_float_round_mode_16_64 0
		.amdhsa_float_denorm_mode_32 3
		.amdhsa_float_denorm_mode_16_64 3
		.amdhsa_dx10_clamp 1
		.amdhsa_ieee_mode 1
		.amdhsa_fp16_overflow 0
		.amdhsa_workgroup_processor_mode 1
		.amdhsa_memory_ordered 1
		.amdhsa_forward_progress 0
		.amdhsa_shared_vgpr_count 0
		.amdhsa_exception_fp_ieee_invalid_op 0
		.amdhsa_exception_fp_denorm_src 0
		.amdhsa_exception_fp_ieee_div_zero 0
		.amdhsa_exception_fp_ieee_overflow 0
		.amdhsa_exception_fp_ieee_underflow 0
		.amdhsa_exception_fp_ieee_inexact 0
		.amdhsa_exception_int_div_zero 0
	.end_amdhsa_kernel
	.section	.text._ZN2at6native12_GLOBAL__N_135GammaBetaBackwardCUDAKernelTemplateIffLj64ELj1ELj8ELb1ELb1ELb0EEEvllPKT_S5_PKT0_S8_PS3_S9_,"axG",@progbits,_ZN2at6native12_GLOBAL__N_135GammaBetaBackwardCUDAKernelTemplateIffLj64ELj1ELj8ELb1ELb1ELb0EEEvllPKT_S5_PKT0_S8_PS3_S9_,comdat
.Lfunc_end52:
	.size	_ZN2at6native12_GLOBAL__N_135GammaBetaBackwardCUDAKernelTemplateIffLj64ELj1ELj8ELb1ELb1ELb0EEEvllPKT_S5_PKT0_S8_PS3_S9_, .Lfunc_end52-_ZN2at6native12_GLOBAL__N_135GammaBetaBackwardCUDAKernelTemplateIffLj64ELj1ELj8ELb1ELb1ELb0EEEvllPKT_S5_PKT0_S8_PS3_S9_
                                        ; -- End function
	.section	.AMDGPU.csdata,"",@progbits
; Kernel info:
; codeLenInByte = 1504
; NumSgprs: 38
; NumVgprs: 44
; ScratchSize: 0
; MemoryBound: 0
; FloatMode: 240
; IeeeMode: 1
; LDSByteSize: 0 bytes/workgroup (compile time only)
; SGPRBlocks: 4
; VGPRBlocks: 5
; NumSGPRsForWavesPerEU: 38
; NumVGPRsForWavesPerEU: 44
; Occupancy: 16
; WaveLimiterHint : 0
; COMPUTE_PGM_RSRC2:SCRATCH_EN: 0
; COMPUTE_PGM_RSRC2:USER_SGPR: 14
; COMPUTE_PGM_RSRC2:TRAP_HANDLER: 0
; COMPUTE_PGM_RSRC2:TGID_X_EN: 1
; COMPUTE_PGM_RSRC2:TGID_Y_EN: 1
; COMPUTE_PGM_RSRC2:TGID_Z_EN: 0
; COMPUTE_PGM_RSRC2:TIDIG_COMP_CNT: 1
	.section	.text._ZN2at6native12_GLOBAL__N_135GammaBetaBackwardCUDAKernelTemplateIffLj64ELj1ELj8ELb1ELb0ELb0EEEvllPKT_S5_PKT0_S8_PS3_S9_,"axG",@progbits,_ZN2at6native12_GLOBAL__N_135GammaBetaBackwardCUDAKernelTemplateIffLj64ELj1ELj8ELb1ELb0ELb0EEEvllPKT_S5_PKT0_S8_PS3_S9_,comdat
	.globl	_ZN2at6native12_GLOBAL__N_135GammaBetaBackwardCUDAKernelTemplateIffLj64ELj1ELj8ELb1ELb0ELb0EEEvllPKT_S5_PKT0_S8_PS3_S9_ ; -- Begin function _ZN2at6native12_GLOBAL__N_135GammaBetaBackwardCUDAKernelTemplateIffLj64ELj1ELj8ELb1ELb0ELb0EEEvllPKT_S5_PKT0_S8_PS3_S9_
	.p2align	8
	.type	_ZN2at6native12_GLOBAL__N_135GammaBetaBackwardCUDAKernelTemplateIffLj64ELj1ELj8ELb1ELb0ELb0EEEvllPKT_S5_PKT0_S8_PS3_S9_,@function
_ZN2at6native12_GLOBAL__N_135GammaBetaBackwardCUDAKernelTemplateIffLj64ELj1ELj8ELb1ELb0ELb0EEEvllPKT_S5_PKT0_S8_PS3_S9_: ; @_ZN2at6native12_GLOBAL__N_135GammaBetaBackwardCUDAKernelTemplateIffLj64ELj1ELj8ELb1ELb0ELb0EEEvllPKT_S5_PKT0_S8_PS3_S9_
; %bb.0:
	s_clause 0x1
	s_load_b256 s[16:23], s[0:1], 0x0
	s_load_b128 s[36:39], s[0:1], 0x20
	s_mov_b32 s2, s15
	s_mov_b32 s5, 0
	s_lshl_b32 s12, s2, 3
	s_mov_b32 s13, s5
	s_lshl_b32 s15, s14, 6
	s_delay_alu instid0(SALU_CYCLE_1) | instskip(SKIP_3) | instid1(VALU_DEP_2)
	s_or_b32 s4, s15, 63
	s_waitcnt lgkmcnt(0)
	v_cmp_lt_i64_e64 s33, s[12:13], s[16:17]
	v_cmp_ge_i64_e64 s3, s[4:5], s[18:19]
	v_cndmask_b32_e64 v1, 0, 1, s33
	s_delay_alu instid0(VALU_DEP_2) | instskip(NEXT) | instid1(VALU_DEP_1)
	s_and_b32 vcc_lo, exec_lo, s3
	v_cmp_ne_u32_e64 s3, 1, v1
	s_cbranch_vccz .LBB53_49
; %bb.1:
	v_dual_mov_b32 v51, 0 :: v_dual_mov_b32 v56, 0
	s_delay_alu instid0(VALU_DEP_2)
	s_and_b32 vcc_lo, exec_lo, s3
	s_cbranch_vccnz .LBB53_50
; %bb.2:
	v_bfe_u32 v29, v0, 10, 10
	s_load_b32 s4, s[0:1], 0x44
	v_dual_mov_b32 v2, 0 :: v_dual_and_b32 v31, 0x3ff, v0
	s_add_u32 s6, s0, 64
	s_delay_alu instid0(VALU_DEP_2) | instskip(NEXT) | instid1(VALU_DEP_2)
	v_dual_mov_b32 v67, 0 :: v_dual_lshlrev_b32 v30, 3, v29
	v_dual_mov_b32 v32, v2 :: v_dual_add_nc_u32 v1, s15, v31
	s_addc_u32 s7, s1, 0
	s_delay_alu instid0(VALU_DEP_2) | instskip(NEXT) | instid1(VALU_DEP_1)
	v_add_co_u32 v9, s3, v30, s12
	v_add_co_ci_u32_e64 v10, null, 0, 0, s3
	s_delay_alu instid0(VALU_DEP_3) | instskip(NEXT) | instid1(VALU_DEP_3)
	v_cmp_gt_i64_e64 s3, s[18:19], v[1:2]
	v_add_co_u32 v5, vcc_lo, v9, 7
	s_delay_alu instid0(VALU_DEP_3) | instskip(SKIP_1) | instid1(VALU_DEP_3)
	v_add_co_ci_u32_e32 v3, vcc_lo, 0, v10, vcc_lo
	v_add_co_u32 v8, vcc_lo, v9, 6
	v_mul_lo_u32 v6, s19, v5
	s_delay_alu instid0(VALU_DEP_3)
	v_mul_lo_u32 v7, s18, v3
	v_mad_u64_u32 v[3:4], null, s18, v5, 0
	v_add_co_ci_u32_e32 v5, vcc_lo, 0, v10, vcc_lo
	v_lshlrev_b64 v[25:26], 2, v[1:2]
	v_mul_lo_u32 v1, s19, v8
	s_waitcnt lgkmcnt(0)
	s_lshl_b32 s40, s4, 3
	v_mov_b32_e32 v51, 0
	v_add3_u32 v4, v4, v7, v6
	v_mul_lo_u32 v7, s18, v5
	v_mad_u64_u32 v[5:6], null, s18, v8, 0
	s_mul_i32 s4, s19, s40
	s_delay_alu instid0(VALU_DEP_3) | instskip(SKIP_4) | instid1(VALU_DEP_2)
	v_lshlrev_b64 v[3:4], 2, v[3:4]
	s_mul_hi_u32 s8, s18, s40
	s_mul_i32 s10, s18, s40
	s_add_i32 s11, s8, s4
	s_mov_b32 s24, 0
	v_add3_u32 v6, v6, v7, v1
	v_add_co_u32 v33, vcc_lo, s20, v3
	v_add_co_ci_u32_e32 v34, vcc_lo, s21, v4, vcc_lo
	v_add_co_u32 v1, vcc_lo, v9, 5
	v_add_co_u32 v35, s4, s22, v3
	s_delay_alu instid0(VALU_DEP_1) | instskip(SKIP_4) | instid1(VALU_DEP_3)
	v_add_co_ci_u32_e64 v36, s4, s23, v4, s4
	v_lshlrev_b64 v[3:4], 2, v[5:6]
	v_add_co_ci_u32_e32 v5, vcc_lo, 0, v10, vcc_lo
	v_add_co_u32 v12, vcc_lo, v9, 4
	v_mul_lo_u32 v11, s19, v1
	v_mul_lo_u32 v13, s18, v5
	v_mad_u64_u32 v[5:6], null, s18, v1, 0
	v_add_co_ci_u32_e32 v7, vcc_lo, 0, v10, vcc_lo
	v_mul_lo_u32 v1, s19, v12
	v_add_co_u32 v37, vcc_lo, s20, v3
	s_delay_alu instid0(VALU_DEP_3)
	v_mul_lo_u32 v14, s18, v7
	v_mad_u64_u32 v[7:8], null, s18, v12, 0
	v_add3_u32 v6, v6, v13, v11
	v_add_co_ci_u32_e32 v38, vcc_lo, s21, v4, vcc_lo
	v_add_co_u32 v39, vcc_lo, s22, v3
	v_add_co_ci_u32_e32 v40, vcc_lo, s23, v4, vcc_lo
	s_delay_alu instid0(VALU_DEP_4) | instskip(SKIP_3) | instid1(VALU_DEP_4)
	v_lshlrev_b64 v[3:4], 2, v[5:6]
	v_add3_u32 v8, v8, v14, v1
	v_add_co_u32 v1, vcc_lo, v9, 3
	v_add_co_ci_u32_e32 v11, vcc_lo, 0, v10, vcc_lo
	v_add_co_u32 v41, vcc_lo, s20, v3
	s_delay_alu instid0(VALU_DEP_4)
	v_lshlrev_b64 v[5:6], 2, v[7:8]
	v_add_co_ci_u32_e32 v42, vcc_lo, s21, v4, vcc_lo
	v_mul_lo_u32 v12, s19, v1
	v_mul_lo_u32 v11, s18, v11
	v_mad_u64_u32 v[7:8], null, s18, v1, 0
	v_add_co_u32 v43, vcc_lo, s22, v3
	v_add_co_ci_u32_e32 v44, vcc_lo, s23, v4, vcc_lo
	v_add_co_u32 v45, vcc_lo, s20, v5
	v_add_co_ci_u32_e32 v46, vcc_lo, s21, v6, vcc_lo
	v_add_co_u32 v1, vcc_lo, v9, 2
	v_add3_u32 v8, v8, v11, v12
	v_add_co_ci_u32_e32 v11, vcc_lo, 0, v10, vcc_lo
	v_add_co_u32 v47, vcc_lo, s22, v5
	v_add_co_ci_u32_e32 v48, vcc_lo, s23, v6, vcc_lo
	v_mul_lo_u32 v12, s19, v1
	s_delay_alu instid0(VALU_DEP_4)
	v_mul_lo_u32 v11, s18, v11
	v_mad_u64_u32 v[5:6], null, s18, v1, 0
	v_lshlrev_b64 v[3:4], 2, v[7:8]
	v_mul_lo_u32 v1, s19, v9
	v_mul_lo_u32 v10, s18, v10
	v_mad_u64_u32 v[7:8], null, s18, v9, 0
	s_mov_b64 s[8:9], 7
	s_delay_alu instid0(VALU_DEP_4)
	v_add_co_u32 v49, vcc_lo, s20, v3
	v_add3_u32 v6, v6, v11, v12
	v_add_co_ci_u32_e32 v50, vcc_lo, s21, v4, vcc_lo
	v_add_co_u32 v52, vcc_lo, s22, v3
	v_add3_u32 v8, v8, v10, v1
	v_add_co_ci_u32_e32 v53, vcc_lo, s23, v4, vcc_lo
	v_lshlrev_b64 v[3:4], 2, v[5:6]
	v_add_co_u32 v5, vcc_lo, v7, s18
	s_delay_alu instid0(VALU_DEP_4) | instskip(SKIP_1) | instid1(VALU_DEP_3)
	v_add_co_ci_u32_e32 v6, vcc_lo, s19, v8, vcc_lo
	s_lshl_b64 s[10:11], s[10:11], 2
	v_add_co_u32 v54, vcc_lo, s20, v3
	s_delay_alu instid0(VALU_DEP_2) | instskip(SKIP_3) | instid1(VALU_DEP_4)
	v_lshlrev_b64 v[5:6], 2, v[5:6]
	v_add_co_ci_u32_e32 v55, vcc_lo, s21, v4, vcc_lo
	v_add_co_u32 v57, vcc_lo, s22, v3
	v_add_co_ci_u32_e32 v58, vcc_lo, s23, v4, vcc_lo
	v_add_co_u32 v59, vcc_lo, s20, v5
	v_lshlrev_b64 v[3:4], 2, v[7:8]
	v_add_co_ci_u32_e32 v60, vcc_lo, s21, v6, vcc_lo
	v_add_co_u32 v61, vcc_lo, s22, v5
	v_add_co_ci_u32_e32 v62, vcc_lo, s23, v6, vcc_lo
	s_delay_alu instid0(VALU_DEP_4)
	v_add_co_u32 v63, vcc_lo, s20, v3
	v_add_co_ci_u32_e32 v64, vcc_lo, s21, v4, vcc_lo
	v_add_co_u32 v65, vcc_lo, s22, v3
	v_add_co_ci_u32_e32 v66, vcc_lo, s23, v4, vcc_lo
	s_mov_b64 s[34:35], s[12:13]
.LBB53_3:                               ; =>This Inner Loop Header: Depth=1
	s_add_u32 s26, s12, s8
	s_addc_u32 s27, 0, s9
	v_add_co_u32 v27, vcc_lo, s12, v30
	v_cmp_ge_i64_e64 s4, s[26:27], s[16:17]
	v_add_co_ci_u32_e32 v28, vcc_lo, 0, v32, vcc_lo
	s_delay_alu instid0(VALU_DEP_2)
	s_and_b32 vcc_lo, exec_lo, s4
	s_cbranch_vccz .LBB53_25
; %bb.4:                                ;   in Loop: Header=BB53_3 Depth=1
	s_load_b32 s4, s[6:7], 0xc
	v_dual_mov_b32 v69, 0 :: v_dual_mov_b32 v68, 0
	s_waitcnt lgkmcnt(0)
	s_and_b32 s4, s4, 0xffff
	s_delay_alu instid0(SALU_CYCLE_1) | instskip(SKIP_1) | instid1(VALU_DEP_1)
	v_mad_u32_u24 v1, v29, s4, v31
	s_mov_b32 s4, exec_lo
	v_and_b32_e32 v1, 31, v1
	s_delay_alu instid0(VALU_DEP_1)
	v_cmpx_gt_u32_e32 8, v1
	s_cbranch_execz .LBB53_8
; %bb.5:                                ;   in Loop: Header=BB53_3 Depth=1
	v_add_co_u32 v3, vcc_lo, v27, v1
	v_add_co_ci_u32_e32 v4, vcc_lo, 0, v28, vcc_lo
	v_dual_mov_b32 v68, 0 :: v_dual_mov_b32 v69, 0
	s_mov_b32 s25, exec_lo
	s_delay_alu instid0(VALU_DEP_2)
	v_cmpx_gt_i64_e64 s[16:17], v[3:4]
	s_cbranch_execz .LBB53_7
; %bb.6:                                ;   in Loop: Header=BB53_3 Depth=1
	v_lshlrev_b64 v[3:4], 2, v[3:4]
	s_delay_alu instid0(VALU_DEP_1) | instskip(NEXT) | instid1(VALU_DEP_2)
	v_add_co_u32 v5, vcc_lo, s36, v3
	v_add_co_ci_u32_e32 v6, vcc_lo, s37, v4, vcc_lo
	v_add_co_u32 v3, vcc_lo, s38, v3
	v_add_co_ci_u32_e32 v4, vcc_lo, s39, v4, vcc_lo
	global_load_b32 v68, v[5:6], off
	global_load_b32 v69, v[3:4], off
.LBB53_7:                               ;   in Loop: Header=BB53_3 Depth=1
	s_or_b32 exec_lo, exec_lo, s25
.LBB53_8:                               ;   in Loop: Header=BB53_3 Depth=1
	s_delay_alu instid0(SALU_CYCLE_1)
	s_or_b32 exec_lo, exec_lo, s4
	s_mov_b32 s30, s24
	s_mov_b32 s31, s24
	;; [unrolled: 1-line block ×7, first 2 shown]
	v_dual_mov_b32 v9, s24 :: v_dual_mov_b32 v10, s25
	v_dual_mov_b32 v15, s30 :: v_dual_mov_b32 v16, s31
	;; [unrolled: 1-line block ×4, first 2 shown]
	v_cmp_gt_i64_e32 vcc_lo, s[16:17], v[27:28]
	s_delay_alu instid0(VALU_DEP_4) | instskip(NEXT) | instid1(VALU_DEP_3)
	v_dual_mov_b32 v24, v16 :: v_dual_mov_b32 v23, v15
	v_dual_mov_b32 v21, v13 :: v_dual_mov_b32 v22, v14
	;; [unrolled: 1-line block ×4, first 2 shown]
	s_and_b32 s25, s3, vcc_lo
	s_delay_alu instid0(SALU_CYCLE_1)
	s_and_saveexec_b32 s4, s25
	s_cbranch_execz .LBB53_10
; %bb.9:                                ;   in Loop: Header=BB53_3 Depth=1
	v_add_co_u32 v3, vcc_lo, v63, v25
	v_add_co_ci_u32_e32 v4, vcc_lo, v64, v26, vcc_lo
	v_mov_b32_e32 v8, v2
	v_mov_b32_e32 v5, v2
	v_mov_b32_e32 v6, v2
	global_load_b32 v1, v[3:4], off
	v_add_co_u32 v3, vcc_lo, v65, v25
	v_add_co_ci_u32_e32 v4, vcc_lo, v66, v26, vcc_lo
	v_mov_b32_e32 v7, v2
	v_mov_b32_e32 v15, v2
	global_load_b32 v9, v[3:4], off
	v_mov_b32_e32 v3, v2
	v_mov_b32_e32 v4, v2
	s_waitcnt vmcnt(1)
	v_dual_mov_b32 v11, v2 :: v_dual_mov_b32 v24, v8
	v_dual_mov_b32 v10, v2 :: v_dual_mov_b32 v23, v7
	;; [unrolled: 1-line block ×5, first 2 shown]
	v_mov_b32_e32 v16, v2
	v_mov_b32_e32 v22, v6
	v_dual_mov_b32 v18, v2 :: v_dual_mov_b32 v17, v1
.LBB53_10:                              ;   in Loop: Header=BB53_3 Depth=1
	s_or_b32 exec_lo, exec_lo, s4
	v_add_co_u32 v3, vcc_lo, v27, 1
	v_add_co_ci_u32_e32 v4, vcc_lo, 0, v28, vcc_lo
	s_delay_alu instid0(VALU_DEP_1) | instskip(SKIP_1) | instid1(SALU_CYCLE_1)
	v_cmp_gt_i64_e32 vcc_lo, s[16:17], v[3:4]
	s_and_b32 s25, s3, vcc_lo
	s_and_saveexec_b32 s4, s25
	s_cbranch_execz .LBB53_12
; %bb.11:                               ;   in Loop: Header=BB53_3 Depth=1
	v_add_co_u32 v3, vcc_lo, v59, v25
	v_add_co_ci_u32_e32 v4, vcc_lo, v60, v26, vcc_lo
	v_add_co_u32 v5, vcc_lo, v61, v25
	v_add_co_ci_u32_e32 v6, vcc_lo, v62, v26, vcc_lo
	global_load_b32 v18, v[3:4], off
	global_load_b32 v10, v[5:6], off
.LBB53_12:                              ;   in Loop: Header=BB53_3 Depth=1
	s_or_b32 exec_lo, exec_lo, s4
	v_add_co_u32 v3, vcc_lo, v27, 2
	v_add_co_ci_u32_e32 v4, vcc_lo, 0, v28, vcc_lo
	s_delay_alu instid0(VALU_DEP_1) | instskip(SKIP_1) | instid1(SALU_CYCLE_1)
	v_cmp_gt_i64_e32 vcc_lo, s[16:17], v[3:4]
	s_and_b32 s25, s3, vcc_lo
	s_and_saveexec_b32 s4, s25
	s_cbranch_execz .LBB53_14
; %bb.13:                               ;   in Loop: Header=BB53_3 Depth=1
	v_add_co_u32 v3, vcc_lo, v54, v25
	v_add_co_ci_u32_e32 v4, vcc_lo, v55, v26, vcc_lo
	v_add_co_u32 v5, vcc_lo, v57, v25
	v_add_co_ci_u32_e32 v6, vcc_lo, v58, v26, vcc_lo
	global_load_b32 v19, v[3:4], off
	global_load_b32 v11, v[5:6], off
.LBB53_14:                              ;   in Loop: Header=BB53_3 Depth=1
	;; [unrolled: 16-line block ×7, first 2 shown]
	s_or_b32 exec_lo, exec_lo, s4
	s_waitcnt vmcnt(1)
	ds_bpermute_b32 v1, v2, v68
	ds_bpermute_b32 v3, v2, v68 offset:4
	ds_bpermute_b32 v4, v2, v68 offset:8
	;; [unrolled: 1-line block ×3, first 2 shown]
	s_waitcnt vmcnt(0)
	ds_bpermute_b32 v5, v2, v69
	ds_bpermute_b32 v7, v2, v69 offset:4
	ds_bpermute_b32 v8, v2, v68 offset:16
	;; [unrolled: 1-line block ×5, first 2 shown]
	s_waitcnt lgkmcnt(9)
	v_sub_f32_e32 v1, v9, v1
	v_add_f32_e32 v9, v51, v17
	s_waitcnt lgkmcnt(7)
	v_sub_f32_e32 v4, v11, v4
	s_waitcnt lgkmcnt(6)
	v_dual_sub_f32 v6, v12, v6 :: v_dual_sub_f32 v3, v10, v3
	ds_bpermute_b32 v10, v2, v69 offset:16
	ds_bpermute_b32 v11, v2, v69 offset:24
	v_mul_f32_e32 v4, v19, v4
	v_dual_mul_f32 v6, v20, v6 :: v_dual_mul_f32 v3, v18, v3
	v_mul_f32_e32 v1, v17, v1
	ds_bpermute_b32 v17, v2, v68 offset:24
	s_waitcnt lgkmcnt(8)
	v_fma_f32 v56, v1, v5, v67
	ds_bpermute_b32 v5, v2, v69 offset:20
	ds_bpermute_b32 v1, v2, v69 offset:28
	s_waitcnt lgkmcnt(9)
	v_dual_fmac_f32 v56, v3, v7 :: v_dual_add_f32 v3, v18, v9
	s_waitcnt lgkmcnt(7)
	s_delay_alu instid0(VALU_DEP_1) | instskip(NEXT) | instid1(VALU_DEP_2)
	v_dual_sub_f32 v7, v13, v8 :: v_dual_fmac_f32 v56, v4, v70
	v_add_f32_e32 v4, v19, v3
	ds_bpermute_b32 v3, v2, v68 offset:28
	s_waitcnt lgkmcnt(6)
	v_dual_sub_f32 v8, v14, v72 :: v_dual_mul_f32 v7, v21, v7
	v_fmac_f32_e32 v56, v6, v71
	v_add_f32_e32 v4, v20, v4
	s_waitcnt lgkmcnt(3)
	v_sub_f32_e32 v6, v15, v17
	v_mul_f32_e32 v8, v22, v8
	v_fmac_f32_e32 v56, v7, v10
	v_add_f32_e32 v4, v21, v4
	s_delay_alu instid0(VALU_DEP_4) | instskip(SKIP_1) | instid1(VALU_DEP_3)
	v_mul_f32_e32 v6, v23, v6
	s_waitcnt lgkmcnt(2)
	v_fmac_f32_e32 v56, v8, v5
	s_delay_alu instid0(VALU_DEP_3) | instskip(NEXT) | instid1(VALU_DEP_2)
	v_add_f32_e32 v4, v22, v4
	v_fmac_f32_e32 v56, v6, v11
	s_delay_alu instid0(VALU_DEP_2)
	v_add_f32_e32 v4, v23, v4
	s_branch .LBB53_40
.LBB53_25:                              ;   in Loop: Header=BB53_3 Depth=1
                                        ; implicit-def: $vgpr1
                                        ; implicit-def: $vgpr9_vgpr10_vgpr11_vgpr12_vgpr13_vgpr14_vgpr15_vgpr16
                                        ; implicit-def: $vgpr17_vgpr18_vgpr19_vgpr20_vgpr21_vgpr22_vgpr23_vgpr24
                                        ; implicit-def: $vgpr3
                                        ; implicit-def: $vgpr4
                                        ; implicit-def: $vgpr56
	s_cbranch_execz .LBB53_40
; %bb.26:                               ;   in Loop: Header=BB53_3 Depth=1
	s_load_b32 s4, s[6:7], 0x0
	v_mov_b32_e32 v56, 0
	v_mov_b32_e32 v68, 0
	s_waitcnt lgkmcnt(0)
	s_cmp_lt_u32 s14, s4
	s_cselect_b32 s4, 12, 18
	s_delay_alu instid0(SALU_CYCLE_1)
	s_add_u32 s26, s6, s4
	s_addc_u32 s27, s7, 0
	s_mov_b32 s4, exec_lo
	global_load_u16 v1, v2, s[26:27]
	s_waitcnt vmcnt(0)
	v_mad_u32_u24 v1, v29, v1, v31
	s_delay_alu instid0(VALU_DEP_1) | instskip(NEXT) | instid1(VALU_DEP_1)
	v_and_b32_e32 v1, 31, v1
	v_cmpx_gt_u32_e32 8, v1
	s_cbranch_execz .LBB53_30
; %bb.27:                               ;   in Loop: Header=BB53_3 Depth=1
	v_add_co_u32 v3, vcc_lo, v27, v1
	v_add_co_ci_u32_e32 v4, vcc_lo, 0, v28, vcc_lo
	v_mov_b32_e32 v56, 0
	v_mov_b32_e32 v68, 0
	s_mov_b32 s25, exec_lo
	s_delay_alu instid0(VALU_DEP_3)
	v_cmpx_gt_i64_e64 s[16:17], v[3:4]
	s_cbranch_execz .LBB53_29
; %bb.28:                               ;   in Loop: Header=BB53_3 Depth=1
	v_lshlrev_b64 v[3:4], 2, v[3:4]
	s_delay_alu instid0(VALU_DEP_1) | instskip(NEXT) | instid1(VALU_DEP_2)
	v_add_co_u32 v5, vcc_lo, s36, v3
	v_add_co_ci_u32_e32 v6, vcc_lo, s37, v4, vcc_lo
	v_add_co_u32 v3, vcc_lo, s38, v3
	v_add_co_ci_u32_e32 v4, vcc_lo, s39, v4, vcc_lo
	global_load_b32 v56, v[5:6], off
	global_load_b32 v68, v[3:4], off
.LBB53_29:                              ;   in Loop: Header=BB53_3 Depth=1
	s_or_b32 exec_lo, exec_lo, s25
.LBB53_30:                              ;   in Loop: Header=BB53_3 Depth=1
	s_delay_alu instid0(SALU_CYCLE_1)
	s_or_b32 exec_lo, exec_lo, s4
	s_mov_b32 s30, s24
	s_mov_b32 s31, s24
	s_mov_b32 s25, s24
	s_mov_b32 s26, s24
	s_mov_b32 s27, s24
	s_mov_b32 s28, s24
	s_mov_b32 s29, s24
	v_dual_mov_b32 v9, s24 :: v_dual_mov_b32 v10, s25
	v_dual_mov_b32 v15, s30 :: v_dual_mov_b32 v16, s31
	;; [unrolled: 1-line block ×4, first 2 shown]
	s_delay_alu instid0(VALU_DEP_3) | instskip(NEXT) | instid1(VALU_DEP_3)
	v_dual_mov_b32 v24, v16 :: v_dual_mov_b32 v23, v15
	v_dual_mov_b32 v20, v12 :: v_dual_mov_b32 v19, v11
	s_delay_alu instid0(VALU_DEP_3)
	v_dual_mov_b32 v22, v14 :: v_dual_mov_b32 v21, v13
	v_dual_mov_b32 v18, v10 :: v_dual_mov_b32 v17, v9
	s_and_saveexec_b32 s4, s3
	s_cbranch_execnz .LBB53_42
; %bb.31:                               ;   in Loop: Header=BB53_3 Depth=1
	s_or_b32 exec_lo, exec_lo, s4
	s_and_saveexec_b32 s4, s3
	s_cbranch_execnz .LBB53_43
.LBB53_32:                              ;   in Loop: Header=BB53_3 Depth=1
	s_or_b32 exec_lo, exec_lo, s4
	s_and_saveexec_b32 s4, s3
	s_cbranch_execnz .LBB53_44
.LBB53_33:                              ;   in Loop: Header=BB53_3 Depth=1
	s_or_b32 exec_lo, exec_lo, s4
	s_and_saveexec_b32 s4, s3
	s_cbranch_execnz .LBB53_45
.LBB53_34:                              ;   in Loop: Header=BB53_3 Depth=1
	s_or_b32 exec_lo, exec_lo, s4
	s_and_saveexec_b32 s4, s3
	s_cbranch_execnz .LBB53_46
.LBB53_35:                              ;   in Loop: Header=BB53_3 Depth=1
	s_or_b32 exec_lo, exec_lo, s4
	s_and_saveexec_b32 s4, s3
	s_cbranch_execnz .LBB53_47
.LBB53_36:                              ;   in Loop: Header=BB53_3 Depth=1
	s_or_b32 exec_lo, exec_lo, s4
	s_and_saveexec_b32 s4, s3
	s_cbranch_execnz .LBB53_48
.LBB53_37:                              ;   in Loop: Header=BB53_3 Depth=1
	s_or_b32 exec_lo, exec_lo, s4
	s_and_saveexec_b32 s4, s3
	s_cbranch_execz .LBB53_39
.LBB53_38:                              ;   in Loop: Header=BB53_3 Depth=1
	v_add_co_u32 v3, vcc_lo, v33, v25
	v_add_co_ci_u32_e32 v4, vcc_lo, v34, v26, vcc_lo
	v_add_co_u32 v5, vcc_lo, v35, v25
	v_add_co_ci_u32_e32 v6, vcc_lo, v36, v26, vcc_lo
	global_load_b32 v24, v[3:4], off
	global_load_b32 v16, v[5:6], off
.LBB53_39:                              ;   in Loop: Header=BB53_3 Depth=1
	s_or_b32 exec_lo, exec_lo, s4
	s_waitcnt vmcnt(1)
	ds_bpermute_b32 v1, v2, v56
	ds_bpermute_b32 v3, v2, v56 offset:4
	ds_bpermute_b32 v4, v2, v56 offset:8
	s_waitcnt vmcnt(0)
	ds_bpermute_b32 v5, v2, v68
	ds_bpermute_b32 v6, v2, v56 offset:12
	ds_bpermute_b32 v7, v2, v68 offset:4
	;; [unrolled: 1-line block ×5, first 2 shown]
	s_waitcnt lgkmcnt(8)
	v_sub_f32_e32 v1, v9, v1
	ds_bpermute_b32 v9, v2, v68 offset:12
	s_waitcnt lgkmcnt(7)
	v_dual_sub_f32 v4, v11, v4 :: v_dual_sub_f32 v3, v10, v3
	v_add_f32_e32 v10, v51, v17
	v_mul_f32_e32 v1, v17, v1
	ds_bpermute_b32 v17, v2, v68 offset:16
	v_dual_mul_f32 v4, v19, v4 :: v_dual_mul_f32 v3, v18, v3
	ds_bpermute_b32 v11, v2, v68 offset:20
	s_waitcnt lgkmcnt(8)
	v_fmac_f32_e32 v67, v1, v5
	ds_bpermute_b32 v5, v2, v56 offset:24
	s_waitcnt lgkmcnt(6)
	v_dual_sub_f32 v1, v12, v6 :: v_dual_sub_f32 v6, v13, v8
	s_waitcnt lgkmcnt(5)
	v_dual_sub_f32 v8, v14, v28 :: v_dual_fmac_f32 v67, v3, v7
	v_add_f32_e32 v3, v18, v10
	s_delay_alu instid0(VALU_DEP_3) | instskip(NEXT) | instid1(VALU_DEP_3)
	v_mul_f32_e32 v6, v21, v6
	v_dual_mul_f32 v8, v22, v8 :: v_dual_mul_f32 v1, v20, v1
	s_waitcnt lgkmcnt(4)
	v_fmac_f32_e32 v67, v4, v27
	ds_bpermute_b32 v4, v2, v68 offset:24
	v_add_f32_e32 v7, v19, v3
	ds_bpermute_b32 v3, v2, v56 offset:28
	s_waitcnt lgkmcnt(5)
	v_fmac_f32_e32 v67, v1, v9
	ds_bpermute_b32 v1, v2, v68 offset:28
	s_waitcnt lgkmcnt(5)
	v_fmac_f32_e32 v67, v6, v17
	s_waitcnt lgkmcnt(3)
	v_sub_f32_e32 v5, v15, v5
	s_delay_alu instid0(VALU_DEP_2) | instskip(NEXT) | instid1(VALU_DEP_2)
	v_fmac_f32_e32 v67, v8, v11
	v_mul_f32_e32 v5, v23, v5
	s_waitcnt lgkmcnt(2)
	s_delay_alu instid0(VALU_DEP_1) | instskip(NEXT) | instid1(VALU_DEP_1)
	v_fmac_f32_e32 v67, v5, v4
	v_dual_add_f32 v7, v20, v7 :: v_dual_mov_b32 v56, v67
	s_delay_alu instid0(VALU_DEP_1) | instskip(NEXT) | instid1(VALU_DEP_1)
	v_add_f32_e32 v6, v21, v7
	v_add_f32_e32 v6, v22, v6
	s_delay_alu instid0(VALU_DEP_1)
	v_add_f32_e32 v4, v23, v6
.LBB53_40:                              ;   in Loop: Header=BB53_3 Depth=1
	v_add_co_u32 v33, vcc_lo, v33, s10
	v_add_co_ci_u32_e32 v34, vcc_lo, s11, v34, vcc_lo
	v_add_co_u32 v35, vcc_lo, v35, s10
	v_add_co_ci_u32_e32 v36, vcc_lo, s11, v36, vcc_lo
	;; [unrolled: 2-line block ×13, first 2 shown]
	v_add_co_u32 v61, vcc_lo, v61, s10
	s_waitcnt lgkmcnt(0)
	v_sub_f32_e32 v3, v16, v3
	v_add_co_ci_u32_e32 v62, vcc_lo, s11, v62, vcc_lo
	v_add_co_u32 v30, vcc_lo, v30, s40
	s_add_u32 s34, s34, s40
	v_add_co_ci_u32_e32 v32, vcc_lo, 0, v32, vcc_lo
	v_mul_f32_e32 v3, v24, v3
	s_addc_u32 s35, s35, 0
	v_add_co_u32 v63, vcc_lo, v63, s10
	v_add_co_ci_u32_e32 v64, vcc_lo, s11, v64, vcc_lo
	v_cmp_lt_i64_e64 s4, s[34:35], s[16:17]
	v_add_co_u32 v65, vcc_lo, v65, s10
	v_dual_add_f32 v51, v4, v24 :: v_dual_fmac_f32 v56, v3, v1
	v_add_co_ci_u32_e32 v66, vcc_lo, s11, v66, vcc_lo
	s_add_u32 s8, s8, s40
	s_addc_u32 s9, s9, 0
	s_and_b32 vcc_lo, exec_lo, s4
	s_cbranch_vccz .LBB53_50
; %bb.41:                               ;   in Loop: Header=BB53_3 Depth=1
	v_mov_b32_e32 v67, v56
	s_branch .LBB53_3
.LBB53_42:                              ;   in Loop: Header=BB53_3 Depth=1
	v_add_co_u32 v3, vcc_lo, v63, v25
	v_add_co_ci_u32_e32 v4, vcc_lo, v64, v26, vcc_lo
	v_mov_b32_e32 v8, v2
	v_mov_b32_e32 v5, v2
	;; [unrolled: 1-line block ×3, first 2 shown]
	global_load_b32 v1, v[3:4], off
	v_add_co_u32 v3, vcc_lo, v65, v25
	v_add_co_ci_u32_e32 v4, vcc_lo, v66, v26, vcc_lo
	v_mov_b32_e32 v7, v2
	v_mov_b32_e32 v15, v2
	global_load_b32 v9, v[3:4], off
	v_mov_b32_e32 v3, v2
	v_mov_b32_e32 v4, v2
	s_waitcnt vmcnt(1)
	v_dual_mov_b32 v11, v2 :: v_dual_mov_b32 v24, v8
	v_dual_mov_b32 v10, v2 :: v_dual_mov_b32 v23, v7
	;; [unrolled: 1-line block ×5, first 2 shown]
	v_mov_b32_e32 v16, v2
	v_mov_b32_e32 v22, v6
	v_dual_mov_b32 v18, v2 :: v_dual_mov_b32 v17, v1
	s_or_b32 exec_lo, exec_lo, s4
	s_and_saveexec_b32 s4, s3
	s_cbranch_execz .LBB53_32
.LBB53_43:                              ;   in Loop: Header=BB53_3 Depth=1
	v_add_co_u32 v3, vcc_lo, v59, v25
	v_add_co_ci_u32_e32 v4, vcc_lo, v60, v26, vcc_lo
	v_add_co_u32 v5, vcc_lo, v61, v25
	v_add_co_ci_u32_e32 v6, vcc_lo, v62, v26, vcc_lo
	global_load_b32 v18, v[3:4], off
	global_load_b32 v10, v[5:6], off
	s_or_b32 exec_lo, exec_lo, s4
	s_and_saveexec_b32 s4, s3
	s_cbranch_execz .LBB53_33
.LBB53_44:                              ;   in Loop: Header=BB53_3 Depth=1
	v_add_co_u32 v3, vcc_lo, v54, v25
	v_add_co_ci_u32_e32 v4, vcc_lo, v55, v26, vcc_lo
	v_add_co_u32 v5, vcc_lo, v57, v25
	v_add_co_ci_u32_e32 v6, vcc_lo, v58, v26, vcc_lo
	global_load_b32 v19, v[3:4], off
	global_load_b32 v11, v[5:6], off
	s_or_b32 exec_lo, exec_lo, s4
	s_and_saveexec_b32 s4, s3
	s_cbranch_execz .LBB53_34
.LBB53_45:                              ;   in Loop: Header=BB53_3 Depth=1
	v_add_co_u32 v3, vcc_lo, v49, v25
	v_add_co_ci_u32_e32 v4, vcc_lo, v50, v26, vcc_lo
	v_add_co_u32 v5, vcc_lo, v52, v25
	v_add_co_ci_u32_e32 v6, vcc_lo, v53, v26, vcc_lo
	global_load_b32 v20, v[3:4], off
	global_load_b32 v12, v[5:6], off
	s_or_b32 exec_lo, exec_lo, s4
	s_and_saveexec_b32 s4, s3
	s_cbranch_execz .LBB53_35
.LBB53_46:                              ;   in Loop: Header=BB53_3 Depth=1
	v_add_co_u32 v3, vcc_lo, v45, v25
	v_add_co_ci_u32_e32 v4, vcc_lo, v46, v26, vcc_lo
	v_add_co_u32 v5, vcc_lo, v47, v25
	v_add_co_ci_u32_e32 v6, vcc_lo, v48, v26, vcc_lo
	global_load_b32 v21, v[3:4], off
	global_load_b32 v13, v[5:6], off
	s_or_b32 exec_lo, exec_lo, s4
	s_and_saveexec_b32 s4, s3
	s_cbranch_execz .LBB53_36
.LBB53_47:                              ;   in Loop: Header=BB53_3 Depth=1
	v_add_co_u32 v3, vcc_lo, v41, v25
	v_add_co_ci_u32_e32 v4, vcc_lo, v42, v26, vcc_lo
	v_add_co_u32 v5, vcc_lo, v43, v25
	v_add_co_ci_u32_e32 v6, vcc_lo, v44, v26, vcc_lo
	global_load_b32 v22, v[3:4], off
	global_load_b32 v14, v[5:6], off
	s_or_b32 exec_lo, exec_lo, s4
	s_and_saveexec_b32 s4, s3
	s_cbranch_execz .LBB53_37
.LBB53_48:                              ;   in Loop: Header=BB53_3 Depth=1
	v_add_co_u32 v3, vcc_lo, v37, v25
	v_add_co_ci_u32_e32 v4, vcc_lo, v38, v26, vcc_lo
	v_add_co_u32 v5, vcc_lo, v39, v25
	v_add_co_ci_u32_e32 v6, vcc_lo, v40, v26, vcc_lo
	global_load_b32 v23, v[3:4], off
	global_load_b32 v15, v[5:6], off
	s_or_b32 exec_lo, exec_lo, s4
	s_and_saveexec_b32 s4, s3
	s_cbranch_execnz .LBB53_38
	s_branch .LBB53_39
.LBB53_49:
	s_mov_b32 s5, -1
                                        ; implicit-def: $vgpr51
                                        ; implicit-def: $vgpr56
.LBB53_50:
	s_delay_alu instid0(SALU_CYCLE_1)
	s_and_not1_b32 vcc_lo, exec_lo, s5
	s_cbranch_vccnz .LBB53_82
; %bb.51:
	v_dual_mov_b32 v51, 0 :: v_dual_mov_b32 v56, 0
	s_and_not1_b32 vcc_lo, exec_lo, s33
	s_mov_b32 s4, 0
	s_cbranch_vccnz .LBB53_82
; %bb.52:
	v_bfe_u32 v52, v0, 10, 10
	s_add_u32 s24, s0, 64
	s_addc_u32 s25, s1, 0
	s_lshl_b64 s[6:7], s[12:13], 2
	s_load_b32 s3, s[0:1], 0x44
	v_lshlrev_b32_e32 v3, 5, v52
	v_dual_mov_b32 v2, 0 :: v_dual_and_b32 v53, 0x3ff, v0
	v_lshlrev_b32_e32 v54, 3, v52
	s_mov_b64 s[26:27], s[12:13]
	s_delay_alu instid0(VALU_DEP_3) | instskip(NEXT) | instid1(VALU_DEP_3)
	v_add_co_u32 v3, s5, v3, s6
	v_mov_b32_e32 v55, v2
	v_add_co_ci_u32_e64 v4, null, 0, s7, s5
	v_add_nc_u32_e32 v1, s15, v53
	s_delay_alu instid0(VALU_DEP_4) | instskip(NEXT) | instid1(VALU_DEP_3)
	v_add_co_u32 v7, vcc_lo, v3, 4
	v_add_co_ci_u32_e32 v5, vcc_lo, 0, v4, vcc_lo
	s_delay_alu instid0(VALU_DEP_3) | instskip(SKIP_1) | instid1(VALU_DEP_3)
	v_lshlrev_b64 v[21:22], 2, v[1:2]
	v_add_co_u32 v1, vcc_lo, v3, 8
	v_mul_lo_u32 v8, s18, v5
	v_add_co_ci_u32_e32 v5, vcc_lo, 0, v4, vcc_lo
	v_add_co_u32 v11, vcc_lo, v3, 12
	s_waitcnt lgkmcnt(0)
	s_lshl_b32 s15, s3, 3
	s_delay_alu instid0(VALU_DEP_2)
	v_mul_lo_u32 v10, s18, v5
	v_add_co_ci_u32_e32 v5, vcc_lo, 0, v4, vcc_lo
	v_add_co_u32 v13, vcc_lo, v3, 16
	v_add_co_ci_u32_e32 v6, vcc_lo, 0, v4, vcc_lo
	v_add_co_u32 v17, vcc_lo, v3, 20
	s_mul_i32 s3, s19, s15
	s_mul_hi_u32 s5, s18, s15
	v_mul_lo_u32 v14, s18, v5
	v_add_co_ci_u32_e32 v5, vcc_lo, 0, v4, vcc_lo
	s_add_i32 s7, s5, s3
	v_add_co_u32 v47, vcc_lo, v3, 24
	v_add_co_u32 v73, s3, v54, s12
	v_mul_lo_u32 v16, s18, v6
	v_add_co_ci_u32_e32 v6, vcc_lo, 0, v4, vcc_lo
	v_add_co_ci_u32_e64 v74, null, 0, 0, s3
	v_add_co_u32 v59, vcc_lo, v3, 28
	v_mul_lo_u32 v49, s18, v5
	s_delay_alu instid0(VALU_DEP_4) | instskip(SKIP_4) | instid1(VALU_DEP_4)
	v_mul_lo_u32 v51, s18, v6
	v_add_co_ci_u32_e32 v5, vcc_lo, 0, v4, vcc_lo
	v_mul_lo_u32 v6, s19, v73
	v_mul_lo_u32 v35, s18, v74
	v_mad_u64_u32 v[3:4], null, s18, v73, 0
	v_mul_lo_u32 v60, s18, v5
	v_mad_u64_u32 v[19:20], null, s18, v7, s[20:21]
	v_mul_lo_u32 v9, s19, v7
	v_mad_u64_u32 v[23:24], null, s18, v1, s[20:21]
	v_add3_u32 v4, v4, v35, v6
	v_mul_lo_u32 v12, s19, v1
	v_mad_u64_u32 v[35:36], null, s18, v7, s[22:23]
	v_mad_u64_u32 v[37:38], null, s18, v1, s[22:23]
	s_delay_alu instid0(VALU_DEP_4) | instskip(SKIP_3) | instid1(VALU_DEP_4)
	v_lshlrev_b64 v[5:6], 2, v[3:4]
	v_mad_u64_u32 v[25:26], null, s18, v11, s[20:21]
	v_mul_lo_u32 v15, s19, v11
	v_mad_u64_u32 v[39:40], null, s18, v11, s[22:23]
	v_add_co_u32 v57, vcc_lo, s20, v5
	v_add_co_ci_u32_e32 v58, vcc_lo, s21, v6, vcc_lo
	v_add_co_u32 v1, vcc_lo, v73, 7
	v_add_co_ci_u32_e32 v7, vcc_lo, 0, v74, vcc_lo
	v_mad_u64_u32 v[27:28], null, s18, v13, s[20:21]
	v_mul_lo_u32 v18, s19, v13
	v_mad_u64_u32 v[41:42], null, s18, v13, s[22:23]
	v_add_co_u32 v13, vcc_lo, v73, 6
	v_add3_u32 v20, v9, v20, v8
	v_add3_u32 v24, v12, v24, v10
	;; [unrolled: 1-line block ×4, first 2 shown]
	v_mul_lo_u32 v11, s19, v1
	v_mul_lo_u32 v12, s18, v7
	v_mad_u64_u32 v[7:8], null, s18, v1, 0
	v_add_co_ci_u32_e32 v9, vcc_lo, 0, v74, vcc_lo
	v_mad_u64_u32 v[31:32], null, s18, v47, s[20:21]
	v_mul_lo_u32 v56, s19, v47
	v_mad_u64_u32 v[33:34], null, s18, v59, s[20:21]
	v_mul_lo_u32 v61, s19, v59
	v_mad_u64_u32 v[45:46], null, s18, v47, s[22:23]
	v_mad_u64_u32 v[47:48], null, s18, v59, s[22:23]
	v_add3_u32 v26, v15, v26, v14
	v_add3_u32 v40, v15, v40, v14
	v_mul_lo_u32 v1, s19, v13
	v_mul_lo_u32 v14, s18, v9
	v_mad_u64_u32 v[9:10], null, s18, v13, 0
	v_add3_u32 v8, v8, v12, v11
	v_add_co_u32 v59, vcc_lo, s22, v5
	v_add3_u32 v34, v61, v34, v60
	v_add3_u32 v48, v61, v48, v60
	v_add_co_ci_u32_e32 v60, vcc_lo, s23, v6, vcc_lo
	v_lshlrev_b64 v[5:6], 2, v[7:8]
	v_add3_u32 v10, v10, v14, v1
	v_add_co_u32 v1, vcc_lo, v73, 5
	v_add_co_ci_u32_e32 v11, vcc_lo, 0, v74, vcc_lo
	s_delay_alu instid0(VALU_DEP_4) | instskip(NEXT) | instid1(VALU_DEP_4)
	v_add_co_u32 v61, vcc_lo, s20, v5
	v_lshlrev_b64 v[7:8], 2, v[9:10]
	v_add_co_ci_u32_e32 v62, vcc_lo, s21, v6, vcc_lo
	v_mul_lo_u32 v12, s19, v1
	v_mul_lo_u32 v11, s18, v11
	v_mad_u64_u32 v[9:10], null, s18, v1, 0
	v_add_co_u32 v63, vcc_lo, s22, v5
	v_add_co_ci_u32_e32 v64, vcc_lo, s23, v6, vcc_lo
	v_add_co_u32 v65, vcc_lo, s20, v7
	v_add_co_ci_u32_e32 v66, vcc_lo, s21, v8, vcc_lo
	v_add_co_u32 v1, vcc_lo, v73, 4
	v_add3_u32 v10, v10, v11, v12
	v_add_co_u32 v67, s3, s22, v7
	v_add_co_ci_u32_e32 v7, vcc_lo, 0, v74, vcc_lo
	v_add_co_u32 v12, vcc_lo, v73, 3
	s_delay_alu instid0(VALU_DEP_4)
	v_lshlrev_b64 v[5:6], 2, v[9:10]
	v_add_co_ci_u32_e32 v9, vcc_lo, 0, v74, vcc_lo
	v_add_co_ci_u32_e64 v68, s3, s23, v8, s3
	v_mul_lo_u32 v11, s19, v1
	v_mul_lo_u32 v13, s18, v7
	v_mad_u64_u32 v[7:8], null, s18, v1, 0
	v_mul_lo_u32 v1, s19, v12
	v_mul_lo_u32 v14, s18, v9
	v_mad_u64_u32 v[9:10], null, s18, v12, 0
	v_add_co_u32 v69, vcc_lo, s20, v5
	v_add_co_ci_u32_e32 v70, vcc_lo, s21, v6, vcc_lo
	v_add3_u32 v8, v8, v13, v11
	v_add_co_u32 v71, vcc_lo, s22, v5
	v_add_co_ci_u32_e32 v72, vcc_lo, s23, v6, vcc_lo
	v_add3_u32 v10, v10, v14, v1
	v_add_co_u32 v1, vcc_lo, v73, 2
	v_lshlrev_b64 v[5:6], 2, v[7:8]
	v_add_co_ci_u32_e32 v11, vcc_lo, 0, v74, vcc_lo
	s_delay_alu instid0(VALU_DEP_4) | instskip(NEXT) | instid1(VALU_DEP_4)
	v_lshlrev_b64 v[7:8], 2, v[9:10]
	v_mul_lo_u32 v12, s19, v1
	v_mad_u64_u32 v[9:10], null, s18, v1, 0
	v_add_co_u32 v73, vcc_lo, s20, v5
	v_mul_lo_u32 v11, s18, v11
	v_add_co_ci_u32_e32 v74, vcc_lo, s21, v6, vcc_lo
	v_add_co_u32 v75, vcc_lo, s22, v5
	v_add_co_ci_u32_e32 v76, vcc_lo, s23, v6, vcc_lo
	v_add_co_u32 v77, vcc_lo, s20, v7
	v_add_co_ci_u32_e32 v78, vcc_lo, s21, v8, vcc_lo
	v_add3_u32 v10, v10, v11, v12
	v_add_co_u32 v79, vcc_lo, s22, v7
	v_add_co_ci_u32_e32 v80, vcc_lo, s23, v8, vcc_lo
	v_add_co_u32 v3, vcc_lo, v3, s18
	s_delay_alu instid0(VALU_DEP_4) | instskip(SKIP_3) | instid1(VALU_DEP_4)
	v_lshlrev_b64 v[5:6], 2, v[9:10]
	v_add_co_ci_u32_e32 v4, vcc_lo, s19, v4, vcc_lo
	v_mad_u64_u32 v[29:30], null, s18, v17, s[20:21]
	v_mul_lo_u32 v50, s19, v17
	v_add_co_u32 v81, vcc_lo, s20, v5
	s_delay_alu instid0(VALU_DEP_4)
	v_lshlrev_b64 v[3:4], 2, v[3:4]
	v_add_co_ci_u32_e32 v82, vcc_lo, s21, v6, vcc_lo
	v_mad_u64_u32 v[43:44], null, s18, v17, s[22:23]
	v_add_co_u32 v83, vcc_lo, s22, v5
	v_add_co_ci_u32_e32 v84, vcc_lo, s23, v6, vcc_lo
	v_add_co_u32 v85, vcc_lo, s20, v3
	v_add_co_ci_u32_e32 v86, vcc_lo, s21, v4, vcc_lo
	v_add_co_u32 v87, vcc_lo, s22, v3
	v_add3_u32 v28, v18, v28, v16
	v_add3_u32 v30, v50, v30, v49
	;; [unrolled: 1-line block ×6, first 2 shown]
	v_add_co_ci_u32_e32 v88, vcc_lo, s23, v4, vcc_lo
	v_dual_mov_b32 v56, 0 :: v_dual_mov_b32 v51, 0
	s_mul_i32 s6, s18, s15
	s_mov_b64 s[22:23], 7
	s_lshl_b64 s[20:21], s[6:7], 2
	s_branch .LBB53_56
.LBB53_53:                              ;   in Loop: Header=BB53_56 Depth=1
	s_or_b32 exec_lo, exec_lo, s5
.LBB53_54:                              ;   in Loop: Header=BB53_56 Depth=1
	s_delay_alu instid0(SALU_CYCLE_1)
	s_or_b32 exec_lo, exec_lo, s3
	v_add_co_u32 v3, vcc_lo, v57, v21
	v_add_co_ci_u32_e32 v4, vcc_lo, v58, v22, vcc_lo
	s_waitcnt vmcnt(1)
	ds_bpermute_b32 v89, v2, v1
	global_load_b32 v6, v[3:4], off
	v_add_co_u32 v3, vcc_lo, v59, v21
	v_add_co_ci_u32_e32 v4, vcc_lo, v60, v22, vcc_lo
	global_load_b32 v7, v[3:4], off
	v_add_co_u32 v3, vcc_lo, v19, v21
	v_add_co_ci_u32_e32 v4, vcc_lo, v20, v22, vcc_lo
	;; [unrolled: 3-line block ×15, first 2 shown]
	global_load_b32 v4, v[3:4], off
	s_waitcnt vmcnt(16)
	ds_bpermute_b32 v3, v2, v5
	s_waitcnt vmcnt(14) lgkmcnt(1)
	v_sub_f32_e32 v7, v7, v89
	s_delay_alu instid0(VALU_DEP_1) | instskip(SKIP_1) | instid1(VALU_DEP_1)
	v_mul_f32_e32 v7, v6, v7
	s_waitcnt lgkmcnt(0)
	v_fmac_f32_e32 v56, v7, v3
	ds_bpermute_b32 v7, v2, v1 offset:4
	v_add_f32_e32 v3, v51, v6
	ds_bpermute_b32 v6, v2, v5 offset:4
	s_waitcnt vmcnt(13)
	v_add_f32_e32 v3, v3, v8
	s_waitcnt vmcnt(11)
	s_delay_alu instid0(VALU_DEP_1) | instskip(SKIP_2) | instid1(VALU_DEP_1)
	v_add_f32_e32 v3, v3, v11
	s_waitcnt lgkmcnt(1)
	v_sub_f32_e32 v7, v9, v7
	v_mul_f32_e32 v7, v8, v7
	s_waitcnt vmcnt(9)
	v_add_f32_e32 v3, v3, v13
	s_waitcnt lgkmcnt(0)
	s_delay_alu instid0(VALU_DEP_2)
	v_fmac_f32_e32 v56, v7, v6
	ds_bpermute_b32 v7, v2, v1 offset:8
	ds_bpermute_b32 v6, v2, v5 offset:8
	s_waitcnt vmcnt(7)
	v_add_f32_e32 v3, v3, v15
	s_waitcnt lgkmcnt(1)
	v_sub_f32_e32 v7, v12, v7
	s_delay_alu instid0(VALU_DEP_1) | instskip(SKIP_3) | instid1(VALU_DEP_2)
	v_mul_f32_e32 v7, v11, v7
	s_waitcnt vmcnt(5)
	v_add_f32_e32 v3, v3, v17
	s_waitcnt lgkmcnt(0)
	v_fmac_f32_e32 v56, v7, v6
	ds_bpermute_b32 v7, v2, v1 offset:12
	ds_bpermute_b32 v6, v2, v5 offset:12
	s_waitcnt vmcnt(3)
	v_add_f32_e32 v3, v3, v49
	s_waitcnt lgkmcnt(1)
	v_sub_f32_e32 v7, v14, v7
	s_delay_alu instid0(VALU_DEP_1) | instskip(SKIP_1) | instid1(VALU_DEP_1)
	v_mul_f32_e32 v7, v13, v7
	s_waitcnt lgkmcnt(0)
	v_fmac_f32_e32 v56, v7, v6
	ds_bpermute_b32 v7, v2, v1 offset:16
	ds_bpermute_b32 v6, v2, v5 offset:16
	s_waitcnt lgkmcnt(1)
	v_sub_f32_e32 v7, v16, v7
	s_delay_alu instid0(VALU_DEP_1) | instskip(SKIP_1) | instid1(VALU_DEP_1)
	v_mul_f32_e32 v7, v15, v7
	s_waitcnt lgkmcnt(0)
	v_fmac_f32_e32 v56, v7, v6
	ds_bpermute_b32 v7, v2, v1 offset:20
	ds_bpermute_b32 v6, v2, v5 offset:20
	;; [unrolled: 8-line block ×3, first 2 shown]
	ds_bpermute_b32 v6, v2, v5 offset:24
	ds_bpermute_b32 v5, v2, v5 offset:28
	s_waitcnt vmcnt(2) lgkmcnt(3)
	v_sub_f32_e32 v7, v50, v7
	s_waitcnt vmcnt(0) lgkmcnt(2)
	v_sub_f32_e32 v1, v4, v1
	s_delay_alu instid0(VALU_DEP_2) | instskip(SKIP_1) | instid1(VALU_DEP_1)
	v_mul_f32_e32 v7, v49, v7
	s_waitcnt lgkmcnt(1)
	v_dual_mul_f32 v1, v10, v1 :: v_dual_fmac_f32 v56, v7, v6
	s_waitcnt lgkmcnt(0)
	s_delay_alu instid0(VALU_DEP_1)
	v_dual_mul_f32 v4, v1, v5 :: v_dual_mov_b32 v1, v56
.LBB53_55:                              ;   in Loop: Header=BB53_56 Depth=1
	v_add_co_u32 v54, vcc_lo, v54, s15
	v_add_co_ci_u32_e32 v55, vcc_lo, 0, v55, vcc_lo
	v_add_co_u32 v19, vcc_lo, v19, s20
	v_add_co_ci_u32_e32 v20, vcc_lo, s21, v20, vcc_lo
	;; [unrolled: 2-line block ×28, first 2 shown]
	v_add_co_u32 v83, vcc_lo, v83, s20
	s_add_u32 s26, s26, s15
	v_add_co_ci_u32_e32 v84, vcc_lo, s21, v84, vcc_lo
	s_addc_u32 s27, s27, 0
	v_add_co_u32 v85, vcc_lo, v85, s20
	v_add_co_ci_u32_e32 v86, vcc_lo, s21, v86, vcc_lo
	v_cmp_ge_i64_e64 s3, s[26:27], s[16:17]
	v_add_co_u32 v87, vcc_lo, v87, s20
	v_dual_add_f32 v56, v1, v4 :: v_dual_add_f32 v51, v3, v10
	v_add_co_ci_u32_e32 v88, vcc_lo, s21, v88, vcc_lo
	s_add_u32 s22, s22, s15
	s_addc_u32 s23, s23, 0
	s_and_b32 vcc_lo, exec_lo, s3
	s_cbranch_vccnz .LBB53_82
.LBB53_56:                              ; =>This Inner Loop Header: Depth=1
	s_add_u32 s6, s12, s22
	s_addc_u32 s7, 0, s23
	v_add_co_u32 v49, vcc_lo, s12, v54
	v_cmp_ge_i64_e64 s3, s[6:7], s[16:17]
	v_add_co_ci_u32_e32 v50, vcc_lo, 0, v55, vcc_lo
	s_delay_alu instid0(VALU_DEP_2)
	s_and_b32 vcc_lo, exec_lo, s3
	s_cbranch_vccz .LBB53_78
; %bb.57:                               ;   in Loop: Header=BB53_56 Depth=1
	s_load_b32 s3, s[24:25], 0xc
	v_dual_mov_b32 v89, 0 :: v_dual_mov_b32 v90, 0
	s_waitcnt lgkmcnt(0)
	s_and_b32 s3, s3, 0xffff
	s_delay_alu instid0(SALU_CYCLE_1) | instskip(SKIP_1) | instid1(VALU_DEP_1)
	v_mad_u32_u24 v1, v52, s3, v53
	s_mov_b32 s3, exec_lo
	v_and_b32_e32 v1, 31, v1
	s_delay_alu instid0(VALU_DEP_1)
	v_cmpx_gt_u32_e32 8, v1
	s_cbranch_execz .LBB53_61
; %bb.58:                               ;   in Loop: Header=BB53_56 Depth=1
	v_add_co_u32 v3, vcc_lo, v49, v1
	v_add_co_ci_u32_e32 v4, vcc_lo, 0, v50, vcc_lo
	v_dual_mov_b32 v90, 0 :: v_dual_mov_b32 v89, 0
	s_mov_b32 s5, exec_lo
	s_delay_alu instid0(VALU_DEP_2)
	v_cmpx_gt_i64_e64 s[16:17], v[3:4]
	s_cbranch_execz .LBB53_60
; %bb.59:                               ;   in Loop: Header=BB53_56 Depth=1
	v_lshlrev_b64 v[3:4], 2, v[3:4]
	s_delay_alu instid0(VALU_DEP_1) | instskip(NEXT) | instid1(VALU_DEP_2)
	v_add_co_u32 v5, vcc_lo, s36, v3
	v_add_co_ci_u32_e32 v6, vcc_lo, s37, v4, vcc_lo
	v_add_co_u32 v3, vcc_lo, s38, v3
	v_add_co_ci_u32_e32 v4, vcc_lo, s39, v4, vcc_lo
	global_load_b32 v90, v[5:6], off
	global_load_b32 v89, v[3:4], off
.LBB53_60:                              ;   in Loop: Header=BB53_56 Depth=1
	s_or_b32 exec_lo, exec_lo, s5
.LBB53_61:                              ;   in Loop: Header=BB53_56 Depth=1
	s_delay_alu instid0(SALU_CYCLE_1)
	s_or_b32 exec_lo, exec_lo, s3
	s_mov_b32 s11, s4
	s_mov_b32 s5, s4
	;; [unrolled: 1-line block ×7, first 2 shown]
	s_delay_alu instid0(SALU_CYCLE_1) | instskip(SKIP_3) | instid1(VALU_DEP_3)
	v_dual_mov_b32 v18, s11 :: v_dual_mov_b32 v17, s10
	v_dual_mov_b32 v12, s5 :: v_dual_mov_b32 v11, s4
	;; [unrolled: 1-line block ×5, first 2 shown]
	s_delay_alu instid0(VALU_DEP_3) | instskip(NEXT) | instid1(VALU_DEP_3)
	v_dual_mov_b32 v7, v15 :: v_dual_mov_b32 v8, v16
	v_dual_mov_b32 v5, v13 :: v_dual_mov_b32 v6, v14
	;; [unrolled: 1-line block ×3, first 2 shown]
	s_mov_b32 s3, exec_lo
	v_cmpx_gt_i64_e64 s[16:17], v[49:50]
	s_cbranch_execz .LBB53_63
; %bb.62:                               ;   in Loop: Header=BB53_56 Depth=1
	v_add_co_u32 v3, vcc_lo, v57, v21
	v_add_co_ci_u32_e32 v4, vcc_lo, v58, v22, vcc_lo
	v_mov_b32_e32 v8, v2
	v_mov_b32_e32 v5, v2
	;; [unrolled: 1-line block ×3, first 2 shown]
	global_load_b32 v1, v[3:4], off
	v_add_co_u32 v3, vcc_lo, v59, v21
	v_add_co_ci_u32_e32 v4, vcc_lo, v60, v22, vcc_lo
	v_mov_b32_e32 v7, v2
	v_mov_b32_e32 v17, v2
	global_load_b32 v11, v[3:4], off
	v_mov_b32_e32 v3, v2
	v_mov_b32_e32 v4, v2
	s_waitcnt vmcnt(1)
	v_dual_mov_b32 v13, v2 :: v_dual_mov_b32 v10, v8
	v_dual_mov_b32 v12, v2 :: v_dual_mov_b32 v9, v7
	v_mov_b32_e32 v8, v6
	v_dual_mov_b32 v14, v2 :: v_dual_mov_b32 v7, v5
	v_dual_mov_b32 v15, v2 :: v_dual_mov_b32 v6, v4
	;; [unrolled: 1-line block ×3, first 2 shown]
	v_mov_b32_e32 v4, v2
	v_dual_mov_b32 v18, v2 :: v_dual_mov_b32 v3, v1
.LBB53_63:                              ;   in Loop: Header=BB53_56 Depth=1
	s_or_b32 exec_lo, exec_lo, s3
	v_add_co_u32 v91, vcc_lo, v49, 1
	v_add_co_ci_u32_e32 v92, vcc_lo, 0, v50, vcc_lo
	s_mov_b32 s3, exec_lo
	s_delay_alu instid0(VALU_DEP_1)
	v_cmpx_gt_i64_e64 s[16:17], v[91:92]
	s_cbranch_execz .LBB53_65
; %bb.64:                               ;   in Loop: Header=BB53_56 Depth=1
	v_add_co_u32 v91, vcc_lo, v85, v21
	v_add_co_ci_u32_e32 v92, vcc_lo, v86, v22, vcc_lo
	v_add_co_u32 v93, vcc_lo, v87, v21
	v_add_co_ci_u32_e32 v94, vcc_lo, v88, v22, vcc_lo
	global_load_b32 v4, v[91:92], off
	global_load_b32 v12, v[93:94], off
.LBB53_65:                              ;   in Loop: Header=BB53_56 Depth=1
	s_or_b32 exec_lo, exec_lo, s3
	v_add_co_u32 v91, vcc_lo, v49, 2
	v_add_co_ci_u32_e32 v92, vcc_lo, 0, v50, vcc_lo
	s_mov_b32 s3, exec_lo
	s_delay_alu instid0(VALU_DEP_1)
	v_cmpx_gt_i64_e64 s[16:17], v[91:92]
	s_cbranch_execz .LBB53_67
; %bb.66:                               ;   in Loop: Header=BB53_56 Depth=1
	v_add_co_u32 v91, vcc_lo, v81, v21
	v_add_co_ci_u32_e32 v92, vcc_lo, v82, v22, vcc_lo
	v_add_co_u32 v93, vcc_lo, v83, v21
	v_add_co_ci_u32_e32 v94, vcc_lo, v84, v22, vcc_lo
	global_load_b32 v5, v[91:92], off
	global_load_b32 v13, v[93:94], off
.LBB53_67:                              ;   in Loop: Header=BB53_56 Depth=1
	s_or_b32 exec_lo, exec_lo, s3
	v_add_co_u32 v91, vcc_lo, v49, 3
	v_add_co_ci_u32_e32 v92, vcc_lo, 0, v50, vcc_lo
	s_mov_b32 s3, exec_lo
	s_delay_alu instid0(VALU_DEP_1)
	v_cmpx_gt_i64_e64 s[16:17], v[91:92]
	s_cbranch_execz .LBB53_69
; %bb.68:                               ;   in Loop: Header=BB53_56 Depth=1
	v_add_co_u32 v91, vcc_lo, v77, v21
	v_add_co_ci_u32_e32 v92, vcc_lo, v78, v22, vcc_lo
	v_add_co_u32 v93, vcc_lo, v79, v21
	v_add_co_ci_u32_e32 v94, vcc_lo, v80, v22, vcc_lo
	global_load_b32 v6, v[91:92], off
	global_load_b32 v14, v[93:94], off
.LBB53_69:                              ;   in Loop: Header=BB53_56 Depth=1
	s_or_b32 exec_lo, exec_lo, s3
	v_add_co_u32 v91, vcc_lo, v49, 4
	v_add_co_ci_u32_e32 v92, vcc_lo, 0, v50, vcc_lo
	s_mov_b32 s3, exec_lo
	s_delay_alu instid0(VALU_DEP_1)
	v_cmpx_gt_i64_e64 s[16:17], v[91:92]
	s_cbranch_execz .LBB53_71
; %bb.70:                               ;   in Loop: Header=BB53_56 Depth=1
	v_add_co_u32 v91, vcc_lo, v73, v21
	v_add_co_ci_u32_e32 v92, vcc_lo, v74, v22, vcc_lo
	v_add_co_u32 v93, vcc_lo, v75, v21
	v_add_co_ci_u32_e32 v94, vcc_lo, v76, v22, vcc_lo
	global_load_b32 v7, v[91:92], off
	global_load_b32 v15, v[93:94], off
.LBB53_71:                              ;   in Loop: Header=BB53_56 Depth=1
	s_or_b32 exec_lo, exec_lo, s3
	v_add_co_u32 v91, vcc_lo, v49, 5
	v_add_co_ci_u32_e32 v92, vcc_lo, 0, v50, vcc_lo
	s_mov_b32 s3, exec_lo
	s_delay_alu instid0(VALU_DEP_1)
	v_cmpx_gt_i64_e64 s[16:17], v[91:92]
	s_cbranch_execz .LBB53_73
; %bb.72:                               ;   in Loop: Header=BB53_56 Depth=1
	v_add_co_u32 v91, vcc_lo, v69, v21
	v_add_co_ci_u32_e32 v92, vcc_lo, v70, v22, vcc_lo
	v_add_co_u32 v93, vcc_lo, v71, v21
	v_add_co_ci_u32_e32 v94, vcc_lo, v72, v22, vcc_lo
	global_load_b32 v8, v[91:92], off
	global_load_b32 v16, v[93:94], off
.LBB53_73:                              ;   in Loop: Header=BB53_56 Depth=1
	s_or_b32 exec_lo, exec_lo, s3
	v_add_co_u32 v91, vcc_lo, v49, 6
	v_add_co_ci_u32_e32 v92, vcc_lo, 0, v50, vcc_lo
	s_mov_b32 s3, exec_lo
	s_delay_alu instid0(VALU_DEP_1)
	v_cmpx_gt_i64_e64 s[16:17], v[91:92]
	s_cbranch_execz .LBB53_75
; %bb.74:                               ;   in Loop: Header=BB53_56 Depth=1
	v_add_co_u32 v91, vcc_lo, v65, v21
	v_add_co_ci_u32_e32 v92, vcc_lo, v66, v22, vcc_lo
	v_add_co_u32 v93, vcc_lo, v67, v21
	v_add_co_ci_u32_e32 v94, vcc_lo, v68, v22, vcc_lo
	global_load_b32 v9, v[91:92], off
	global_load_b32 v17, v[93:94], off
.LBB53_75:                              ;   in Loop: Header=BB53_56 Depth=1
	s_or_b32 exec_lo, exec_lo, s3
	v_add_co_u32 v91, vcc_lo, v49, 7
	v_add_co_ci_u32_e32 v92, vcc_lo, 0, v50, vcc_lo
	s_mov_b32 s3, exec_lo
	s_delay_alu instid0(VALU_DEP_1)
	v_cmpx_gt_i64_e64 s[16:17], v[91:92]
	s_cbranch_execz .LBB53_77
; %bb.76:                               ;   in Loop: Header=BB53_56 Depth=1
	v_add_co_u32 v91, vcc_lo, v61, v21
	v_add_co_ci_u32_e32 v92, vcc_lo, v62, v22, vcc_lo
	v_add_co_u32 v93, vcc_lo, v63, v21
	v_add_co_ci_u32_e32 v94, vcc_lo, v64, v22, vcc_lo
	global_load_b32 v10, v[91:92], off
	global_load_b32 v18, v[93:94], off
.LBB53_77:                              ;   in Loop: Header=BB53_56 Depth=1
	s_or_b32 exec_lo, exec_lo, s3
	s_waitcnt vmcnt(1)
	ds_bpermute_b32 v1, v2, v90
	ds_bpermute_b32 v91, v2, v90 offset:4
	ds_bpermute_b32 v92, v2, v90 offset:8
	s_waitcnt vmcnt(0)
	ds_bpermute_b32 v93, v2, v89
	ds_bpermute_b32 v94, v2, v90 offset:12
	ds_bpermute_b32 v95, v2, v89 offset:4
	;; [unrolled: 1-line block ×5, first 2 shown]
	v_add_f32_e32 v96, v51, v3
	ds_bpermute_b32 v99, v2, v89 offset:16
	s_waitcnt lgkmcnt(8)
	v_dual_sub_f32 v1, v11, v1 :: v_dual_sub_f32 v12, v12, v91
	ds_bpermute_b32 v11, v2, v89 offset:12
	ds_bpermute_b32 v91, v2, v90 offset:24
	s_waitcnt lgkmcnt(9)
	v_sub_f32_e32 v13, v13, v92
	v_dual_mul_f32 v1, v3, v1 :: v_dual_mul_f32 v12, v4, v12
	ds_bpermute_b32 v90, v2, v90 offset:28
	ds_bpermute_b32 v3, v2, v89 offset:20
	v_dual_add_f32 v4, v4, v96 :: v_dual_mul_f32 v13, v5, v13
	s_waitcnt lgkmcnt(10)
	v_fma_f32 v1, v1, v93, v56
	s_waitcnt lgkmcnt(9)
	v_sub_f32_e32 v14, v14, v94
	s_waitcnt lgkmcnt(7)
	v_dual_add_f32 v4, v5, v4 :: v_dual_sub_f32 v5, v15, v97
	v_fmac_f32_e32 v1, v12, v95
	ds_bpermute_b32 v12, v2, v89 offset:24
	v_mul_f32_e32 v14, v6, v14
	v_dual_add_f32 v4, v6, v4 :: v_dual_mul_f32 v5, v7, v5
	s_waitcnt lgkmcnt(7)
	v_fmac_f32_e32 v1, v13, v98
	ds_bpermute_b32 v13, v2, v89 offset:28
	s_waitcnt lgkmcnt(7)
	v_sub_f32_e32 v6, v16, v100
	s_waitcnt lgkmcnt(4)
	v_dual_add_f32 v4, v7, v4 :: v_dual_sub_f32 v7, v17, v91
	s_delay_alu instid0(VALU_DEP_2) | instskip(NEXT) | instid1(VALU_DEP_2)
	v_dual_fmac_f32 v1, v14, v11 :: v_dual_mul_f32 v6, v8, v6
	v_dual_add_f32 v4, v8, v4 :: v_dual_mul_f32 v7, v9, v7
	s_delay_alu instid0(VALU_DEP_2) | instskip(SKIP_2) | instid1(VALU_DEP_1)
	v_fmac_f32_e32 v1, v5, v99
	s_waitcnt lgkmcnt(3)
	v_sub_f32_e32 v5, v18, v90
	v_mul_f32_e32 v5, v10, v5
	s_waitcnt lgkmcnt(2)
	v_fmac_f32_e32 v1, v6, v3
	v_add_f32_e32 v3, v9, v4
	s_waitcnt lgkmcnt(0)
	s_delay_alu instid0(VALU_DEP_2)
	v_dual_mul_f32 v4, v5, v13 :: v_dual_fmac_f32 v1, v7, v12
	s_branch .LBB53_55
.LBB53_78:                              ;   in Loop: Header=BB53_56 Depth=1
                                        ; implicit-def: $vgpr10
                                        ; implicit-def: $vgpr4
                                        ; implicit-def: $vgpr3
                                        ; implicit-def: $vgpr1
	s_cbranch_execz .LBB53_55
; %bb.79:                               ;   in Loop: Header=BB53_56 Depth=1
	s_load_b32 s3, s[24:25], 0x0
	v_mov_b32_e32 v5, 0
	s_waitcnt lgkmcnt(0)
	s_cmp_lt_u32 s14, s3
	s_cselect_b32 s3, 12, 18
	s_delay_alu instid0(SALU_CYCLE_1)
	s_add_u32 s6, s24, s3
	s_addc_u32 s7, s25, 0
	s_mov_b32 s3, exec_lo
	global_load_u16 v1, v2, s[6:7]
	s_waitcnt vmcnt(0)
	v_mad_u32_u24 v1, v52, v1, v53
	s_delay_alu instid0(VALU_DEP_1) | instskip(SKIP_1) | instid1(VALU_DEP_2)
	v_and_b32_e32 v3, 31, v1
	v_mov_b32_e32 v1, 0
	v_cmpx_gt_u32_e32 8, v3
	s_cbranch_execz .LBB53_54
; %bb.80:                               ;   in Loop: Header=BB53_56 Depth=1
	v_add_co_u32 v3, vcc_lo, v49, v3
	v_add_co_ci_u32_e32 v4, vcc_lo, 0, v50, vcc_lo
	v_mov_b32_e32 v1, 0
	v_mov_b32_e32 v5, 0
	s_mov_b32 s5, exec_lo
	s_delay_alu instid0(VALU_DEP_3)
	v_cmpx_gt_i64_e64 s[16:17], v[3:4]
	s_cbranch_execz .LBB53_53
; %bb.81:                               ;   in Loop: Header=BB53_56 Depth=1
	v_lshlrev_b64 v[3:4], 2, v[3:4]
	s_delay_alu instid0(VALU_DEP_1) | instskip(NEXT) | instid1(VALU_DEP_2)
	v_add_co_u32 v5, vcc_lo, s36, v3
	v_add_co_ci_u32_e32 v6, vcc_lo, s37, v4, vcc_lo
	v_add_co_u32 v3, vcc_lo, s38, v3
	v_add_co_ci_u32_e32 v4, vcc_lo, s39, v4, vcc_lo
	global_load_b32 v1, v[5:6], off
	global_load_b32 v5, v[3:4], off
	s_branch .LBB53_53
.LBB53_82:
	v_and_b32_e32 v1, 0x3ff, v0
	s_mov_b32 s15, 0
	s_mov_b32 s3, exec_lo
	s_lshl_b64 s[4:5], s[14:15], 6
	s_delay_alu instid0(SALU_CYCLE_1) | instskip(SKIP_1) | instid1(VALU_DEP_1)
	v_mov_b32_e32 v5, s5
	v_or_b32_e32 v4, s4, v1
	v_cmpx_gt_i64_e64 s[18:19], v[4:5]
	s_cbranch_execz .LBB53_87
; %bb.83:
	s_clause 0x1
	s_load_b32 s3, s[0:1], 0x4c
	s_load_b128 s[4:7], s[0:1], 0x30
	v_bfe_u32 v0, v0, 10, 10
	v_mov_b32_e32 v1, 0
	s_waitcnt lgkmcnt(0)
	s_lshr_b32 s0, s3, 16
	s_cmp_eq_u64 s[4:5], 0
	s_delay_alu instid0(VALU_DEP_1) | instskip(SKIP_1) | instid1(VALU_DEP_2)
	v_mad_u64_u32 v[2:3], null, s0, s2, v[0:1]
	v_lshlrev_b64 v[0:1], 2, v[4:5]
	v_mul_lo_u32 v3, v3, s18
	s_delay_alu instid0(VALU_DEP_3)
	v_mul_lo_u32 v6, v2, s19
	s_cbranch_scc1 .LBB53_85
; %bb.84:
	v_mad_u64_u32 v[4:5], null, v2, s18, 0
	s_delay_alu instid0(VALU_DEP_1) | instskip(NEXT) | instid1(VALU_DEP_1)
	v_add3_u32 v5, v5, v6, v3
	v_lshlrev_b64 v[4:5], 2, v[4:5]
	s_delay_alu instid0(VALU_DEP_1) | instskip(NEXT) | instid1(VALU_DEP_2)
	v_add_co_u32 v4, vcc_lo, s4, v4
	v_add_co_ci_u32_e32 v5, vcc_lo, s5, v5, vcc_lo
	s_delay_alu instid0(VALU_DEP_2) | instskip(NEXT) | instid1(VALU_DEP_2)
	v_add_co_u32 v4, vcc_lo, v4, v0
	v_add_co_ci_u32_e32 v5, vcc_lo, v5, v1, vcc_lo
	global_store_b32 v[4:5], v56, off
.LBB53_85:
	s_cmp_eq_u64 s[6:7], 0
	s_cbranch_scc1 .LBB53_87
; %bb.86:
	v_mad_u64_u32 v[4:5], null, v2, s18, 0
	s_delay_alu instid0(VALU_DEP_1) | instskip(NEXT) | instid1(VALU_DEP_1)
	v_add3_u32 v5, v5, v6, v3
	v_lshlrev_b64 v[2:3], 2, v[4:5]
	s_delay_alu instid0(VALU_DEP_1) | instskip(NEXT) | instid1(VALU_DEP_2)
	v_add_co_u32 v2, vcc_lo, s6, v2
	v_add_co_ci_u32_e32 v3, vcc_lo, s7, v3, vcc_lo
	s_delay_alu instid0(VALU_DEP_2) | instskip(NEXT) | instid1(VALU_DEP_2)
	v_add_co_u32 v0, vcc_lo, v2, v0
	v_add_co_ci_u32_e32 v1, vcc_lo, v3, v1, vcc_lo
	global_store_b32 v[0:1], v51, off
.LBB53_87:
	s_nop 0
	s_sendmsg sendmsg(MSG_DEALLOC_VGPRS)
	s_endpgm
	.section	.rodata,"a",@progbits
	.p2align	6, 0x0
	.amdhsa_kernel _ZN2at6native12_GLOBAL__N_135GammaBetaBackwardCUDAKernelTemplateIffLj64ELj1ELj8ELb1ELb0ELb0EEEvllPKT_S5_PKT0_S8_PS3_S9_
		.amdhsa_group_segment_fixed_size 0
		.amdhsa_private_segment_fixed_size 0
		.amdhsa_kernarg_size 320
		.amdhsa_user_sgpr_count 14
		.amdhsa_user_sgpr_dispatch_ptr 0
		.amdhsa_user_sgpr_queue_ptr 0
		.amdhsa_user_sgpr_kernarg_segment_ptr 1
		.amdhsa_user_sgpr_dispatch_id 0
		.amdhsa_user_sgpr_private_segment_size 0
		.amdhsa_wavefront_size32 1
		.amdhsa_uses_dynamic_stack 0
		.amdhsa_enable_private_segment 0
		.amdhsa_system_sgpr_workgroup_id_x 1
		.amdhsa_system_sgpr_workgroup_id_y 1
		.amdhsa_system_sgpr_workgroup_id_z 0
		.amdhsa_system_sgpr_workgroup_info 0
		.amdhsa_system_vgpr_workitem_id 1
		.amdhsa_next_free_vgpr 101
		.amdhsa_next_free_sgpr 41
		.amdhsa_reserve_vcc 1
		.amdhsa_float_round_mode_32 0
		.amdhsa_float_round_mode_16_64 0
		.amdhsa_float_denorm_mode_32 3
		.amdhsa_float_denorm_mode_16_64 3
		.amdhsa_dx10_clamp 1
		.amdhsa_ieee_mode 1
		.amdhsa_fp16_overflow 0
		.amdhsa_workgroup_processor_mode 1
		.amdhsa_memory_ordered 1
		.amdhsa_forward_progress 0
		.amdhsa_shared_vgpr_count 0
		.amdhsa_exception_fp_ieee_invalid_op 0
		.amdhsa_exception_fp_denorm_src 0
		.amdhsa_exception_fp_ieee_div_zero 0
		.amdhsa_exception_fp_ieee_overflow 0
		.amdhsa_exception_fp_ieee_underflow 0
		.amdhsa_exception_fp_ieee_inexact 0
		.amdhsa_exception_int_div_zero 0
	.end_amdhsa_kernel
	.section	.text._ZN2at6native12_GLOBAL__N_135GammaBetaBackwardCUDAKernelTemplateIffLj64ELj1ELj8ELb1ELb0ELb0EEEvllPKT_S5_PKT0_S8_PS3_S9_,"axG",@progbits,_ZN2at6native12_GLOBAL__N_135GammaBetaBackwardCUDAKernelTemplateIffLj64ELj1ELj8ELb1ELb0ELb0EEEvllPKT_S5_PKT0_S8_PS3_S9_,comdat
.Lfunc_end53:
	.size	_ZN2at6native12_GLOBAL__N_135GammaBetaBackwardCUDAKernelTemplateIffLj64ELj1ELj8ELb1ELb0ELb0EEEvllPKT_S5_PKT0_S8_PS3_S9_, .Lfunc_end53-_ZN2at6native12_GLOBAL__N_135GammaBetaBackwardCUDAKernelTemplateIffLj64ELj1ELj8ELb1ELb0ELb0EEEvllPKT_S5_PKT0_S8_PS3_S9_
                                        ; -- End function
	.section	.AMDGPU.csdata,"",@progbits
; Kernel info:
; codeLenInByte = 7740
; NumSgprs: 43
; NumVgprs: 101
; ScratchSize: 0
; MemoryBound: 0
; FloatMode: 240
; IeeeMode: 1
; LDSByteSize: 0 bytes/workgroup (compile time only)
; SGPRBlocks: 5
; VGPRBlocks: 12
; NumSGPRsForWavesPerEU: 43
; NumVGPRsForWavesPerEU: 101
; Occupancy: 12
; WaveLimiterHint : 0
; COMPUTE_PGM_RSRC2:SCRATCH_EN: 0
; COMPUTE_PGM_RSRC2:USER_SGPR: 14
; COMPUTE_PGM_RSRC2:TRAP_HANDLER: 0
; COMPUTE_PGM_RSRC2:TGID_X_EN: 1
; COMPUTE_PGM_RSRC2:TGID_Y_EN: 1
; COMPUTE_PGM_RSRC2:TGID_Z_EN: 0
; COMPUTE_PGM_RSRC2:TIDIG_COMP_CNT: 1
	.section	.text._ZN2at6native12_GLOBAL__N_135GammaBetaBackwardCUDAKernelTemplateIffLj64ELj8ELj64ELb0ELb1ELb0EEEvllPKT_S5_PKT0_S8_PS3_S9_,"axG",@progbits,_ZN2at6native12_GLOBAL__N_135GammaBetaBackwardCUDAKernelTemplateIffLj64ELj8ELj64ELb0ELb1ELb0EEEvllPKT_S5_PKT0_S8_PS3_S9_,comdat
	.globl	_ZN2at6native12_GLOBAL__N_135GammaBetaBackwardCUDAKernelTemplateIffLj64ELj8ELj64ELb0ELb1ELb0EEEvllPKT_S5_PKT0_S8_PS3_S9_ ; -- Begin function _ZN2at6native12_GLOBAL__N_135GammaBetaBackwardCUDAKernelTemplateIffLj64ELj8ELj64ELb0ELb1ELb0EEEvllPKT_S5_PKT0_S8_PS3_S9_
	.p2align	8
	.type	_ZN2at6native12_GLOBAL__N_135GammaBetaBackwardCUDAKernelTemplateIffLj64ELj8ELj64ELb0ELb1ELb0EEEvllPKT_S5_PKT0_S8_PS3_S9_,@function
_ZN2at6native12_GLOBAL__N_135GammaBetaBackwardCUDAKernelTemplateIffLj64ELj8ELj64ELb0ELb1ELb0EEEvllPKT_S5_PKT0_S8_PS3_S9_: ; @_ZN2at6native12_GLOBAL__N_135GammaBetaBackwardCUDAKernelTemplateIffLj64ELj8ELj64ELb0ELb1ELb0EEEvllPKT_S5_PKT0_S8_PS3_S9_
; %bb.0:
	s_load_b128 s[20:23], s[0:1], 0x0
	s_mov_b32 s3, 0
	s_lshl_b32 s2, s15, 6
	v_bfe_u32 v7, v0, 10, 10
	s_waitcnt lgkmcnt(0)
	v_cmp_lt_i64_e64 s4, s[2:3], s[20:21]
	s_delay_alu instid0(VALU_DEP_1)
	s_and_b32 vcc_lo, exec_lo, s4
	s_cbranch_vccnz .LBB54_2
; %bb.1:
	v_bfe_u32 v1, v0, 10, 10
	s_mov_b32 s5, 0
	s_mov_b32 s4, s3
	s_branch .LBB54_3
.LBB54_2:
	s_mov_b32 s4, -1
                                        ; implicit-def: $sgpr5
                                        ; implicit-def: $vgpr1
.LBB54_3:
	s_load_b128 s[16:19], s[0:1], 0x30
	v_dual_mov_b32 v17, s5 :: v_dual_and_b32 v6, 0x3ff, v0
	v_mov_b32_e32 v0, s5
	s_and_not1_b32 vcc_lo, exec_lo, s4
	s_cbranch_vccnz .LBB54_11
; %bb.4:
	s_clause 0x2
	s_load_b32 s12, s[0:1], 0x4c
	s_load_b32 s15, s[0:1], 0x44
	s_load_b256 s[4:11], s[0:1], 0x10
	v_dual_mov_b32 v1, 0 :: v_dual_lshlrev_b32 v0, 3, v7
	v_dual_mov_b32 v8, 8 :: v_dual_mov_b32 v9, 4
	v_dual_mov_b32 v10, 12 :: v_dual_mov_b32 v11, 16
	s_delay_alu instid0(VALU_DEP_3) | instskip(NEXT) | instid1(VALU_DEP_1)
	v_add_co_u32 v2, s0, v0, s2
	v_add_co_ci_u32_e64 v3, null, 0, 0, s0
	v_lshl_add_u32 v0, s14, 6, v6
	s_delay_alu instid0(VALU_DEP_3) | instskip(SKIP_1) | instid1(VALU_DEP_4)
	v_mul_lo_u32 v17, s23, v2
	v_mad_u64_u32 v[4:5], null, s22, v2, 0
	v_mul_lo_u32 v18, s22, v3
	v_dual_mov_b32 v12, 20 :: v_dual_mov_b32 v13, 24
	s_waitcnt lgkmcnt(0)
	s_and_b32 s0, s12, 0xffff
	s_lshl_b32 s12, s15, 6
	v_mad_u32_u24 v15, v7, s0, v6
	v_mov_b32_e32 v14, 28
	s_mul_i32 s1, s23, s12
	v_add3_u32 v5, v5, v18, v17
	s_mul_hi_u32 s15, s22, s12
	v_and_b32_e32 v19, 31, v15
	v_lshlrev_b64 v[15:16], 2, v[0:1]
	v_mov_b32_e32 v0, 0
	v_lshlrev_b64 v[17:18], 2, v[4:5]
	s_mov_b32 s13, 0
	v_add_co_u32 v2, vcc_lo, v2, v19
	v_add_co_ci_u32_e32 v3, vcc_lo, 0, v3, vcc_lo
	s_delay_alu instid0(VALU_DEP_3) | instskip(SKIP_1) | instid1(VALU_DEP_3)
	v_add_co_u32 v15, vcc_lo, v17, v15
	v_mov_b32_e32 v17, 0
	v_lshlrev_b64 v[4:5], 2, v[2:3]
	v_cmp_gt_u32_e64 s0, 8, v19
	v_add_co_ci_u32_e32 v16, vcc_lo, v18, v16, vcc_lo
	s_add_i32 s27, s15, s1
	s_mul_i32 s26, s22, s12
	s_lshl_b64 s[24:25], s[12:13], 2
	s_lshl_b64 s[26:27], s[26:27], 2
	;; [unrolled: 1-line block ×3, first 2 shown]
	s_branch .LBB54_7
.LBB54_5:                               ;   in Loop: Header=BB54_7 Depth=1
	s_or_b32 exec_lo, exec_lo, s13
.LBB54_6:                               ;   in Loop: Header=BB54_7 Depth=1
	s_delay_alu instid0(SALU_CYCLE_1)
	s_or_b32 exec_lo, exec_lo, s1
	v_add_co_u32 v20, vcc_lo, s4, v15
	v_add_co_ci_u32_e32 v21, vcc_lo, s5, v16, vcc_lo
	v_add_co_u32 v22, vcc_lo, s6, v15
	v_add_co_ci_u32_e32 v23, vcc_lo, s7, v16, vcc_lo
	global_load_b32 v30, v[20:21], off
	v_add_co_u32 v20, vcc_lo, v20, s22
	v_add_co_ci_u32_e32 v21, vcc_lo, s23, v21, vcc_lo
	v_add_co_u32 v24, vcc_lo, v22, s22
	v_add_co_ci_u32_e32 v25, vcc_lo, s23, v23, vcc_lo
	s_delay_alu instid0(VALU_DEP_4) | instskip(NEXT) | instid1(VALU_DEP_4)
	v_add_co_u32 v26, vcc_lo, v20, s22
	v_add_co_ci_u32_e32 v27, vcc_lo, s23, v21, vcc_lo
	s_delay_alu instid0(VALU_DEP_4) | instskip(NEXT) | instid1(VALU_DEP_4)
	v_add_co_u32 v28, vcc_lo, v24, s22
	v_add_co_ci_u32_e32 v29, vcc_lo, s23, v25, vcc_lo
	global_load_b32 v31, v[22:23], off
	global_load_b32 v32, v[20:21], off
	;; [unrolled: 1-line block ×5, first 2 shown]
	v_add_co_u32 v20, vcc_lo, v28, s22
	v_add_co_ci_u32_e32 v21, vcc_lo, s23, v29, vcc_lo
	v_add_co_u32 v22, vcc_lo, v26, s22
	v_add_co_ci_u32_e32 v23, vcc_lo, s23, v27, vcc_lo
	global_load_b32 v36, v[20:21], off
	v_add_co_u32 v24, vcc_lo, v22, s22
	v_add_co_ci_u32_e32 v25, vcc_lo, s23, v23, vcc_lo
	v_add_co_u32 v20, vcc_lo, v20, s22
	v_add_co_ci_u32_e32 v21, vcc_lo, s23, v21, vcc_lo
	s_delay_alu instid0(VALU_DEP_4) | instskip(NEXT) | instid1(VALU_DEP_4)
	v_add_co_u32 v26, vcc_lo, v24, s22
	v_add_co_ci_u32_e32 v27, vcc_lo, s23, v25, vcc_lo
	s_delay_alu instid0(VALU_DEP_4) | instskip(NEXT) | instid1(VALU_DEP_4)
	v_add_co_u32 v28, vcc_lo, v20, s22
	v_add_co_ci_u32_e32 v29, vcc_lo, s23, v21, vcc_lo
	s_clause 0x1
	global_load_b32 v37, v[22:23], off
	global_load_b32 v24, v[24:25], off
	;; [unrolled: 1-line block ×5, first 2 shown]
	v_add_co_u32 v20, vcc_lo, v28, s22
	v_add_co_ci_u32_e32 v21, vcc_lo, s23, v29, vcc_lo
	v_add_co_u32 v22, vcc_lo, v26, s22
	v_add_co_ci_u32_e32 v23, vcc_lo, s23, v27, vcc_lo
	global_load_b32 v26, v[20:21], off
	v_add_co_u32 v20, vcc_lo, v20, s22
	v_add_co_ci_u32_e32 v21, vcc_lo, s23, v21, vcc_lo
	global_load_b32 v27, v[22:23], off
	global_load_b32 v28, v[20:21], off
	v_add_co_u32 v20, vcc_lo, v22, s22
	v_add_co_ci_u32_e32 v21, vcc_lo, s23, v23, vcc_lo
	s_waitcnt vmcnt(16)
	ds_bpermute_b32 v22, v9, v19
	s_waitcnt vmcnt(15)
	ds_bpermute_b32 v23, v1, v18
	ds_bpermute_b32 v29, v8, v19
	global_load_b32 v20, v[20:21], off
	ds_bpermute_b32 v21, v1, v19
	ds_bpermute_b32 v40, v9, v18
	;; [unrolled: 1-line block ×5, first 2 shown]
	v_add_co_u32 v4, vcc_lo, v4, s24
	s_add_u32 s2, s2, s12
	v_add_co_ci_u32_e32 v5, vcc_lo, s25, v5, vcc_lo
	s_addc_u32 s3, s3, 0
	v_add_co_u32 v2, vcc_lo, v2, s12
	v_add_co_ci_u32_e32 v3, vcc_lo, 0, v3, vcc_lo
	v_cmp_lt_i64_e64 s1, s[2:3], s[20:21]
	v_add_co_u32 v15, vcc_lo, v15, s26
	v_add_co_ci_u32_e32 v16, vcc_lo, s27, v16, vcc_lo
	s_delay_alu instid0(VALU_DEP_3)
	s_and_b32 vcc_lo, exec_lo, s1
	s_waitcnt vmcnt(15)
	v_add_f32_e32 v17, v17, v30
	s_waitcnt vmcnt(14) lgkmcnt(4)
	v_sub_f32_e32 v21, v31, v21
	ds_bpermute_b32 v31, v8, v18
	s_waitcnt vmcnt(12)
	v_sub_f32_e32 v22, v33, v22
	ds_bpermute_b32 v33, v10, v18
	v_mul_f32_e32 v21, v30, v21
	ds_bpermute_b32 v30, v12, v18
	v_dual_fmac_f32 v0, v21, v23 :: v_dual_mul_f32 v21, v32, v22
	s_waitcnt vmcnt(10)
	v_sub_f32_e32 v22, v35, v29
	ds_bpermute_b32 v23, v11, v18
	ds_bpermute_b32 v29, v13, v19
	v_add_f32_e32 v17, v17, v32
	s_waitcnt lgkmcnt(8)
	v_dual_fmac_f32 v0, v21, v40 :: v_dual_mul_f32 v21, v34, v22
	s_waitcnt vmcnt(9) lgkmcnt(7)
	v_sub_f32_e32 v22, v36, v41
	ds_bpermute_b32 v19, v14, v19
	v_add_f32_e32 v17, v17, v34
	s_waitcnt lgkmcnt(5)
	v_fmac_f32_e32 v0, v21, v31
	s_waitcnt vmcnt(8)
	v_mul_f32_e32 v21, v37, v22
	s_waitcnt vmcnt(6)
	v_sub_f32_e32 v22, v25, v42
	ds_bpermute_b32 v25, v13, v18
	ds_bpermute_b32 v18, v14, v18
	s_waitcnt lgkmcnt(6)
	v_dual_fmac_f32 v0, v21, v33 :: v_dual_mul_f32 v21, v24, v22
	s_waitcnt vmcnt(4)
	v_sub_f32_e32 v22, v39, v43
	s_waitcnt lgkmcnt(4)
	s_delay_alu instid0(VALU_DEP_1) | instskip(SKIP_2) | instid1(VALU_DEP_2)
	v_dual_fmac_f32 v0, v21, v23 :: v_dual_mul_f32 v21, v38, v22
	s_waitcnt vmcnt(3) lgkmcnt(3)
	v_sub_f32_e32 v22, v26, v29
	v_fmac_f32_e32 v0, v21, v30
	s_waitcnt vmcnt(2)
	s_delay_alu instid0(VALU_DEP_2) | instskip(SKIP_1) | instid1(VALU_DEP_1)
	v_mul_f32_e32 v21, v27, v22
	s_waitcnt vmcnt(1) lgkmcnt(1)
	v_dual_sub_f32 v19, v28, v19 :: v_dual_fmac_f32 v0, v21, v25
	s_waitcnt vmcnt(0)
	s_delay_alu instid0(VALU_DEP_1) | instskip(SKIP_1) | instid1(VALU_DEP_1)
	v_mul_f32_e32 v19, v20, v19
	s_waitcnt lgkmcnt(0)
	v_dual_add_f32 v17, v17, v37 :: v_dual_fmac_f32 v0, v19, v18
	s_delay_alu instid0(VALU_DEP_1) | instskip(NEXT) | instid1(VALU_DEP_1)
	v_add_f32_e32 v17, v17, v24
	v_add_f32_e32 v17, v17, v38
	s_delay_alu instid0(VALU_DEP_1) | instskip(NEXT) | instid1(VALU_DEP_1)
	v_add_f32_e32 v17, v17, v27
	v_add_f32_e32 v17, v17, v20
	s_cbranch_vccz .LBB54_10
.LBB54_7:                               ; =>This Inner Loop Header: Depth=1
	v_dual_mov_b32 v18, 0 :: v_dual_mov_b32 v19, 0
	s_and_saveexec_b32 s1, s0
	s_cbranch_execz .LBB54_6
; %bb.8:                                ;   in Loop: Header=BB54_7 Depth=1
	v_dual_mov_b32 v19, 0 :: v_dual_mov_b32 v18, 0
	s_mov_b32 s13, exec_lo
	v_cmpx_gt_i64_e64 s[20:21], v[2:3]
	s_cbranch_execz .LBB54_5
; %bb.9:                                ;   in Loop: Header=BB54_7 Depth=1
	v_add_co_u32 v18, vcc_lo, s8, v4
	v_add_co_ci_u32_e32 v19, vcc_lo, s9, v5, vcc_lo
	v_add_co_u32 v20, vcc_lo, s10, v4
	v_add_co_ci_u32_e32 v21, vcc_lo, s11, v5, vcc_lo
	global_load_b32 v19, v[18:19], off
	global_load_b32 v18, v[20:21], off
	s_branch .LBB54_5
.LBB54_10:
	v_mov_b32_e32 v1, v7
.LBB54_11:
	s_delay_alu instid0(VALU_DEP_1) | instskip(SKIP_2) | instid1(VALU_DEP_1)
	v_mad_u32_u24 v2, 0x41, v1, v6
	s_mov_b32 s15, 0
	s_mov_b32 s0, exec_lo
	v_sub_nc_u32_e32 v1, v2, v1
	v_lshl_add_u32 v2, v2, 2, 0
	ds_store_b32 v2, v0
	ds_store_b32 v2, v17 offset:2080
	s_waitcnt lgkmcnt(0)
	s_barrier
	buffer_gl0_inv
	v_cmpx_gt_u32_e32 0x800, v1
	s_cbranch_execz .LBB54_21
; %bb.12:
	v_mbcnt_lo_u32_b32 v0, -1, 0
	v_lshrrev_b32_e32 v3, 5, v1
	s_cmp_lg_u64 s[16:17], 0
	v_cmp_eq_u32_e64 s0, 0, v6
	s_cselect_b32 s3, -1, 0
	v_xor_b32_e32 v1, 4, v0
	v_xor_b32_e32 v4, 2, v0
	;; [unrolled: 1-line block ×3, first 2 shown]
	s_cmp_lg_u64 s[18:19], 0
	v_add_nc_u32_e32 v7, -16, v3
	v_cmp_gt_i32_e32 vcc_lo, 32, v1
	v_and_b32_e32 v2, 31, v6
	s_cselect_b32 s4, -1, 0
	s_lshl_b64 s[6:7], s[14:15], 8
	v_cndmask_b32_e32 v1, v0, v1, vcc_lo
	v_cmp_gt_i32_e32 vcc_lo, 32, v4
	v_mad_u32_u24 v10, 0x41, v2, v3
	v_cmp_gt_u32_e64 s1, 8, v2
	v_cndmask_b32_e32 v6, v0, v4, vcc_lo
	v_cmp_gt_i32_e32 vcc_lo, 32, v5
	v_lshlrev_b32_e32 v4, 2, v1
	v_dual_cndmask_b32 v0, v0, v5 :: v_dual_lshlrev_b32 v1, 2, v3
	s_delay_alu instid0(VALU_DEP_4) | instskip(NEXT) | instid1(VALU_DEP_2)
	v_lshlrev_b32_e32 v5, 2, v6
	v_add_co_u32 v8, s2, s6, v1
	s_delay_alu instid0(VALU_DEP_1) | instskip(NEXT) | instid1(VALU_DEP_4)
	v_add_co_ci_u32_e64 v9, null, s7, 0, s2
	v_lshlrev_b32_e32 v6, 2, v0
	s_delay_alu instid0(VALU_DEP_3) | instskip(NEXT) | instid1(VALU_DEP_3)
	v_add_co_u32 v0, vcc_lo, s18, v8
	v_add_co_ci_u32_e32 v1, vcc_lo, s19, v9, vcc_lo
	v_add_co_u32 v2, vcc_lo, s16, v8
	v_add_co_ci_u32_e32 v3, vcc_lo, s17, v9, vcc_lo
	v_lshl_add_u32 v8, v10, 2, 0
                                        ; implicit-def: $vgpr9
                                        ; implicit-def: $vgpr10
	s_branch .LBB54_14
.LBB54_13:                              ;   in Loop: Header=BB54_14 Depth=1
	s_or_b32 exec_lo, exec_lo, s2
	v_add_nc_u32_e32 v7, 16, v7
	v_add_co_u32 v0, vcc_lo, v0, 64
	v_add_co_ci_u32_e32 v1, vcc_lo, 0, v1, vcc_lo
	s_delay_alu instid0(VALU_DEP_3) | instskip(SKIP_1) | instid1(VALU_DEP_1)
	v_cmp_lt_u32_e32 vcc_lo, 47, v7
	v_add_co_u32 v2, s2, v2, 64
	v_add_co_ci_u32_e64 v3, s2, 0, v3, s2
	v_add_nc_u32_e32 v8, 64, v8
	s_or_b32 s15, vcc_lo, s15
	s_delay_alu instid0(SALU_CYCLE_1)
	s_and_not1_b32 exec_lo, exec_lo, s15
	s_cbranch_execz .LBB54_21
.LBB54_14:                              ; =>This Inner Loop Header: Depth=1
	s_and_saveexec_b32 s2, s1
	s_cbranch_execz .LBB54_16
; %bb.15:                               ;   in Loop: Header=BB54_14 Depth=1
	ds_load_b32 v9, v8
	ds_load_b32 v10, v8 offset:2080
.LBB54_16:                              ;   in Loop: Header=BB54_14 Depth=1
	s_or_b32 exec_lo, exec_lo, s2
	s_waitcnt lgkmcnt(1)
	ds_bpermute_b32 v11, v4, v9
	s_waitcnt lgkmcnt(1)
	ds_bpermute_b32 v12, v4, v10
	s_waitcnt lgkmcnt(0)
	v_dual_add_f32 v9, v9, v11 :: v_dual_add_f32 v10, v10, v12
	ds_bpermute_b32 v11, v5, v9
	ds_bpermute_b32 v12, v5, v10
	s_waitcnt lgkmcnt(0)
	v_dual_add_f32 v9, v9, v11 :: v_dual_add_f32 v10, v10, v12
	ds_bpermute_b32 v11, v6, v9
	ds_bpermute_b32 v12, v6, v10
	s_waitcnt lgkmcnt(0)
	v_dual_add_f32 v9, v9, v11 :: v_dual_add_f32 v10, v10, v12
	s_and_saveexec_b32 s2, s0
	s_cbranch_execz .LBB54_13
; %bb.17:                               ;   in Loop: Header=BB54_14 Depth=1
	s_and_not1_b32 vcc_lo, exec_lo, s3
	s_cbranch_vccnz .LBB54_19
; %bb.18:                               ;   in Loop: Header=BB54_14 Depth=1
	global_store_b32 v[2:3], v9, off
.LBB54_19:                              ;   in Loop: Header=BB54_14 Depth=1
	s_and_not1_b32 vcc_lo, exec_lo, s4
	s_cbranch_vccnz .LBB54_13
; %bb.20:                               ;   in Loop: Header=BB54_14 Depth=1
	global_store_b32 v[0:1], v10, off
	s_branch .LBB54_13
.LBB54_21:
	s_nop 0
	s_sendmsg sendmsg(MSG_DEALLOC_VGPRS)
	s_endpgm
	.section	.rodata,"a",@progbits
	.p2align	6, 0x0
	.amdhsa_kernel _ZN2at6native12_GLOBAL__N_135GammaBetaBackwardCUDAKernelTemplateIffLj64ELj8ELj64ELb0ELb1ELb0EEEvllPKT_S5_PKT0_S8_PS3_S9_
		.amdhsa_group_segment_fixed_size 0
		.amdhsa_private_segment_fixed_size 0
		.amdhsa_kernarg_size 320
		.amdhsa_user_sgpr_count 14
		.amdhsa_user_sgpr_dispatch_ptr 0
		.amdhsa_user_sgpr_queue_ptr 0
		.amdhsa_user_sgpr_kernarg_segment_ptr 1
		.amdhsa_user_sgpr_dispatch_id 0
		.amdhsa_user_sgpr_private_segment_size 0
		.amdhsa_wavefront_size32 1
		.amdhsa_uses_dynamic_stack 0
		.amdhsa_enable_private_segment 0
		.amdhsa_system_sgpr_workgroup_id_x 1
		.amdhsa_system_sgpr_workgroup_id_y 1
		.amdhsa_system_sgpr_workgroup_id_z 0
		.amdhsa_system_sgpr_workgroup_info 0
		.amdhsa_system_vgpr_workitem_id 1
		.amdhsa_next_free_vgpr 44
		.amdhsa_next_free_sgpr 28
		.amdhsa_reserve_vcc 1
		.amdhsa_float_round_mode_32 0
		.amdhsa_float_round_mode_16_64 0
		.amdhsa_float_denorm_mode_32 3
		.amdhsa_float_denorm_mode_16_64 3
		.amdhsa_dx10_clamp 1
		.amdhsa_ieee_mode 1
		.amdhsa_fp16_overflow 0
		.amdhsa_workgroup_processor_mode 1
		.amdhsa_memory_ordered 1
		.amdhsa_forward_progress 0
		.amdhsa_shared_vgpr_count 0
		.amdhsa_exception_fp_ieee_invalid_op 0
		.amdhsa_exception_fp_denorm_src 0
		.amdhsa_exception_fp_ieee_div_zero 0
		.amdhsa_exception_fp_ieee_overflow 0
		.amdhsa_exception_fp_ieee_underflow 0
		.amdhsa_exception_fp_ieee_inexact 0
		.amdhsa_exception_int_div_zero 0
	.end_amdhsa_kernel
	.section	.text._ZN2at6native12_GLOBAL__N_135GammaBetaBackwardCUDAKernelTemplateIffLj64ELj8ELj64ELb0ELb1ELb0EEEvllPKT_S5_PKT0_S8_PS3_S9_,"axG",@progbits,_ZN2at6native12_GLOBAL__N_135GammaBetaBackwardCUDAKernelTemplateIffLj64ELj8ELj64ELb0ELb1ELb0EEEvllPKT_S5_PKT0_S8_PS3_S9_,comdat
.Lfunc_end54:
	.size	_ZN2at6native12_GLOBAL__N_135GammaBetaBackwardCUDAKernelTemplateIffLj64ELj8ELj64ELb0ELb1ELb0EEEvllPKT_S5_PKT0_S8_PS3_S9_, .Lfunc_end54-_ZN2at6native12_GLOBAL__N_135GammaBetaBackwardCUDAKernelTemplateIffLj64ELj8ELj64ELb0ELb1ELb0EEEvllPKT_S5_PKT0_S8_PS3_S9_
                                        ; -- End function
	.section	.AMDGPU.csdata,"",@progbits
; Kernel info:
; codeLenInByte = 1724
; NumSgprs: 30
; NumVgprs: 44
; ScratchSize: 0
; MemoryBound: 0
; FloatMode: 240
; IeeeMode: 1
; LDSByteSize: 0 bytes/workgroup (compile time only)
; SGPRBlocks: 3
; VGPRBlocks: 5
; NumSGPRsForWavesPerEU: 30
; NumVGPRsForWavesPerEU: 44
; Occupancy: 16
; WaveLimiterHint : 0
; COMPUTE_PGM_RSRC2:SCRATCH_EN: 0
; COMPUTE_PGM_RSRC2:USER_SGPR: 14
; COMPUTE_PGM_RSRC2:TRAP_HANDLER: 0
; COMPUTE_PGM_RSRC2:TGID_X_EN: 1
; COMPUTE_PGM_RSRC2:TGID_Y_EN: 1
; COMPUTE_PGM_RSRC2:TGID_Z_EN: 0
; COMPUTE_PGM_RSRC2:TIDIG_COMP_CNT: 1
	.section	.text._ZN2at6native12_GLOBAL__N_135GammaBetaBackwardCUDAKernelTemplateIffLj64ELj8ELj64ELb0ELb0ELb0EEEvllPKT_S5_PKT0_S8_PS3_S9_,"axG",@progbits,_ZN2at6native12_GLOBAL__N_135GammaBetaBackwardCUDAKernelTemplateIffLj64ELj8ELj64ELb0ELb0ELb0EEEvllPKT_S5_PKT0_S8_PS3_S9_,comdat
	.globl	_ZN2at6native12_GLOBAL__N_135GammaBetaBackwardCUDAKernelTemplateIffLj64ELj8ELj64ELb0ELb0ELb0EEEvllPKT_S5_PKT0_S8_PS3_S9_ ; -- Begin function _ZN2at6native12_GLOBAL__N_135GammaBetaBackwardCUDAKernelTemplateIffLj64ELj8ELj64ELb0ELb0ELb0EEEvllPKT_S5_PKT0_S8_PS3_S9_
	.p2align	8
	.type	_ZN2at6native12_GLOBAL__N_135GammaBetaBackwardCUDAKernelTemplateIffLj64ELj8ELj64ELb0ELb0ELb0EEEvllPKT_S5_PKT0_S8_PS3_S9_,@function
_ZN2at6native12_GLOBAL__N_135GammaBetaBackwardCUDAKernelTemplateIffLj64ELj8ELj64ELb0ELb0ELb0EEEvllPKT_S5_PKT0_S8_PS3_S9_: ; @_ZN2at6native12_GLOBAL__N_135GammaBetaBackwardCUDAKernelTemplateIffLj64ELj8ELj64ELb0ELb0ELb0EEEvllPKT_S5_PKT0_S8_PS3_S9_
; %bb.0:
	s_clause 0x1
	s_load_b256 s[4:11], s[0:1], 0x0
	s_load_b128 s[24:27], s[0:1], 0x20
	s_mov_b32 s29, 0
	s_lshl_b32 s12, s15, 6
	s_mov_b32 s13, s29
	s_lshl_b32 s33, s14, 6
	s_delay_alu instid0(SALU_CYCLE_1) | instskip(SKIP_3) | instid1(VALU_DEP_2)
	s_or_b32 s28, s33, 63
	s_waitcnt lgkmcnt(0)
	v_cmp_lt_i64_e64 s15, s[12:13], s[4:5]
	v_cmp_ge_i64_e64 s2, s[28:29], s[6:7]
	v_cndmask_b32_e64 v1, 0, 1, s15
	s_delay_alu instid0(VALU_DEP_2) | instskip(NEXT) | instid1(VALU_DEP_1)
	s_and_b32 vcc_lo, exec_lo, s2
	v_cmp_ne_u32_e64 s2, 1, v1
	s_cbranch_vccz .LBB55_49
; %bb.1:
	v_mov_b32_e32 v49, 0
	v_mov_b32_e32 v53, 0
	s_delay_alu instid0(VALU_DEP_3)
	s_and_b32 vcc_lo, exec_lo, s2
	s_cbranch_vccnz .LBB55_50
; %bb.2:
	v_bfe_u32 v27, v0, 10, 10
	s_load_b32 s3, s[0:1], 0x44
	v_dual_mov_b32 v2, 0 :: v_dual_and_b32 v29, 0x3ff, v0
	s_add_u32 s30, s0, 64
	s_delay_alu instid0(VALU_DEP_2) | instskip(NEXT) | instid1(VALU_DEP_2)
	v_dual_mov_b32 v49, 0 :: v_dual_lshlrev_b32 v28, 3, v27
	v_dual_mov_b32 v64, 0 :: v_dual_add_nc_u32 v1, s33, v29
	s_addc_u32 s31, s1, 0
	s_delay_alu instid0(VALU_DEP_2) | instskip(NEXT) | instid1(VALU_DEP_1)
	v_add_co_u32 v9, s2, v28, s12
	v_add_co_ci_u32_e64 v10, null, 0, 0, s2
	s_delay_alu instid0(VALU_DEP_3) | instskip(NEXT) | instid1(VALU_DEP_3)
	v_cmp_gt_i64_e64 s2, s[6:7], v[1:2]
	v_add_co_u32 v5, vcc_lo, v9, 7
	s_delay_alu instid0(VALU_DEP_3) | instskip(SKIP_1) | instid1(VALU_DEP_3)
	v_add_co_ci_u32_e32 v3, vcc_lo, 0, v10, vcc_lo
	v_add_co_u32 v8, vcc_lo, v9, 6
	v_mul_lo_u32 v6, s7, v5
	s_delay_alu instid0(VALU_DEP_3)
	v_mul_lo_u32 v7, s6, v3
	v_mad_u64_u32 v[3:4], null, s6, v5, 0
	v_add_co_ci_u32_e32 v5, vcc_lo, 0, v10, vcc_lo
	v_lshlrev_b64 v[25:26], 2, v[1:2]
	v_mul_lo_u32 v1, s7, v8
	s_waitcnt lgkmcnt(0)
	s_lshl_b32 s28, s3, 6
	s_mov_b32 s16, 0
	s_delay_alu instid0(VALU_DEP_4) | instskip(SKIP_3) | instid1(VALU_DEP_3)
	v_add3_u32 v4, v4, v7, v6
	v_mul_lo_u32 v7, s6, v5
	v_mad_u64_u32 v[5:6], null, s6, v8, 0
	s_mul_i32 s3, s7, s28
	v_lshlrev_b64 v[3:4], 2, v[3:4]
	s_mul_hi_u32 s17, s6, s28
	s_mul_i32 s18, s6, s28
	s_add_i32 s19, s17, s3
	s_mov_b64 s[38:39], s[12:13]
	s_delay_alu instid0(VALU_DEP_2) | instskip(SKIP_4) | instid1(VALU_DEP_1)
	v_add3_u32 v6, v6, v7, v1
	v_add_co_u32 v30, vcc_lo, s8, v3
	v_add_co_ci_u32_e32 v31, vcc_lo, s9, v4, vcc_lo
	v_add_co_u32 v1, vcc_lo, v9, 5
	v_add_co_u32 v32, s3, s10, v3
	v_add_co_ci_u32_e64 v33, s3, s11, v4, s3
	v_lshlrev_b64 v[3:4], 2, v[5:6]
	v_add_co_ci_u32_e32 v5, vcc_lo, 0, v10, vcc_lo
	v_add_co_u32 v12, vcc_lo, v9, 4
	v_mul_lo_u32 v11, s7, v1
	s_delay_alu instid0(VALU_DEP_3) | instskip(SKIP_4) | instid1(VALU_DEP_3)
	v_mul_lo_u32 v13, s6, v5
	v_mad_u64_u32 v[5:6], null, s6, v1, 0
	v_add_co_ci_u32_e32 v7, vcc_lo, 0, v10, vcc_lo
	v_mul_lo_u32 v1, s7, v12
	v_add_co_u32 v34, vcc_lo, s8, v3
	v_mul_lo_u32 v14, s6, v7
	v_mad_u64_u32 v[7:8], null, s6, v12, 0
	v_add3_u32 v6, v6, v13, v11
	v_add_co_ci_u32_e32 v35, vcc_lo, s9, v4, vcc_lo
	v_add_co_u32 v36, vcc_lo, s10, v3
	v_add_co_ci_u32_e32 v37, vcc_lo, s11, v4, vcc_lo
	s_delay_alu instid0(VALU_DEP_4) | instskip(SKIP_3) | instid1(VALU_DEP_4)
	v_lshlrev_b64 v[3:4], 2, v[5:6]
	v_add3_u32 v8, v8, v14, v1
	v_add_co_u32 v1, vcc_lo, v9, 3
	v_add_co_ci_u32_e32 v11, vcc_lo, 0, v10, vcc_lo
	v_add_co_u32 v38, vcc_lo, s8, v3
	s_delay_alu instid0(VALU_DEP_4)
	v_lshlrev_b64 v[5:6], 2, v[7:8]
	v_add_co_ci_u32_e32 v39, vcc_lo, s9, v4, vcc_lo
	v_mul_lo_u32 v12, s7, v1
	v_mul_lo_u32 v11, s6, v11
	v_mad_u64_u32 v[7:8], null, s6, v1, 0
	v_add_co_u32 v40, vcc_lo, s10, v3
	v_add_co_ci_u32_e32 v41, vcc_lo, s11, v4, vcc_lo
	v_add_co_u32 v42, vcc_lo, s8, v5
	v_add_co_ci_u32_e32 v43, vcc_lo, s9, v6, vcc_lo
	v_add_co_u32 v1, vcc_lo, v9, 2
	v_add3_u32 v8, v8, v11, v12
	v_add_co_ci_u32_e32 v11, vcc_lo, 0, v10, vcc_lo
	v_add_co_u32 v44, vcc_lo, s10, v5
	v_add_co_ci_u32_e32 v45, vcc_lo, s11, v6, vcc_lo
	v_mul_lo_u32 v12, s7, v1
	s_delay_alu instid0(VALU_DEP_4)
	v_mul_lo_u32 v11, s6, v11
	v_mad_u64_u32 v[5:6], null, s6, v1, 0
	v_lshlrev_b64 v[3:4], 2, v[7:8]
	v_mul_lo_u32 v1, s7, v9
	v_mul_lo_u32 v10, s6, v10
	v_mad_u64_u32 v[7:8], null, s6, v9, 0
	s_lshl_b64 s[34:35], s[18:19], 2
	s_delay_alu instid0(VALU_DEP_4)
	v_add_co_u32 v46, vcc_lo, s8, v3
	v_add3_u32 v6, v6, v11, v12
	v_add_co_ci_u32_e32 v47, vcc_lo, s9, v4, vcc_lo
	v_add_co_u32 v48, vcc_lo, s10, v3
	v_add3_u32 v8, v8, v10, v1
	v_add_co_ci_u32_e32 v50, vcc_lo, s11, v4, vcc_lo
	v_lshlrev_b64 v[3:4], 2, v[5:6]
	v_add_co_u32 v5, vcc_lo, v7, s6
	s_delay_alu instid0(VALU_DEP_4) | instskip(SKIP_1) | instid1(VALU_DEP_3)
	v_add_co_ci_u32_e32 v6, vcc_lo, s7, v8, vcc_lo
	s_add_u32 s36, s12, 63
	v_add_co_u32 v51, vcc_lo, s8, v3
	s_delay_alu instid0(VALU_DEP_2) | instskip(SKIP_3) | instid1(VALU_DEP_4)
	v_lshlrev_b64 v[5:6], 2, v[5:6]
	v_add_co_ci_u32_e32 v52, vcc_lo, s9, v4, vcc_lo
	v_add_co_u32 v54, vcc_lo, s10, v3
	v_add_co_ci_u32_e32 v55, vcc_lo, s11, v4, vcc_lo
	v_add_co_u32 v56, vcc_lo, s8, v5
	v_lshlrev_b64 v[3:4], 2, v[7:8]
	v_add_co_ci_u32_e32 v57, vcc_lo, s9, v6, vcc_lo
	v_add_co_u32 v58, vcc_lo, s10, v5
	v_add_co_ci_u32_e32 v59, vcc_lo, s11, v6, vcc_lo
	s_delay_alu instid0(VALU_DEP_4)
	v_add_co_u32 v60, vcc_lo, s8, v3
	v_add_co_ci_u32_e32 v61, vcc_lo, s9, v4, vcc_lo
	v_add_co_u32 v62, vcc_lo, s10, v3
	v_add_co_ci_u32_e32 v63, vcc_lo, s11, v4, vcc_lo
	s_addc_u32 s37, 0, 0
.LBB55_3:                               ; =>This Inner Loop Header: Depth=1
	s_delay_alu instid0(SALU_CYCLE_1) | instskip(SKIP_1) | instid1(VALU_DEP_1)
	v_cmp_ge_i64_e64 s3, s[36:37], s[4:5]
	v_add_co_u32 v65, s17, v28, s36
	v_add_co_ci_u32_e64 v66, null, 0, s37, s17
	s_delay_alu instid0(VALU_DEP_3)
	s_and_b32 vcc_lo, exec_lo, s3
	s_cbranch_vccz .LBB55_25
; %bb.4:                                ;   in Loop: Header=BB55_3 Depth=1
	s_load_b32 s3, s[30:31], 0xc
	v_dual_mov_b32 v67, 0 :: v_dual_mov_b32 v68, 0
	s_waitcnt lgkmcnt(0)
	s_and_b32 s3, s3, 0xffff
	s_delay_alu instid0(SALU_CYCLE_1) | instskip(SKIP_1) | instid1(VALU_DEP_1)
	v_mad_u32_u24 v1, v27, s3, v29
	s_mov_b32 s3, exec_lo
	v_and_b32_e32 v1, 31, v1
	s_delay_alu instid0(VALU_DEP_1)
	v_cmpx_gt_u32_e32 8, v1
	s_cbranch_execz .LBB55_8
; %bb.5:                                ;   in Loop: Header=BB55_3 Depth=1
	v_add_co_u32 v1, vcc_lo, v65, v1
	v_add_co_ci_u32_e32 v4, vcc_lo, 0, v66, vcc_lo
	v_dual_mov_b32 v67, 0 :: v_dual_mov_b32 v68, 0
	s_delay_alu instid0(VALU_DEP_3) | instskip(NEXT) | instid1(VALU_DEP_3)
	v_add_co_u32 v3, vcc_lo, 0xffffffc1, v1
	v_add_co_ci_u32_e32 v4, vcc_lo, -1, v4, vcc_lo
	s_mov_b32 s17, exec_lo
	s_delay_alu instid0(VALU_DEP_1)
	v_cmpx_gt_i64_e64 s[4:5], v[3:4]
	s_cbranch_execz .LBB55_7
; %bb.6:                                ;   in Loop: Header=BB55_3 Depth=1
	v_lshlrev_b64 v[3:4], 2, v[3:4]
	s_delay_alu instid0(VALU_DEP_1) | instskip(NEXT) | instid1(VALU_DEP_2)
	v_add_co_u32 v5, vcc_lo, s24, v3
	v_add_co_ci_u32_e32 v6, vcc_lo, s25, v4, vcc_lo
	v_add_co_u32 v3, vcc_lo, s26, v3
	v_add_co_ci_u32_e32 v4, vcc_lo, s27, v4, vcc_lo
	global_load_b32 v67, v[5:6], off
	global_load_b32 v68, v[3:4], off
.LBB55_7:                               ;   in Loop: Header=BB55_3 Depth=1
	s_or_b32 exec_lo, exec_lo, s17
.LBB55_8:                               ;   in Loop: Header=BB55_3 Depth=1
	s_delay_alu instid0(SALU_CYCLE_1)
	s_or_b32 exec_lo, exec_lo, s3
	v_add_co_u32 v3, vcc_lo, 0xffffffc1, v65
	v_add_co_ci_u32_e32 v4, vcc_lo, -1, v66, vcc_lo
	s_mov_b32 s22, s16
	s_mov_b32 s23, s16
	;; [unrolled: 1-line block ×7, first 2 shown]
	v_dual_mov_b32 v9, s16 :: v_dual_mov_b32 v10, s17
	v_dual_mov_b32 v15, s22 :: v_dual_mov_b32 v16, s23
	;; [unrolled: 1-line block ×4, first 2 shown]
	v_cmp_gt_i64_e32 vcc_lo, s[4:5], v[3:4]
	s_delay_alu instid0(VALU_DEP_4) | instskip(NEXT) | instid1(VALU_DEP_3)
	v_dual_mov_b32 v24, v16 :: v_dual_mov_b32 v23, v15
	v_dual_mov_b32 v21, v13 :: v_dual_mov_b32 v22, v14
	;; [unrolled: 1-line block ×4, first 2 shown]
	s_and_b32 s17, s2, vcc_lo
	s_delay_alu instid0(SALU_CYCLE_1)
	s_and_saveexec_b32 s3, s17
	s_cbranch_execz .LBB55_10
; %bb.9:                                ;   in Loop: Header=BB55_3 Depth=1
	v_add_co_u32 v3, vcc_lo, v60, v25
	v_add_co_ci_u32_e32 v4, vcc_lo, v61, v26, vcc_lo
	v_mov_b32_e32 v8, v2
	v_mov_b32_e32 v5, v2
	;; [unrolled: 1-line block ×3, first 2 shown]
	global_load_b32 v1, v[3:4], off
	v_add_co_u32 v3, vcc_lo, v62, v25
	v_add_co_ci_u32_e32 v4, vcc_lo, v63, v26, vcc_lo
	v_mov_b32_e32 v7, v2
	v_mov_b32_e32 v15, v2
	global_load_b32 v9, v[3:4], off
	v_mov_b32_e32 v3, v2
	v_mov_b32_e32 v4, v2
	s_waitcnt vmcnt(1)
	v_dual_mov_b32 v11, v2 :: v_dual_mov_b32 v24, v8
	v_dual_mov_b32 v10, v2 :: v_dual_mov_b32 v23, v7
	;; [unrolled: 1-line block ×5, first 2 shown]
	v_mov_b32_e32 v16, v2
	v_mov_b32_e32 v22, v6
	v_dual_mov_b32 v18, v2 :: v_dual_mov_b32 v17, v1
.LBB55_10:                              ;   in Loop: Header=BB55_3 Depth=1
	s_or_b32 exec_lo, exec_lo, s3
	v_add_co_u32 v3, vcc_lo, 0xffffffc2, v65
	v_add_co_ci_u32_e32 v4, vcc_lo, -1, v66, vcc_lo
	s_delay_alu instid0(VALU_DEP_1) | instskip(SKIP_1) | instid1(SALU_CYCLE_1)
	v_cmp_gt_i64_e32 vcc_lo, s[4:5], v[3:4]
	s_and_b32 s17, s2, vcc_lo
	s_and_saveexec_b32 s3, s17
	s_cbranch_execz .LBB55_12
; %bb.11:                               ;   in Loop: Header=BB55_3 Depth=1
	v_add_co_u32 v3, vcc_lo, v56, v25
	v_add_co_ci_u32_e32 v4, vcc_lo, v57, v26, vcc_lo
	v_add_co_u32 v5, vcc_lo, v58, v25
	v_add_co_ci_u32_e32 v6, vcc_lo, v59, v26, vcc_lo
	global_load_b32 v18, v[3:4], off
	global_load_b32 v10, v[5:6], off
.LBB55_12:                              ;   in Loop: Header=BB55_3 Depth=1
	s_or_b32 exec_lo, exec_lo, s3
	v_add_co_u32 v3, vcc_lo, 0xffffffc3, v65
	v_add_co_ci_u32_e32 v4, vcc_lo, -1, v66, vcc_lo
	s_delay_alu instid0(VALU_DEP_1) | instskip(SKIP_1) | instid1(SALU_CYCLE_1)
	v_cmp_gt_i64_e32 vcc_lo, s[4:5], v[3:4]
	s_and_b32 s17, s2, vcc_lo
	s_and_saveexec_b32 s3, s17
	s_cbranch_execz .LBB55_14
; %bb.13:                               ;   in Loop: Header=BB55_3 Depth=1
	v_add_co_u32 v3, vcc_lo, v51, v25
	v_add_co_ci_u32_e32 v4, vcc_lo, v52, v26, vcc_lo
	v_add_co_u32 v5, vcc_lo, v54, v25
	v_add_co_ci_u32_e32 v6, vcc_lo, v55, v26, vcc_lo
	global_load_b32 v19, v[3:4], off
	global_load_b32 v11, v[5:6], off
.LBB55_14:                              ;   in Loop: Header=BB55_3 Depth=1
	;; [unrolled: 16-line block ×7, first 2 shown]
	s_or_b32 exec_lo, exec_lo, s3
	s_waitcnt vmcnt(1)
	ds_bpermute_b32 v1, v2, v67
	ds_bpermute_b32 v3, v2, v67 offset:4
	ds_bpermute_b32 v4, v2, v67 offset:8
	;; [unrolled: 1-line block ×3, first 2 shown]
	s_waitcnt vmcnt(0)
	ds_bpermute_b32 v5, v2, v68
	ds_bpermute_b32 v7, v2, v68 offset:4
	ds_bpermute_b32 v8, v2, v67 offset:16
	;; [unrolled: 1-line block ×5, first 2 shown]
	s_waitcnt lgkmcnt(9)
	v_sub_f32_e32 v1, v9, v1
	s_waitcnt lgkmcnt(7)
	v_dual_add_f32 v9, v49, v17 :: v_dual_sub_f32 v4, v11, v4
	s_waitcnt lgkmcnt(6)
	v_dual_sub_f32 v6, v12, v6 :: v_dual_sub_f32 v3, v10, v3
	v_mul_f32_e32 v1, v17, v1
	ds_bpermute_b32 v10, v2, v68 offset:16
	v_mul_f32_e32 v4, v19, v4
	v_dual_mul_f32 v6, v20, v6 :: v_dual_mul_f32 v3, v18, v3
	s_waitcnt lgkmcnt(6)
	v_fma_f32 v53, v1, v5, v64
	ds_bpermute_b32 v17, v2, v67 offset:24
	ds_bpermute_b32 v5, v2, v68 offset:20
	;; [unrolled: 1-line block ×4, first 2 shown]
	s_waitcnt lgkmcnt(9)
	v_fmac_f32_e32 v53, v3, v7
	v_add_f32_e32 v3, v18, v9
	s_waitcnt lgkmcnt(7)
	v_dual_sub_f32 v7, v13, v8 :: v_dual_sub_f32 v8, v14, v71
	s_waitcnt lgkmcnt(6)
	s_delay_alu instid0(VALU_DEP_1) | instskip(SKIP_3) | instid1(VALU_DEP_1)
	v_dual_mul_f32 v8, v22, v8 :: v_dual_fmac_f32 v53, v4, v69
	v_add_f32_e32 v4, v19, v3
	ds_bpermute_b32 v3, v2, v67 offset:28
	v_dual_mul_f32 v7, v21, v7 :: v_dual_add_f32 v4, v20, v4
	v_add_f32_e32 v4, v21, v4
	s_delay_alu instid0(VALU_DEP_1) | instskip(SKIP_2) | instid1(VALU_DEP_2)
	v_add_f32_e32 v4, v22, v4
	s_waitcnt lgkmcnt(4)
	v_dual_fmac_f32 v53, v6, v70 :: v_dual_sub_f32 v6, v15, v17
	v_add_f32_e32 v4, v23, v4
	s_delay_alu instid0(VALU_DEP_2) | instskip(SKIP_1) | instid1(VALU_DEP_1)
	v_fmac_f32_e32 v53, v7, v10
	s_waitcnt lgkmcnt(3)
	v_dual_mul_f32 v6, v23, v6 :: v_dual_fmac_f32 v53, v8, v5
	s_waitcnt lgkmcnt(2)
	s_delay_alu instid0(VALU_DEP_1)
	v_fmac_f32_e32 v53, v6, v11
	s_branch .LBB55_40
.LBB55_25:                              ;   in Loop: Header=BB55_3 Depth=1
                                        ; implicit-def: $vgpr1
                                        ; implicit-def: $vgpr9_vgpr10_vgpr11_vgpr12_vgpr13_vgpr14_vgpr15_vgpr16
                                        ; implicit-def: $vgpr17_vgpr18_vgpr19_vgpr20_vgpr21_vgpr22_vgpr23_vgpr24
                                        ; implicit-def: $vgpr3
                                        ; implicit-def: $vgpr4
                                        ; implicit-def: $vgpr53
	s_cbranch_execz .LBB55_40
; %bb.26:                               ;   in Loop: Header=BB55_3 Depth=1
	s_load_b32 s3, s[30:31], 0x0
	v_mov_b32_e32 v67, 0
	v_mov_b32_e32 v53, 0
	s_waitcnt lgkmcnt(0)
	s_cmp_lt_u32 s14, s3
	s_cselect_b32 s3, 12, 18
	s_delay_alu instid0(SALU_CYCLE_1)
	s_add_u32 s18, s30, s3
	s_addc_u32 s19, s31, 0
	s_mov_b32 s3, exec_lo
	global_load_u16 v1, v2, s[18:19]
	s_waitcnt vmcnt(0)
	v_mad_u32_u24 v1, v27, v1, v29
	s_delay_alu instid0(VALU_DEP_1) | instskip(NEXT) | instid1(VALU_DEP_1)
	v_and_b32_e32 v1, 31, v1
	v_cmpx_gt_u32_e32 8, v1
	s_cbranch_execz .LBB55_30
; %bb.27:                               ;   in Loop: Header=BB55_3 Depth=1
	v_add_co_u32 v1, vcc_lo, v65, v1
	v_add_co_ci_u32_e32 v4, vcc_lo, 0, v66, vcc_lo
	v_mov_b32_e32 v53, 0
	s_delay_alu instid0(VALU_DEP_3) | instskip(NEXT) | instid1(VALU_DEP_3)
	v_add_co_u32 v3, vcc_lo, 0xffffffc1, v1
	v_add_co_ci_u32_e32 v4, vcc_lo, -1, v4, vcc_lo
	v_mov_b32_e32 v67, 0
	s_mov_b32 s17, exec_lo
	s_delay_alu instid0(VALU_DEP_2)
	v_cmpx_gt_i64_e64 s[4:5], v[3:4]
	s_cbranch_execz .LBB55_29
; %bb.28:                               ;   in Loop: Header=BB55_3 Depth=1
	v_lshlrev_b64 v[3:4], 2, v[3:4]
	s_delay_alu instid0(VALU_DEP_1) | instskip(NEXT) | instid1(VALU_DEP_2)
	v_add_co_u32 v5, vcc_lo, s24, v3
	v_add_co_ci_u32_e32 v6, vcc_lo, s25, v4, vcc_lo
	v_add_co_u32 v3, vcc_lo, s26, v3
	v_add_co_ci_u32_e32 v4, vcc_lo, s27, v4, vcc_lo
	global_load_b32 v53, v[5:6], off
	global_load_b32 v67, v[3:4], off
.LBB55_29:                              ;   in Loop: Header=BB55_3 Depth=1
	s_or_b32 exec_lo, exec_lo, s17
.LBB55_30:                              ;   in Loop: Header=BB55_3 Depth=1
	s_delay_alu instid0(SALU_CYCLE_1)
	s_or_b32 exec_lo, exec_lo, s3
	s_mov_b32 s22, s16
	s_mov_b32 s23, s16
	;; [unrolled: 1-line block ×7, first 2 shown]
	v_dual_mov_b32 v9, s16 :: v_dual_mov_b32 v10, s17
	v_dual_mov_b32 v15, s22 :: v_dual_mov_b32 v16, s23
	;; [unrolled: 1-line block ×4, first 2 shown]
	s_delay_alu instid0(VALU_DEP_3) | instskip(NEXT) | instid1(VALU_DEP_3)
	v_dual_mov_b32 v24, v16 :: v_dual_mov_b32 v23, v15
	v_dual_mov_b32 v20, v12 :: v_dual_mov_b32 v19, v11
	s_delay_alu instid0(VALU_DEP_3)
	v_dual_mov_b32 v22, v14 :: v_dual_mov_b32 v21, v13
	v_dual_mov_b32 v18, v10 :: v_dual_mov_b32 v17, v9
	s_and_saveexec_b32 s3, s2
	s_cbranch_execnz .LBB55_42
; %bb.31:                               ;   in Loop: Header=BB55_3 Depth=1
	s_or_b32 exec_lo, exec_lo, s3
	s_and_saveexec_b32 s3, s2
	s_cbranch_execnz .LBB55_43
.LBB55_32:                              ;   in Loop: Header=BB55_3 Depth=1
	s_or_b32 exec_lo, exec_lo, s3
	s_and_saveexec_b32 s3, s2
	s_cbranch_execnz .LBB55_44
.LBB55_33:                              ;   in Loop: Header=BB55_3 Depth=1
	s_or_b32 exec_lo, exec_lo, s3
	s_and_saveexec_b32 s3, s2
	s_cbranch_execnz .LBB55_45
.LBB55_34:                              ;   in Loop: Header=BB55_3 Depth=1
	s_or_b32 exec_lo, exec_lo, s3
	s_and_saveexec_b32 s3, s2
	s_cbranch_execnz .LBB55_46
.LBB55_35:                              ;   in Loop: Header=BB55_3 Depth=1
	s_or_b32 exec_lo, exec_lo, s3
	s_and_saveexec_b32 s3, s2
	s_cbranch_execnz .LBB55_47
.LBB55_36:                              ;   in Loop: Header=BB55_3 Depth=1
	s_or_b32 exec_lo, exec_lo, s3
	s_and_saveexec_b32 s3, s2
	s_cbranch_execnz .LBB55_48
.LBB55_37:                              ;   in Loop: Header=BB55_3 Depth=1
	s_or_b32 exec_lo, exec_lo, s3
	s_and_saveexec_b32 s3, s2
	s_cbranch_execz .LBB55_39
.LBB55_38:                              ;   in Loop: Header=BB55_3 Depth=1
	v_add_co_u32 v3, vcc_lo, v30, v25
	v_add_co_ci_u32_e32 v4, vcc_lo, v31, v26, vcc_lo
	v_add_co_u32 v5, vcc_lo, v32, v25
	v_add_co_ci_u32_e32 v6, vcc_lo, v33, v26, vcc_lo
	global_load_b32 v24, v[3:4], off
	global_load_b32 v16, v[5:6], off
.LBB55_39:                              ;   in Loop: Header=BB55_3 Depth=1
	s_or_b32 exec_lo, exec_lo, s3
	s_waitcnt vmcnt(1)
	ds_bpermute_b32 v1, v2, v53
	ds_bpermute_b32 v3, v2, v53 offset:4
	ds_bpermute_b32 v4, v2, v53 offset:8
	s_waitcnt vmcnt(0)
	ds_bpermute_b32 v5, v2, v67
	ds_bpermute_b32 v6, v2, v53 offset:12
	ds_bpermute_b32 v7, v2, v67 offset:4
	;; [unrolled: 1-line block ×5, first 2 shown]
	s_waitcnt lgkmcnt(8)
	v_sub_f32_e32 v1, v9, v1
	ds_bpermute_b32 v9, v2, v67 offset:12
	s_waitcnt lgkmcnt(7)
	v_dual_sub_f32 v4, v11, v4 :: v_dual_sub_f32 v3, v10, v3
	v_add_f32_e32 v10, v49, v17
	v_mul_f32_e32 v1, v17, v1
	ds_bpermute_b32 v17, v2, v67 offset:16
	v_dual_mul_f32 v4, v19, v4 :: v_dual_mul_f32 v3, v18, v3
	ds_bpermute_b32 v11, v2, v67 offset:20
	s_waitcnt lgkmcnt(8)
	v_fmac_f32_e32 v64, v1, v5
	ds_bpermute_b32 v5, v2, v53 offset:24
	s_waitcnt lgkmcnt(6)
	v_dual_sub_f32 v1, v12, v6 :: v_dual_sub_f32 v6, v13, v8
	s_waitcnt lgkmcnt(4)
	v_sub_f32_e32 v8, v14, v66
	v_dual_fmac_f32 v64, v3, v7 :: v_dual_add_f32 v3, v18, v10
	s_delay_alu instid0(VALU_DEP_2) | instskip(NEXT) | instid1(VALU_DEP_2)
	v_dual_mul_f32 v1, v20, v1 :: v_dual_mul_f32 v8, v22, v8
	v_dual_fmac_f32 v64, v4, v65 :: v_dual_add_f32 v7, v19, v3
	ds_bpermute_b32 v4, v2, v67 offset:24
	v_mul_f32_e32 v6, v21, v6
	ds_bpermute_b32 v3, v2, v53 offset:28
	s_waitcnt lgkmcnt(5)
	v_dual_fmac_f32 v64, v1, v9 :: v_dual_add_f32 v7, v20, v7
	ds_bpermute_b32 v1, v2, v67 offset:28
	s_waitcnt lgkmcnt(5)
	v_fmac_f32_e32 v64, v6, v17
	s_waitcnt lgkmcnt(3)
	v_dual_sub_f32 v5, v15, v5 :: v_dual_add_f32 v6, v21, v7
	s_delay_alu instid0(VALU_DEP_1) | instskip(SKIP_1) | instid1(VALU_DEP_1)
	v_dual_fmac_f32 v64, v8, v11 :: v_dual_mul_f32 v5, v23, v5
	s_waitcnt lgkmcnt(2)
	v_fmac_f32_e32 v64, v5, v4
	s_delay_alu instid0(VALU_DEP_1) | instskip(NEXT) | instid1(VALU_DEP_1)
	v_dual_add_f32 v6, v22, v6 :: v_dual_mov_b32 v53, v64
	v_add_f32_e32 v4, v23, v6
.LBB55_40:                              ;   in Loop: Header=BB55_3 Depth=1
	v_add_co_u32 v30, vcc_lo, v30, s34
	v_add_co_ci_u32_e32 v31, vcc_lo, s35, v31, vcc_lo
	v_add_co_u32 v32, vcc_lo, v32, s34
	v_add_co_ci_u32_e32 v33, vcc_lo, s35, v33, vcc_lo
	;; [unrolled: 2-line block ×12, first 2 shown]
	v_add_co_u32 v56, vcc_lo, v56, s34
	s_waitcnt lgkmcnt(0)
	v_sub_f32_e32 v3, v16, v3
	v_add_co_ci_u32_e32 v57, vcc_lo, s35, v57, vcc_lo
	v_add_co_u32 v58, vcc_lo, v58, s34
	s_add_u32 s38, s38, s28
	v_add_co_ci_u32_e32 v59, vcc_lo, s35, v59, vcc_lo
	v_mul_f32_e32 v3, v24, v3
	s_addc_u32 s39, s39, 0
	v_add_co_u32 v60, vcc_lo, v60, s34
	v_cmp_lt_i64_e64 s3, s[38:39], s[4:5]
	v_add_co_ci_u32_e32 v61, vcc_lo, s35, v61, vcc_lo
	v_add_co_u32 v62, vcc_lo, v62, s34
	v_add_f32_e32 v49, v4, v24
	v_fmac_f32_e32 v53, v3, v1
	v_add_co_ci_u32_e32 v63, vcc_lo, s35, v63, vcc_lo
	s_add_u32 s36, s36, s28
	s_addc_u32 s37, s37, 0
	s_and_b32 vcc_lo, exec_lo, s3
	s_cbranch_vccz .LBB55_50
; %bb.41:                               ;   in Loop: Header=BB55_3 Depth=1
	v_mov_b32_e32 v64, v53
	s_branch .LBB55_3
.LBB55_42:                              ;   in Loop: Header=BB55_3 Depth=1
	v_add_co_u32 v3, vcc_lo, v60, v25
	v_add_co_ci_u32_e32 v4, vcc_lo, v61, v26, vcc_lo
	v_mov_b32_e32 v8, v2
	v_mov_b32_e32 v5, v2
	;; [unrolled: 1-line block ×3, first 2 shown]
	global_load_b32 v1, v[3:4], off
	v_add_co_u32 v3, vcc_lo, v62, v25
	v_add_co_ci_u32_e32 v4, vcc_lo, v63, v26, vcc_lo
	v_mov_b32_e32 v7, v2
	v_mov_b32_e32 v15, v2
	global_load_b32 v9, v[3:4], off
	v_mov_b32_e32 v3, v2
	v_mov_b32_e32 v4, v2
	s_waitcnt vmcnt(1)
	v_dual_mov_b32 v11, v2 :: v_dual_mov_b32 v24, v8
	v_dual_mov_b32 v10, v2 :: v_dual_mov_b32 v23, v7
	;; [unrolled: 1-line block ×5, first 2 shown]
	v_mov_b32_e32 v16, v2
	v_mov_b32_e32 v22, v6
	v_dual_mov_b32 v18, v2 :: v_dual_mov_b32 v17, v1
	s_or_b32 exec_lo, exec_lo, s3
	s_and_saveexec_b32 s3, s2
	s_cbranch_execz .LBB55_32
.LBB55_43:                              ;   in Loop: Header=BB55_3 Depth=1
	v_add_co_u32 v3, vcc_lo, v56, v25
	v_add_co_ci_u32_e32 v4, vcc_lo, v57, v26, vcc_lo
	v_add_co_u32 v5, vcc_lo, v58, v25
	v_add_co_ci_u32_e32 v6, vcc_lo, v59, v26, vcc_lo
	global_load_b32 v18, v[3:4], off
	global_load_b32 v10, v[5:6], off
	s_or_b32 exec_lo, exec_lo, s3
	s_and_saveexec_b32 s3, s2
	s_cbranch_execz .LBB55_33
.LBB55_44:                              ;   in Loop: Header=BB55_3 Depth=1
	v_add_co_u32 v3, vcc_lo, v51, v25
	v_add_co_ci_u32_e32 v4, vcc_lo, v52, v26, vcc_lo
	v_add_co_u32 v5, vcc_lo, v54, v25
	v_add_co_ci_u32_e32 v6, vcc_lo, v55, v26, vcc_lo
	global_load_b32 v19, v[3:4], off
	global_load_b32 v11, v[5:6], off
	s_or_b32 exec_lo, exec_lo, s3
	s_and_saveexec_b32 s3, s2
	s_cbranch_execz .LBB55_34
.LBB55_45:                              ;   in Loop: Header=BB55_3 Depth=1
	v_add_co_u32 v3, vcc_lo, v46, v25
	v_add_co_ci_u32_e32 v4, vcc_lo, v47, v26, vcc_lo
	v_add_co_u32 v5, vcc_lo, v48, v25
	v_add_co_ci_u32_e32 v6, vcc_lo, v50, v26, vcc_lo
	global_load_b32 v20, v[3:4], off
	global_load_b32 v12, v[5:6], off
	s_or_b32 exec_lo, exec_lo, s3
	s_and_saveexec_b32 s3, s2
	s_cbranch_execz .LBB55_35
.LBB55_46:                              ;   in Loop: Header=BB55_3 Depth=1
	v_add_co_u32 v3, vcc_lo, v42, v25
	v_add_co_ci_u32_e32 v4, vcc_lo, v43, v26, vcc_lo
	v_add_co_u32 v5, vcc_lo, v44, v25
	v_add_co_ci_u32_e32 v6, vcc_lo, v45, v26, vcc_lo
	global_load_b32 v21, v[3:4], off
	global_load_b32 v13, v[5:6], off
	s_or_b32 exec_lo, exec_lo, s3
	s_and_saveexec_b32 s3, s2
	s_cbranch_execz .LBB55_36
.LBB55_47:                              ;   in Loop: Header=BB55_3 Depth=1
	v_add_co_u32 v3, vcc_lo, v38, v25
	v_add_co_ci_u32_e32 v4, vcc_lo, v39, v26, vcc_lo
	v_add_co_u32 v5, vcc_lo, v40, v25
	v_add_co_ci_u32_e32 v6, vcc_lo, v41, v26, vcc_lo
	global_load_b32 v22, v[3:4], off
	global_load_b32 v14, v[5:6], off
	s_or_b32 exec_lo, exec_lo, s3
	s_and_saveexec_b32 s3, s2
	s_cbranch_execz .LBB55_37
.LBB55_48:                              ;   in Loop: Header=BB55_3 Depth=1
	v_add_co_u32 v3, vcc_lo, v34, v25
	v_add_co_ci_u32_e32 v4, vcc_lo, v35, v26, vcc_lo
	v_add_co_u32 v5, vcc_lo, v36, v25
	v_add_co_ci_u32_e32 v6, vcc_lo, v37, v26, vcc_lo
	global_load_b32 v23, v[3:4], off
	global_load_b32 v15, v[5:6], off
	s_or_b32 exec_lo, exec_lo, s3
	s_and_saveexec_b32 s3, s2
	s_cbranch_execnz .LBB55_38
	s_branch .LBB55_39
.LBB55_49:
	s_mov_b32 s29, -1
                                        ; implicit-def: $vgpr49
                                        ; implicit-def: $vgpr53
.LBB55_50:
	s_delay_alu instid0(SALU_CYCLE_1)
	s_and_not1_b32 vcc_lo, exec_lo, s29
	s_cbranch_vccnz .LBB55_82
; %bb.51:
	v_mov_b32_e32 v49, 0
	v_mov_b32_e32 v53, 0
	s_and_not1_b32 vcc_lo, exec_lo, s15
	s_mov_b32 s16, 0
	s_cbranch_vccnz .LBB55_82
; %bb.52:
	s_load_b32 s2, s[0:1], 0x44
	v_and_b32_e32 v50, 0x3ff, v0
	v_bfe_u32 v51, v0, 10, 10
	v_mov_b32_e32 v2, 0
	s_add_u32 s28, s0, 64
	s_addc_u32 s29, s1, 0
	v_add_nc_u32_e32 v1, s33, v50
	v_lshlrev_b32_e32 v3, 5, v51
	v_lshlrev_b32_e32 v52, 3, v51
	s_delay_alu instid0(VALU_DEP_3)
	v_lshlrev_b64 v[19:20], 2, v[1:2]
	s_waitcnt lgkmcnt(0)
	s_lshl_b32 s15, s2, 6
	s_add_u32 s30, s12, 63
	s_addc_u32 s31, 0, 0
	s_lshl_b64 s[2:3], s[12:13], 2
	s_mul_i32 s17, s7, s15
	v_add_co_u32 v1, s2, v3, s2
	s_delay_alu instid0(VALU_DEP_1) | instskip(SKIP_1) | instid1(VALU_DEP_2)
	v_add_co_ci_u32_e64 v3, null, 0, s3, s2
	s_mul_hi_u32 s2, s6, s15
	v_add_co_u32 v7, vcc_lo, v1, 4
	s_delay_alu instid0(VALU_DEP_2) | instskip(SKIP_3) | instid1(VALU_DEP_4)
	v_add_co_ci_u32_e32 v4, vcc_lo, 0, v3, vcc_lo
	v_add_co_u32 v8, vcc_lo, v1, 8
	v_add_co_ci_u32_e32 v5, vcc_lo, 0, v3, vcc_lo
	v_add_co_u32 v11, vcc_lo, v1, 12
	v_mul_lo_u32 v9, s6, v4
	v_add_co_ci_u32_e32 v4, vcc_lo, 0, v3, vcc_lo
	v_add_co_u32 v14, vcc_lo, v1, 16
	v_mul_lo_u32 v12, s6, v5
	v_add_co_ci_u32_e32 v5, vcc_lo, 0, v3, vcc_lo
	s_delay_alu instid0(VALU_DEP_3) | instskip(SKIP_1) | instid1(VALU_DEP_3)
	v_mad_u64_u32 v[27:28], null, s6, v14, s[8:9]
	v_mul_lo_u32 v43, s7, v14
	v_mul_lo_u32 v17, s6, v5
	v_mad_u64_u32 v[41:42], null, s6, v14, s[10:11]
	v_add_co_u32 v18, vcc_lo, v1, 20
	v_mul_lo_u32 v15, s6, v4
	v_add_co_ci_u32_e32 v4, vcc_lo, 0, v3, vcc_lo
	s_delay_alu instid0(VALU_DEP_3) | instskip(SKIP_1) | instid1(VALU_DEP_3)
	v_mad_u64_u32 v[29:30], null, s6, v18, s[8:9]
	v_mul_lo_u32 v53, s7, v18
	v_mul_lo_u32 v49, s6, v4
	v_add3_u32 v28, v43, v28, v17
	v_add3_u32 v42, v43, v42, v17
	v_mad_u64_u32 v[43:44], null, s6, v18, s[10:11]
	v_add_co_u32 v47, vcc_lo, v1, 24
	v_add_co_ci_u32_e32 v5, vcc_lo, 0, v3, vcc_lo
	v_add3_u32 v30, v53, v30, v49
	v_add_co_u32 v1, vcc_lo, v1, 28
	v_add3_u32 v44, v53, v44, v49
	v_mov_b32_e32 v49, 0
	v_add_co_u32 v70, s3, v52, s12
	s_delay_alu instid0(VALU_DEP_1) | instskip(SKIP_2) | instid1(VALU_DEP_4)
	v_add_co_ci_u32_e64 v71, null, 0, 0, s3
	v_mul_lo_u32 v56, s6, v5
	v_add_co_ci_u32_e32 v5, vcc_lo, 0, v3, vcc_lo
	v_mul_lo_u32 v6, s7, v70
	s_delay_alu instid0(VALU_DEP_4) | instskip(SKIP_1) | instid1(VALU_DEP_4)
	v_mul_lo_u32 v35, s6, v71
	v_mad_u64_u32 v[3:4], null, s6, v70, 0
	v_mul_lo_u32 v58, s6, v5
	v_mad_u64_u32 v[21:22], null, s6, v7, s[8:9]
	;; [unrolled: 2-line block ×3, first 2 shown]
	v_add3_u32 v4, v4, v35, v6
	v_mad_u64_u32 v[35:36], null, s6, v7, s[10:11]
	v_mul_lo_u32 v13, s7, v8
	v_mad_u64_u32 v[37:38], null, s6, v8, s[10:11]
	s_delay_alu instid0(VALU_DEP_4)
	v_lshlrev_b64 v[5:6], 2, v[3:4]
	v_add3_u32 v22, v10, v22, v9
	v_mad_u64_u32 v[25:26], null, s6, v11, s[8:9]
	v_add3_u32 v36, v10, v36, v9
	v_add3_u32 v24, v13, v24, v12
	v_add_co_u32 v54, vcc_lo, s8, v5
	v_add_co_ci_u32_e32 v55, vcc_lo, s9, v6, vcc_lo
	v_add_co_u32 v9, vcc_lo, v70, 7
	v_add_co_ci_u32_e32 v7, vcc_lo, 0, v71, vcc_lo
	v_add3_u32 v38, v13, v38, v12
	v_add_co_u32 v12, vcc_lo, v70, 6
	v_mul_lo_u32 v16, s7, v11
	v_mad_u64_u32 v[31:32], null, s6, v47, s[8:9]
	v_mul_lo_u32 v57, s7, v47
	v_mad_u64_u32 v[33:34], null, s6, v1, s[8:9]
	;; [unrolled: 2-line block ×3, first 2 shown]
	v_mad_u64_u32 v[45:46], null, s6, v47, s[10:11]
	v_mad_u64_u32 v[47:48], null, s6, v1, s[10:11]
	v_mul_lo_u32 v1, s7, v9
	v_mul_lo_u32 v11, s6, v7
	v_mad_u64_u32 v[7:8], null, s6, v9, 0
	v_add_co_ci_u32_e32 v10, vcc_lo, 0, v71, vcc_lo
	v_mul_lo_u32 v13, s7, v12
	v_add3_u32 v32, v57, v32, v56
	v_add3_u32 v46, v57, v46, v56
	s_delay_alu instid0(VALU_DEP_4) | instskip(SKIP_4) | instid1(VALU_DEP_3)
	v_mul_lo_u32 v14, s6, v10
	v_mad_u64_u32 v[9:10], null, s6, v12, 0
	v_add3_u32 v8, v8, v11, v1
	v_add_co_u32 v56, vcc_lo, s10, v5
	v_add_co_ci_u32_e32 v57, vcc_lo, s11, v6, vcc_lo
	v_lshlrev_b64 v[5:6], 2, v[7:8]
	v_add3_u32 v10, v10, v14, v13
	v_add_co_u32 v1, vcc_lo, v70, 5
	v_add_co_ci_u32_e32 v11, vcc_lo, 0, v71, vcc_lo
	v_add3_u32 v34, v59, v34, v58
	v_add3_u32 v48, v59, v48, v58
	v_add_co_u32 v58, vcc_lo, s8, v5
	v_lshlrev_b64 v[7:8], 2, v[9:10]
	v_add_co_ci_u32_e32 v59, vcc_lo, s9, v6, vcc_lo
	v_mul_lo_u32 v12, s7, v1
	v_mul_lo_u32 v11, s6, v11
	v_mad_u64_u32 v[9:10], null, s6, v1, 0
	v_add_co_u32 v60, vcc_lo, s10, v5
	v_add_co_ci_u32_e32 v61, vcc_lo, s11, v6, vcc_lo
	v_add_co_u32 v62, vcc_lo, s8, v7
	v_add_co_ci_u32_e32 v63, vcc_lo, s9, v8, vcc_lo
	v_add_co_u32 v1, vcc_lo, v70, 4
	v_add3_u32 v10, v10, v11, v12
	s_add_i32 s3, s2, s17
	v_add_co_u32 v64, s2, s10, v7
	v_add_co_ci_u32_e32 v7, vcc_lo, 0, v71, vcc_lo
	v_add_co_u32 v12, vcc_lo, v70, 3
	v_lshlrev_b64 v[5:6], 2, v[9:10]
	v_add_co_ci_u32_e32 v9, vcc_lo, 0, v71, vcc_lo
	v_add_co_ci_u32_e64 v65, s2, s11, v8, s2
	v_mul_lo_u32 v11, s7, v1
	v_mul_lo_u32 v13, s6, v7
	v_mad_u64_u32 v[7:8], null, s6, v1, 0
	v_mul_lo_u32 v1, s7, v12
	v_mul_lo_u32 v14, s6, v9
	v_mad_u64_u32 v[9:10], null, s6, v12, 0
	v_add_co_u32 v66, vcc_lo, s8, v5
	v_add_co_ci_u32_e32 v67, vcc_lo, s9, v6, vcc_lo
	v_add3_u32 v8, v8, v13, v11
	v_add_co_u32 v68, vcc_lo, s10, v5
	v_add_co_ci_u32_e32 v69, vcc_lo, s11, v6, vcc_lo
	v_add3_u32 v10, v10, v14, v1
	v_add_co_u32 v1, vcc_lo, v70, 2
	v_lshlrev_b64 v[5:6], 2, v[7:8]
	v_add_co_ci_u32_e32 v11, vcc_lo, 0, v71, vcc_lo
	s_delay_alu instid0(VALU_DEP_4) | instskip(NEXT) | instid1(VALU_DEP_4)
	v_lshlrev_b64 v[7:8], 2, v[9:10]
	v_mul_lo_u32 v12, s7, v1
	v_mad_u64_u32 v[9:10], null, s6, v1, 0
	v_add_co_u32 v70, vcc_lo, s8, v5
	v_mul_lo_u32 v11, s6, v11
	v_add_co_ci_u32_e32 v71, vcc_lo, s9, v6, vcc_lo
	v_add_co_u32 v72, vcc_lo, s10, v5
	v_add_co_ci_u32_e32 v73, vcc_lo, s11, v6, vcc_lo
	v_add_co_u32 v74, vcc_lo, s8, v7
	v_add_co_ci_u32_e32 v75, vcc_lo, s9, v8, vcc_lo
	v_add3_u32 v10, v10, v11, v12
	v_add_co_u32 v76, vcc_lo, s10, v7
	v_add_co_ci_u32_e32 v77, vcc_lo, s11, v8, vcc_lo
	v_add_co_u32 v3, vcc_lo, v3, s6
	s_delay_alu instid0(VALU_DEP_4)
	v_lshlrev_b64 v[5:6], 2, v[9:10]
	v_add_co_ci_u32_e32 v4, vcc_lo, s7, v4, vcc_lo
	v_add3_u32 v26, v16, v26, v15
	v_add3_u32 v40, v16, v40, v15
	v_mov_b32_e32 v53, 0
	v_add_co_u32 v78, vcc_lo, s8, v5
	v_lshlrev_b64 v[3:4], 2, v[3:4]
	v_add_co_ci_u32_e32 v79, vcc_lo, s9, v6, vcc_lo
	v_add_co_u32 v80, vcc_lo, s10, v5
	v_add_co_ci_u32_e32 v81, vcc_lo, s11, v6, vcc_lo
	s_delay_alu instid0(VALU_DEP_4) | instskip(SKIP_4) | instid1(SALU_CYCLE_1)
	v_add_co_u32 v82, vcc_lo, s8, v3
	v_add_co_ci_u32_e32 v83, vcc_lo, s9, v4, vcc_lo
	v_add_co_u32 v84, vcc_lo, s10, v3
	v_add_co_ci_u32_e32 v85, vcc_lo, s11, v4, vcc_lo
	s_mul_i32 s2, s6, s15
	s_lshl_b64 s[2:3], s[2:3], 2
	s_branch .LBB55_56
.LBB55_53:                              ;   in Loop: Header=BB55_56 Depth=1
	s_or_b32 exec_lo, exec_lo, s9
.LBB55_54:                              ;   in Loop: Header=BB55_56 Depth=1
	s_delay_alu instid0(SALU_CYCLE_1)
	s_or_b32 exec_lo, exec_lo, s8
	v_add_co_u32 v3, vcc_lo, v54, v19
	v_add_co_ci_u32_e32 v4, vcc_lo, v55, v20, vcc_lo
	s_waitcnt vmcnt(1)
	ds_bpermute_b32 v88, v2, v1
	global_load_b32 v6, v[3:4], off
	v_add_co_u32 v3, vcc_lo, v56, v19
	v_add_co_ci_u32_e32 v4, vcc_lo, v57, v20, vcc_lo
	global_load_b32 v7, v[3:4], off
	v_add_co_u32 v3, vcc_lo, v21, v19
	v_add_co_ci_u32_e32 v4, vcc_lo, v22, v20, vcc_lo
	;; [unrolled: 3-line block ×15, first 2 shown]
	global_load_b32 v4, v[3:4], off
	s_waitcnt vmcnt(16)
	ds_bpermute_b32 v3, v2, v5
	s_waitcnt vmcnt(14) lgkmcnt(1)
	v_sub_f32_e32 v7, v7, v88
	s_delay_alu instid0(VALU_DEP_1) | instskip(SKIP_1) | instid1(VALU_DEP_1)
	v_mul_f32_e32 v7, v6, v7
	s_waitcnt lgkmcnt(0)
	v_fmac_f32_e32 v53, v7, v3
	ds_bpermute_b32 v7, v2, v1 offset:4
	v_add_f32_e32 v3, v49, v6
	ds_bpermute_b32 v6, v2, v5 offset:4
	s_waitcnt vmcnt(13)
	v_add_f32_e32 v3, v3, v8
	s_waitcnt vmcnt(11)
	s_delay_alu instid0(VALU_DEP_1) | instskip(SKIP_2) | instid1(VALU_DEP_1)
	v_add_f32_e32 v3, v3, v11
	s_waitcnt lgkmcnt(1)
	v_sub_f32_e32 v7, v9, v7
	v_mul_f32_e32 v7, v8, v7
	s_waitcnt vmcnt(9)
	v_add_f32_e32 v3, v3, v13
	s_waitcnt lgkmcnt(0)
	s_delay_alu instid0(VALU_DEP_2)
	v_fmac_f32_e32 v53, v7, v6
	ds_bpermute_b32 v7, v2, v1 offset:8
	ds_bpermute_b32 v6, v2, v5 offset:8
	s_waitcnt vmcnt(7)
	v_add_f32_e32 v3, v3, v15
	s_waitcnt lgkmcnt(1)
	v_sub_f32_e32 v7, v12, v7
	s_delay_alu instid0(VALU_DEP_1) | instskip(SKIP_3) | instid1(VALU_DEP_2)
	v_mul_f32_e32 v7, v11, v7
	s_waitcnt vmcnt(5)
	v_add_f32_e32 v3, v3, v17
	s_waitcnt lgkmcnt(0)
	v_fmac_f32_e32 v53, v7, v6
	ds_bpermute_b32 v7, v2, v1 offset:12
	ds_bpermute_b32 v6, v2, v5 offset:12
	s_waitcnt vmcnt(3)
	v_add_f32_e32 v3, v3, v86
	s_waitcnt lgkmcnt(1)
	v_sub_f32_e32 v7, v14, v7
	s_delay_alu instid0(VALU_DEP_1) | instskip(SKIP_1) | instid1(VALU_DEP_1)
	v_mul_f32_e32 v7, v13, v7
	s_waitcnt lgkmcnt(0)
	v_fmac_f32_e32 v53, v7, v6
	ds_bpermute_b32 v7, v2, v1 offset:16
	ds_bpermute_b32 v6, v2, v5 offset:16
	s_waitcnt lgkmcnt(1)
	v_sub_f32_e32 v7, v16, v7
	s_delay_alu instid0(VALU_DEP_1) | instskip(SKIP_1) | instid1(VALU_DEP_1)
	v_mul_f32_e32 v7, v15, v7
	s_waitcnt lgkmcnt(0)
	v_fmac_f32_e32 v53, v7, v6
	ds_bpermute_b32 v7, v2, v1 offset:20
	ds_bpermute_b32 v6, v2, v5 offset:20
	;; [unrolled: 8-line block ×3, first 2 shown]
	ds_bpermute_b32 v6, v2, v5 offset:24
	ds_bpermute_b32 v5, v2, v5 offset:28
	s_waitcnt vmcnt(2) lgkmcnt(3)
	v_sub_f32_e32 v7, v87, v7
	s_waitcnt vmcnt(0) lgkmcnt(2)
	v_sub_f32_e32 v1, v4, v1
	s_delay_alu instid0(VALU_DEP_2) | instskip(NEXT) | instid1(VALU_DEP_2)
	v_mul_f32_e32 v7, v86, v7
	v_mul_f32_e32 v1, v10, v1
	s_waitcnt lgkmcnt(0)
	s_delay_alu instid0(VALU_DEP_1) | instskip(NEXT) | instid1(VALU_DEP_1)
	v_dual_fmac_f32 v53, v7, v6 :: v_dual_mul_f32 v4, v1, v5
	v_mov_b32_e32 v1, v53
.LBB55_55:                              ;   in Loop: Header=BB55_56 Depth=1
	v_add_co_u32 v21, vcc_lo, v21, s2
	v_add_co_ci_u32_e32 v22, vcc_lo, s3, v22, vcc_lo
	v_add_co_u32 v23, vcc_lo, v23, s2
	v_add_co_ci_u32_e32 v24, vcc_lo, s3, v24, vcc_lo
	;; [unrolled: 2-line block ×27, first 2 shown]
	v_add_co_u32 v80, vcc_lo, v80, s2
	s_add_u32 s12, s12, s15
	v_add_co_ci_u32_e32 v81, vcc_lo, s3, v81, vcc_lo
	s_addc_u32 s13, s13, 0
	v_add_co_u32 v82, vcc_lo, v82, s2
	v_cmp_ge_i64_e64 s8, s[12:13], s[4:5]
	v_add_co_ci_u32_e32 v83, vcc_lo, s3, v83, vcc_lo
	v_add_co_u32 v84, vcc_lo, v84, s2
	v_add_f32_e32 v53, v1, v4
	v_add_f32_e32 v49, v3, v10
	v_add_co_ci_u32_e32 v85, vcc_lo, s3, v85, vcc_lo
	s_add_u32 s30, s30, s15
	s_addc_u32 s31, s31, 0
	s_and_b32 vcc_lo, exec_lo, s8
	s_cbranch_vccnz .LBB55_82
.LBB55_56:                              ; =>This Inner Loop Header: Depth=1
	v_cmp_ge_i64_e64 s8, s[30:31], s[4:5]
	v_add_co_u32 v86, s9, v52, s30
	s_delay_alu instid0(VALU_DEP_1) | instskip(NEXT) | instid1(VALU_DEP_3)
	v_add_co_ci_u32_e64 v87, null, 0, s31, s9
	s_and_b32 vcc_lo, exec_lo, s8
	s_cbranch_vccz .LBB55_78
; %bb.57:                               ;   in Loop: Header=BB55_56 Depth=1
	s_load_b32 s8, s[28:29], 0xc
	v_dual_mov_b32 v89, 0 :: v_dual_mov_b32 v88, 0
	s_waitcnt lgkmcnt(0)
	s_and_b32 s8, s8, 0xffff
	s_delay_alu instid0(SALU_CYCLE_1) | instskip(SKIP_1) | instid1(VALU_DEP_1)
	v_mad_u32_u24 v1, v51, s8, v50
	s_mov_b32 s8, exec_lo
	v_and_b32_e32 v1, 31, v1
	s_delay_alu instid0(VALU_DEP_1)
	v_cmpx_gt_u32_e32 8, v1
	s_cbranch_execz .LBB55_61
; %bb.58:                               ;   in Loop: Header=BB55_56 Depth=1
	v_add_co_u32 v1, vcc_lo, v86, v1
	v_add_co_ci_u32_e32 v4, vcc_lo, 0, v87, vcc_lo
	v_dual_mov_b32 v88, 0 :: v_dual_mov_b32 v89, 0
	s_delay_alu instid0(VALU_DEP_3) | instskip(NEXT) | instid1(VALU_DEP_3)
	v_add_co_u32 v3, vcc_lo, 0xffffffc1, v1
	v_add_co_ci_u32_e32 v4, vcc_lo, -1, v4, vcc_lo
	s_mov_b32 s9, exec_lo
	s_delay_alu instid0(VALU_DEP_1)
	v_cmpx_gt_i64_e64 s[4:5], v[3:4]
	s_cbranch_execz .LBB55_60
; %bb.59:                               ;   in Loop: Header=BB55_56 Depth=1
	v_lshlrev_b64 v[3:4], 2, v[3:4]
	s_delay_alu instid0(VALU_DEP_1) | instskip(NEXT) | instid1(VALU_DEP_2)
	v_add_co_u32 v5, vcc_lo, s24, v3
	v_add_co_ci_u32_e32 v6, vcc_lo, s25, v4, vcc_lo
	v_add_co_u32 v3, vcc_lo, s26, v3
	v_add_co_ci_u32_e32 v4, vcc_lo, s27, v4, vcc_lo
	global_load_b32 v88, v[5:6], off
	global_load_b32 v89, v[3:4], off
.LBB55_60:                              ;   in Loop: Header=BB55_56 Depth=1
	s_or_b32 exec_lo, exec_lo, s9
.LBB55_61:                              ;   in Loop: Header=BB55_56 Depth=1
	s_delay_alu instid0(SALU_CYCLE_1)
	s_or_b32 exec_lo, exec_lo, s8
	v_add_co_u32 v3, vcc_lo, 0xffffffc1, v86
	s_mov_b32 s17, s16
	s_mov_b32 s18, s16
	s_mov_b32 s19, s16
	s_mov_b32 s20, s16
	s_mov_b32 s21, s16
	s_mov_b32 s22, s16
	s_mov_b32 s23, s16
	v_add_co_ci_u32_e32 v4, vcc_lo, -1, v87, vcc_lo
	v_dual_mov_b32 v11, s16 :: v_dual_mov_b32 v12, s17
	v_dual_mov_b32 v13, s18 :: v_dual_mov_b32 v14, s19
	;; [unrolled: 1-line block ×4, first 2 shown]
	v_cmp_gt_i64_e32 vcc_lo, s[4:5], v[3:4]
	v_dual_mov_b32 v3, v11 :: v_dual_mov_b32 v4, v12
	v_dual_mov_b32 v5, v13 :: v_dual_mov_b32 v6, v14
	;; [unrolled: 1-line block ×4, first 2 shown]
	s_and_saveexec_b32 s8, vcc_lo
	s_cbranch_execz .LBB55_63
; %bb.62:                               ;   in Loop: Header=BB55_56 Depth=1
	v_add_co_u32 v3, vcc_lo, v54, v19
	v_add_co_ci_u32_e32 v4, vcc_lo, v55, v20, vcc_lo
	v_mov_b32_e32 v8, v2
	v_mov_b32_e32 v5, v2
	;; [unrolled: 1-line block ×3, first 2 shown]
	global_load_b32 v1, v[3:4], off
	v_add_co_u32 v3, vcc_lo, v56, v19
	v_add_co_ci_u32_e32 v4, vcc_lo, v57, v20, vcc_lo
	v_mov_b32_e32 v7, v2
	v_mov_b32_e32 v17, v2
	global_load_b32 v11, v[3:4], off
	v_mov_b32_e32 v3, v2
	v_mov_b32_e32 v4, v2
	s_waitcnt vmcnt(1)
	v_dual_mov_b32 v13, v2 :: v_dual_mov_b32 v10, v8
	v_dual_mov_b32 v12, v2 :: v_dual_mov_b32 v9, v7
	v_mov_b32_e32 v8, v6
	v_dual_mov_b32 v14, v2 :: v_dual_mov_b32 v7, v5
	v_dual_mov_b32 v15, v2 :: v_dual_mov_b32 v6, v4
	;; [unrolled: 1-line block ×3, first 2 shown]
	v_mov_b32_e32 v4, v2
	v_dual_mov_b32 v18, v2 :: v_dual_mov_b32 v3, v1
.LBB55_63:                              ;   in Loop: Header=BB55_56 Depth=1
	s_or_b32 exec_lo, exec_lo, s8
	v_add_co_u32 v90, vcc_lo, 0xffffffc2, v86
	v_add_co_ci_u32_e32 v91, vcc_lo, -1, v87, vcc_lo
	s_mov_b32 s8, exec_lo
	s_delay_alu instid0(VALU_DEP_1)
	v_cmpx_gt_i64_e64 s[4:5], v[90:91]
	s_cbranch_execz .LBB55_65
; %bb.64:                               ;   in Loop: Header=BB55_56 Depth=1
	v_add_co_u32 v90, vcc_lo, v82, v19
	v_add_co_ci_u32_e32 v91, vcc_lo, v83, v20, vcc_lo
	v_add_co_u32 v92, vcc_lo, v84, v19
	v_add_co_ci_u32_e32 v93, vcc_lo, v85, v20, vcc_lo
	global_load_b32 v4, v[90:91], off
	global_load_b32 v12, v[92:93], off
.LBB55_65:                              ;   in Loop: Header=BB55_56 Depth=1
	s_or_b32 exec_lo, exec_lo, s8
	v_add_co_u32 v90, vcc_lo, 0xffffffc3, v86
	v_add_co_ci_u32_e32 v91, vcc_lo, -1, v87, vcc_lo
	s_mov_b32 s8, exec_lo
	s_delay_alu instid0(VALU_DEP_1)
	v_cmpx_gt_i64_e64 s[4:5], v[90:91]
	s_cbranch_execz .LBB55_67
; %bb.66:                               ;   in Loop: Header=BB55_56 Depth=1
	v_add_co_u32 v90, vcc_lo, v78, v19
	v_add_co_ci_u32_e32 v91, vcc_lo, v79, v20, vcc_lo
	v_add_co_u32 v92, vcc_lo, v80, v19
	v_add_co_ci_u32_e32 v93, vcc_lo, v81, v20, vcc_lo
	global_load_b32 v5, v[90:91], off
	global_load_b32 v13, v[92:93], off
.LBB55_67:                              ;   in Loop: Header=BB55_56 Depth=1
	;; [unrolled: 15-line block ×7, first 2 shown]
	s_or_b32 exec_lo, exec_lo, s8
	s_waitcnt vmcnt(1)
	ds_bpermute_b32 v90, v2, v88
	s_waitcnt vmcnt(0)
	ds_bpermute_b32 v1, v2, v89
	s_waitcnt lgkmcnt(1)
	v_sub_f32_e32 v11, v11, v90
	ds_bpermute_b32 v90, v2, v88 offset:4
	s_waitcnt lgkmcnt(0)
	v_sub_f32_e32 v12, v12, v90
	s_delay_alu instid0(VALU_DEP_1) | instskip(SKIP_1) | instid1(VALU_DEP_2)
	v_dual_mul_f32 v12, v4, v12 :: v_dual_mul_f32 v11, v3, v11
	v_add_f32_e32 v3, v49, v3
	v_fma_f32 v1, v11, v1, v53
	ds_bpermute_b32 v11, v2, v89 offset:4
	v_add_f32_e32 v3, v4, v3
	ds_bpermute_b32 v4, v2, v89 offset:8
	v_add_f32_e32 v3, v5, v3
	s_delay_alu instid0(VALU_DEP_1) | instskip(NEXT) | instid1(VALU_DEP_1)
	v_add_f32_e32 v3, v6, v3
	v_add_f32_e32 v3, v7, v3
	s_waitcnt lgkmcnt(1)
	v_fmac_f32_e32 v1, v12, v11
	ds_bpermute_b32 v11, v2, v88 offset:8
	v_add_f32_e32 v3, v8, v3
	s_delay_alu instid0(VALU_DEP_1) | instskip(SKIP_2) | instid1(VALU_DEP_1)
	v_add_f32_e32 v3, v9, v3
	s_waitcnt lgkmcnt(0)
	v_sub_f32_e32 v11, v13, v11
	v_mul_f32_e32 v11, v5, v11
	ds_bpermute_b32 v5, v2, v88 offset:12
	v_fmac_f32_e32 v1, v11, v4
	ds_bpermute_b32 v4, v2, v89 offset:12
	s_waitcnt lgkmcnt(1)
	v_sub_f32_e32 v5, v14, v5
	s_delay_alu instid0(VALU_DEP_1) | instskip(SKIP_1) | instid1(VALU_DEP_1)
	v_mul_f32_e32 v5, v6, v5
	s_waitcnt lgkmcnt(0)
	v_fmac_f32_e32 v1, v5, v4
	ds_bpermute_b32 v5, v2, v88 offset:16
	ds_bpermute_b32 v4, v2, v89 offset:16
	s_waitcnt lgkmcnt(1)
	v_sub_f32_e32 v5, v15, v5
	s_delay_alu instid0(VALU_DEP_1) | instskip(SKIP_1) | instid1(VALU_DEP_1)
	v_mul_f32_e32 v5, v7, v5
	s_waitcnt lgkmcnt(0)
	v_fmac_f32_e32 v1, v5, v4
	ds_bpermute_b32 v5, v2, v88 offset:20
	;; [unrolled: 8-line block ×4, first 2 shown]
	ds_bpermute_b32 v4, v2, v89 offset:28
	s_waitcnt lgkmcnt(1)
	v_sub_f32_e32 v5, v18, v5
	s_delay_alu instid0(VALU_DEP_1) | instskip(SKIP_1) | instid1(VALU_DEP_1)
	v_mul_f32_e32 v5, v10, v5
	s_waitcnt lgkmcnt(0)
	v_mul_f32_e32 v4, v5, v4
	s_branch .LBB55_55
.LBB55_78:                              ;   in Loop: Header=BB55_56 Depth=1
                                        ; implicit-def: $vgpr10
                                        ; implicit-def: $vgpr4
                                        ; implicit-def: $vgpr3
                                        ; implicit-def: $vgpr1
	s_cbranch_execz .LBB55_55
; %bb.79:                               ;   in Loop: Header=BB55_56 Depth=1
	s_load_b32 s8, s[28:29], 0x0
	v_mov_b32_e32 v5, 0
	s_waitcnt lgkmcnt(0)
	s_cmp_lt_u32 s14, s8
	s_cselect_b32 s8, 12, 18
	s_delay_alu instid0(SALU_CYCLE_1)
	s_add_u32 s8, s28, s8
	s_addc_u32 s9, s29, 0
	global_load_u16 v1, v2, s[8:9]
	s_mov_b32 s8, exec_lo
	s_waitcnt vmcnt(0)
	v_mad_u32_u24 v1, v51, v1, v50
	s_delay_alu instid0(VALU_DEP_1) | instskip(SKIP_1) | instid1(VALU_DEP_2)
	v_and_b32_e32 v3, 31, v1
	v_mov_b32_e32 v1, 0
	v_cmpx_gt_u32_e32 8, v3
	s_cbranch_execz .LBB55_54
; %bb.80:                               ;   in Loop: Header=BB55_56 Depth=1
	v_add_co_u32 v1, vcc_lo, v86, v3
	v_add_co_ci_u32_e32 v4, vcc_lo, 0, v87, vcc_lo
	v_mov_b32_e32 v5, 0
	s_delay_alu instid0(VALU_DEP_3) | instskip(NEXT) | instid1(VALU_DEP_3)
	v_add_co_u32 v3, vcc_lo, 0xffffffc1, v1
	v_add_co_ci_u32_e32 v4, vcc_lo, -1, v4, vcc_lo
	v_mov_b32_e32 v1, 0
	s_mov_b32 s9, exec_lo
	s_delay_alu instid0(VALU_DEP_2)
	v_cmpx_gt_i64_e64 s[4:5], v[3:4]
	s_cbranch_execz .LBB55_53
; %bb.81:                               ;   in Loop: Header=BB55_56 Depth=1
	v_lshlrev_b64 v[3:4], 2, v[3:4]
	s_delay_alu instid0(VALU_DEP_1) | instskip(NEXT) | instid1(VALU_DEP_2)
	v_add_co_u32 v5, vcc_lo, s24, v3
	v_add_co_ci_u32_e32 v6, vcc_lo, s25, v4, vcc_lo
	v_add_co_u32 v3, vcc_lo, s26, v3
	v_add_co_ci_u32_e32 v4, vcc_lo, s27, v4, vcc_lo
	global_load_b32 v1, v[5:6], off
	global_load_b32 v5, v[3:4], off
	s_branch .LBB55_53
.LBB55_82:
	v_and_b32_e32 v1, 0x3ff, v0
	v_bfe_u32 v0, v0, 10, 10
	s_mov_b32 s15, 0
	s_mov_b32 s2, exec_lo
	s_delay_alu instid0(VALU_DEP_1) | instskip(NEXT) | instid1(VALU_DEP_1)
	v_mad_u32_u24 v2, 0x41, v0, v1
	v_sub_nc_u32_e32 v0, v2, v0
	v_lshl_add_u32 v2, v2, 2, 0
	ds_store_b32 v2, v53
	ds_store_b32 v2, v49 offset:2080
	s_waitcnt lgkmcnt(0)
	s_barrier
	buffer_gl0_inv
	v_cmpx_gt_u32_e32 0x800, v0
	s_cbranch_execz .LBB55_92
; %bb.83:
	s_load_b128 s[8:11], s[0:1], 0x30
	v_lshrrev_b32_e32 v4, 5, v0
	v_mbcnt_lo_u32_b32 v0, -1, 0
	v_dual_mov_b32 v5, 0 :: v_dual_and_b32 v2, 31, v1
	v_cmp_eq_u32_e64 s0, 0, v1
	s_lshl_b64 s[4:5], s[14:15], 6
	s_delay_alu instid0(VALU_DEP_3)
	v_xor_b32_e32 v1, 4, v0
	v_xor_b32_e32 v3, 2, v0
	;; [unrolled: 1-line block ×3, first 2 shown]
	v_mad_u32_u24 v10, 0x41, v2, v4
	v_cmp_gt_u32_e64 s1, 8, v2
	v_cmp_gt_i32_e32 vcc_lo, 32, v1
	v_lshlrev_b32_e32 v8, 2, v4
                                        ; implicit-def: $vgpr11
	v_cndmask_b32_e32 v1, v0, v1, vcc_lo
	v_cmp_gt_i32_e32 vcc_lo, 32, v3
	s_waitcnt lgkmcnt(0)
	s_cmp_lg_u64 s[8:9], 0
	s_cselect_b32 s3, -1, 0
	v_cndmask_b32_e32 v3, v0, v3, vcc_lo
	v_cmp_gt_i32_e32 vcc_lo, 32, v6
	s_cmp_lg_u64 s[10:11], 0
	s_cselect_b32 s12, -1, 0
	s_lshl_b64 s[16:17], s[14:15], 8
	v_cndmask_b32_e32 v0, v0, v6, vcc_lo
	v_lshlrev_b32_e32 v6, 2, v1
	v_lshlrev_b32_e32 v7, 2, v3
	v_add_co_u32 v3, s2, s16, v8
	s_delay_alu instid0(VALU_DEP_1) | instskip(SKIP_1) | instid1(VALU_DEP_3)
	v_add_co_ci_u32_e64 v9, null, s17, 0, s2
	v_lshlrev_b32_e32 v8, 2, v0
	v_add_co_u32 v0, vcc_lo, s10, v3
	s_delay_alu instid0(VALU_DEP_3)
	v_add_co_ci_u32_e32 v1, vcc_lo, s11, v9, vcc_lo
	v_add_co_u32 v2, vcc_lo, s8, v3
	v_add_co_ci_u32_e32 v3, vcc_lo, s9, v9, vcc_lo
	v_lshl_add_u32 v9, v10, 2, 0
                                        ; implicit-def: $vgpr10
	s_branch .LBB55_85
.LBB55_84:                              ;   in Loop: Header=BB55_85 Depth=1
	s_or_b32 exec_lo, exec_lo, s2
	v_add_co_u32 v4, vcc_lo, v4, 16
	v_add_co_ci_u32_e32 v5, vcc_lo, 0, v5, vcc_lo
	v_add_co_u32 v0, vcc_lo, v0, 64
	s_delay_alu instid0(VALU_DEP_3) | instskip(SKIP_2) | instid1(VALU_DEP_3)
	v_add_nc_u32_e32 v12, -16, v4
	v_add_co_ci_u32_e32 v1, vcc_lo, 0, v1, vcc_lo
	v_add_co_u32 v2, s2, v2, 64
	v_cmp_lt_u32_e32 vcc_lo, 47, v12
	v_add_co_ci_u32_e64 v3, s2, 0, v3, s2
	v_add_nc_u32_e32 v9, 64, v9
	s_or_b32 s15, vcc_lo, s15
	s_delay_alu instid0(SALU_CYCLE_1)
	s_and_not1_b32 exec_lo, exec_lo, s15
	s_cbranch_execz .LBB55_92
.LBB55_85:                              ; =>This Inner Loop Header: Depth=1
	s_and_saveexec_b32 s2, s1
	s_cbranch_execz .LBB55_87
; %bb.86:                               ;   in Loop: Header=BB55_85 Depth=1
	ds_load_b32 v10, v9
	ds_load_b32 v11, v9 offset:2080
.LBB55_87:                              ;   in Loop: Header=BB55_85 Depth=1
	s_or_b32 exec_lo, exec_lo, s2
	s_waitcnt lgkmcnt(1)
	ds_bpermute_b32 v12, v6, v10
	s_waitcnt lgkmcnt(1)
	ds_bpermute_b32 v13, v6, v11
	s_waitcnt lgkmcnt(0)
	v_dual_add_f32 v10, v10, v12 :: v_dual_add_f32 v11, v11, v13
	ds_bpermute_b32 v12, v7, v10
	ds_bpermute_b32 v13, v7, v11
	s_waitcnt lgkmcnt(0)
	v_dual_add_f32 v12, v10, v12 :: v_dual_add_f32 v13, v11, v13
	v_add_co_u32 v10, vcc_lo, s4, v4
	v_add_co_ci_u32_e32 v11, vcc_lo, s5, v5, vcc_lo
	ds_bpermute_b32 v14, v8, v12
	ds_bpermute_b32 v15, v8, v13
	v_cmp_gt_i64_e32 vcc_lo, s[6:7], v[10:11]
	s_and_b32 s8, s0, vcc_lo
	s_waitcnt lgkmcnt(0)
	v_dual_add_f32 v10, v12, v14 :: v_dual_add_f32 v11, v13, v15
	s_and_saveexec_b32 s2, s8
	s_cbranch_execz .LBB55_84
; %bb.88:                               ;   in Loop: Header=BB55_85 Depth=1
	s_and_not1_b32 vcc_lo, exec_lo, s3
	s_cbranch_vccnz .LBB55_90
; %bb.89:                               ;   in Loop: Header=BB55_85 Depth=1
	global_store_b32 v[2:3], v10, off
.LBB55_90:                              ;   in Loop: Header=BB55_85 Depth=1
	s_and_not1_b32 vcc_lo, exec_lo, s12
	s_cbranch_vccnz .LBB55_84
; %bb.91:                               ;   in Loop: Header=BB55_85 Depth=1
	global_store_b32 v[0:1], v11, off
	s_branch .LBB55_84
.LBB55_92:
	s_nop 0
	s_sendmsg sendmsg(MSG_DEALLOC_VGPRS)
	s_endpgm
	.section	.rodata,"a",@progbits
	.p2align	6, 0x0
	.amdhsa_kernel _ZN2at6native12_GLOBAL__N_135GammaBetaBackwardCUDAKernelTemplateIffLj64ELj8ELj64ELb0ELb0ELb0EEEvllPKT_S5_PKT0_S8_PS3_S9_
		.amdhsa_group_segment_fixed_size 0
		.amdhsa_private_segment_fixed_size 0
		.amdhsa_kernarg_size 320
		.amdhsa_user_sgpr_count 14
		.amdhsa_user_sgpr_dispatch_ptr 0
		.amdhsa_user_sgpr_queue_ptr 0
		.amdhsa_user_sgpr_kernarg_segment_ptr 1
		.amdhsa_user_sgpr_dispatch_id 0
		.amdhsa_user_sgpr_private_segment_size 0
		.amdhsa_wavefront_size32 1
		.amdhsa_uses_dynamic_stack 0
		.amdhsa_enable_private_segment 0
		.amdhsa_system_sgpr_workgroup_id_x 1
		.amdhsa_system_sgpr_workgroup_id_y 1
		.amdhsa_system_sgpr_workgroup_id_z 0
		.amdhsa_system_sgpr_workgroup_info 0
		.amdhsa_system_vgpr_workitem_id 1
		.amdhsa_next_free_vgpr 94
		.amdhsa_next_free_sgpr 40
		.amdhsa_reserve_vcc 1
		.amdhsa_float_round_mode_32 0
		.amdhsa_float_round_mode_16_64 0
		.amdhsa_float_denorm_mode_32 3
		.amdhsa_float_denorm_mode_16_64 3
		.amdhsa_dx10_clamp 1
		.amdhsa_ieee_mode 1
		.amdhsa_fp16_overflow 0
		.amdhsa_workgroup_processor_mode 1
		.amdhsa_memory_ordered 1
		.amdhsa_forward_progress 0
		.amdhsa_shared_vgpr_count 0
		.amdhsa_exception_fp_ieee_invalid_op 0
		.amdhsa_exception_fp_denorm_src 0
		.amdhsa_exception_fp_ieee_div_zero 0
		.amdhsa_exception_fp_ieee_overflow 0
		.amdhsa_exception_fp_ieee_underflow 0
		.amdhsa_exception_fp_ieee_inexact 0
		.amdhsa_exception_int_div_zero 0
	.end_amdhsa_kernel
	.section	.text._ZN2at6native12_GLOBAL__N_135GammaBetaBackwardCUDAKernelTemplateIffLj64ELj8ELj64ELb0ELb0ELb0EEEvllPKT_S5_PKT0_S8_PS3_S9_,"axG",@progbits,_ZN2at6native12_GLOBAL__N_135GammaBetaBackwardCUDAKernelTemplateIffLj64ELj8ELj64ELb0ELb0ELb0EEEvllPKT_S5_PKT0_S8_PS3_S9_,comdat
.Lfunc_end55:
	.size	_ZN2at6native12_GLOBAL__N_135GammaBetaBackwardCUDAKernelTemplateIffLj64ELj8ELj64ELb0ELb0ELb0EEEvllPKT_S5_PKT0_S8_PS3_S9_, .Lfunc_end55-_ZN2at6native12_GLOBAL__N_135GammaBetaBackwardCUDAKernelTemplateIffLj64ELj8ELj64ELb0ELb0ELb0EEEvllPKT_S5_PKT0_S8_PS3_S9_
                                        ; -- End function
	.section	.AMDGPU.csdata,"",@progbits
; Kernel info:
; codeLenInByte = 8164
; NumSgprs: 42
; NumVgprs: 94
; ScratchSize: 0
; MemoryBound: 0
; FloatMode: 240
; IeeeMode: 1
; LDSByteSize: 0 bytes/workgroup (compile time only)
; SGPRBlocks: 5
; VGPRBlocks: 11
; NumSGPRsForWavesPerEU: 42
; NumVGPRsForWavesPerEU: 94
; Occupancy: 16
; WaveLimiterHint : 0
; COMPUTE_PGM_RSRC2:SCRATCH_EN: 0
; COMPUTE_PGM_RSRC2:USER_SGPR: 14
; COMPUTE_PGM_RSRC2:TRAP_HANDLER: 0
; COMPUTE_PGM_RSRC2:TGID_X_EN: 1
; COMPUTE_PGM_RSRC2:TGID_Y_EN: 1
; COMPUTE_PGM_RSRC2:TGID_Z_EN: 0
; COMPUTE_PGM_RSRC2:TIDIG_COMP_CNT: 1
	.section	.text._ZN2at6native12_GLOBAL__N_135GammaBetaBackwardCUDAKernelTemplateIffLj64ELj16ELj128ELb0ELb1ELb0EEEvllPKT_S5_PKT0_S8_PS3_S9_,"axG",@progbits,_ZN2at6native12_GLOBAL__N_135GammaBetaBackwardCUDAKernelTemplateIffLj64ELj16ELj128ELb0ELb1ELb0EEEvllPKT_S5_PKT0_S8_PS3_S9_,comdat
	.globl	_ZN2at6native12_GLOBAL__N_135GammaBetaBackwardCUDAKernelTemplateIffLj64ELj16ELj128ELb0ELb1ELb0EEEvllPKT_S5_PKT0_S8_PS3_S9_ ; -- Begin function _ZN2at6native12_GLOBAL__N_135GammaBetaBackwardCUDAKernelTemplateIffLj64ELj16ELj128ELb0ELb1ELb0EEEvllPKT_S5_PKT0_S8_PS3_S9_
	.p2align	8
	.type	_ZN2at6native12_GLOBAL__N_135GammaBetaBackwardCUDAKernelTemplateIffLj64ELj16ELj128ELb0ELb1ELb0EEEvllPKT_S5_PKT0_S8_PS3_S9_,@function
_ZN2at6native12_GLOBAL__N_135GammaBetaBackwardCUDAKernelTemplateIffLj64ELj16ELj128ELb0ELb1ELb0EEEvllPKT_S5_PKT0_S8_PS3_S9_: ; @_ZN2at6native12_GLOBAL__N_135GammaBetaBackwardCUDAKernelTemplateIffLj64ELj16ELj128ELb0ELb1ELb0EEEvllPKT_S5_PKT0_S8_PS3_S9_
; %bb.0:
	s_load_b128 s[20:23], s[0:1], 0x0
	s_mov_b32 s3, 0
	s_lshl_b32 s2, s15, 7
	v_bfe_u32 v7, v0, 10, 10
	s_waitcnt lgkmcnt(0)
	v_cmp_lt_i64_e64 s4, s[2:3], s[20:21]
	s_delay_alu instid0(VALU_DEP_1)
	s_and_b32 vcc_lo, exec_lo, s4
	s_cbranch_vccnz .LBB56_2
; %bb.1:
	v_bfe_u32 v1, v0, 10, 10
	s_mov_b32 s5, 0
	s_mov_b32 s4, s3
	s_branch .LBB56_3
.LBB56_2:
	s_mov_b32 s4, -1
                                        ; implicit-def: $sgpr5
                                        ; implicit-def: $vgpr1
.LBB56_3:
	s_load_b128 s[16:19], s[0:1], 0x30
	v_dual_mov_b32 v17, s5 :: v_dual_and_b32 v6, 0x3ff, v0
	v_mov_b32_e32 v0, s5
	s_and_not1_b32 vcc_lo, exec_lo, s4
	s_cbranch_vccnz .LBB56_11
; %bb.4:
	s_clause 0x2
	s_load_b32 s12, s[0:1], 0x4c
	s_load_b32 s15, s[0:1], 0x44
	s_load_b256 s[4:11], s[0:1], 0x10
	v_dual_mov_b32 v1, 0 :: v_dual_lshlrev_b32 v0, 3, v7
	v_dual_mov_b32 v8, 8 :: v_dual_mov_b32 v9, 4
	v_dual_mov_b32 v10, 12 :: v_dual_mov_b32 v11, 16
	s_delay_alu instid0(VALU_DEP_3) | instskip(NEXT) | instid1(VALU_DEP_1)
	v_add_co_u32 v2, s0, v0, s2
	v_add_co_ci_u32_e64 v3, null, 0, 0, s0
	v_lshl_add_u32 v0, s14, 6, v6
	s_delay_alu instid0(VALU_DEP_3) | instskip(SKIP_1) | instid1(VALU_DEP_4)
	v_mul_lo_u32 v17, s23, v2
	v_mad_u64_u32 v[4:5], null, s22, v2, 0
	v_mul_lo_u32 v18, s22, v3
	v_dual_mov_b32 v12, 20 :: v_dual_mov_b32 v13, 24
	s_waitcnt lgkmcnt(0)
	s_and_b32 s0, s12, 0xffff
	s_lshl_b32 s12, s15, 7
	v_mad_u32_u24 v15, v7, s0, v6
	v_mov_b32_e32 v14, 28
	s_mul_i32 s1, s23, s12
	v_add3_u32 v5, v5, v18, v17
	s_mul_hi_u32 s15, s22, s12
	v_and_b32_e32 v19, 31, v15
	v_lshlrev_b64 v[15:16], 2, v[0:1]
	v_mov_b32_e32 v0, 0
	v_lshlrev_b64 v[17:18], 2, v[4:5]
	s_mov_b32 s13, 0
	v_add_co_u32 v2, vcc_lo, v2, v19
	v_add_co_ci_u32_e32 v3, vcc_lo, 0, v3, vcc_lo
	s_delay_alu instid0(VALU_DEP_3) | instskip(SKIP_1) | instid1(VALU_DEP_3)
	v_add_co_u32 v15, vcc_lo, v17, v15
	v_mov_b32_e32 v17, 0
	v_lshlrev_b64 v[4:5], 2, v[2:3]
	v_cmp_gt_u32_e64 s0, 8, v19
	v_add_co_ci_u32_e32 v16, vcc_lo, v18, v16, vcc_lo
	s_add_i32 s27, s15, s1
	s_mul_i32 s26, s22, s12
	s_lshl_b64 s[24:25], s[12:13], 2
	s_lshl_b64 s[26:27], s[26:27], 2
	;; [unrolled: 1-line block ×3, first 2 shown]
	s_branch .LBB56_7
.LBB56_5:                               ;   in Loop: Header=BB56_7 Depth=1
	s_or_b32 exec_lo, exec_lo, s13
.LBB56_6:                               ;   in Loop: Header=BB56_7 Depth=1
	s_delay_alu instid0(SALU_CYCLE_1)
	s_or_b32 exec_lo, exec_lo, s1
	v_add_co_u32 v20, vcc_lo, s4, v15
	v_add_co_ci_u32_e32 v21, vcc_lo, s5, v16, vcc_lo
	v_add_co_u32 v22, vcc_lo, s6, v15
	v_add_co_ci_u32_e32 v23, vcc_lo, s7, v16, vcc_lo
	global_load_b32 v30, v[20:21], off
	v_add_co_u32 v20, vcc_lo, v20, s22
	v_add_co_ci_u32_e32 v21, vcc_lo, s23, v21, vcc_lo
	v_add_co_u32 v24, vcc_lo, v22, s22
	v_add_co_ci_u32_e32 v25, vcc_lo, s23, v23, vcc_lo
	s_delay_alu instid0(VALU_DEP_4) | instskip(NEXT) | instid1(VALU_DEP_4)
	v_add_co_u32 v26, vcc_lo, v20, s22
	v_add_co_ci_u32_e32 v27, vcc_lo, s23, v21, vcc_lo
	s_delay_alu instid0(VALU_DEP_4) | instskip(NEXT) | instid1(VALU_DEP_4)
	v_add_co_u32 v28, vcc_lo, v24, s22
	v_add_co_ci_u32_e32 v29, vcc_lo, s23, v25, vcc_lo
	global_load_b32 v31, v[22:23], off
	global_load_b32 v32, v[20:21], off
	;; [unrolled: 1-line block ×5, first 2 shown]
	v_add_co_u32 v20, vcc_lo, v28, s22
	v_add_co_ci_u32_e32 v21, vcc_lo, s23, v29, vcc_lo
	v_add_co_u32 v22, vcc_lo, v26, s22
	v_add_co_ci_u32_e32 v23, vcc_lo, s23, v27, vcc_lo
	global_load_b32 v36, v[20:21], off
	v_add_co_u32 v24, vcc_lo, v22, s22
	v_add_co_ci_u32_e32 v25, vcc_lo, s23, v23, vcc_lo
	v_add_co_u32 v20, vcc_lo, v20, s22
	v_add_co_ci_u32_e32 v21, vcc_lo, s23, v21, vcc_lo
	s_delay_alu instid0(VALU_DEP_4) | instskip(NEXT) | instid1(VALU_DEP_4)
	v_add_co_u32 v26, vcc_lo, v24, s22
	v_add_co_ci_u32_e32 v27, vcc_lo, s23, v25, vcc_lo
	s_delay_alu instid0(VALU_DEP_4) | instskip(NEXT) | instid1(VALU_DEP_4)
	v_add_co_u32 v28, vcc_lo, v20, s22
	v_add_co_ci_u32_e32 v29, vcc_lo, s23, v21, vcc_lo
	s_clause 0x1
	global_load_b32 v37, v[22:23], off
	global_load_b32 v24, v[24:25], off
	global_load_b32 v25, v[20:21], off
	global_load_b32 v38, v[26:27], off
	global_load_b32 v39, v[28:29], off
	v_add_co_u32 v20, vcc_lo, v28, s22
	v_add_co_ci_u32_e32 v21, vcc_lo, s23, v29, vcc_lo
	v_add_co_u32 v22, vcc_lo, v26, s22
	v_add_co_ci_u32_e32 v23, vcc_lo, s23, v27, vcc_lo
	global_load_b32 v26, v[20:21], off
	v_add_co_u32 v20, vcc_lo, v20, s22
	v_add_co_ci_u32_e32 v21, vcc_lo, s23, v21, vcc_lo
	global_load_b32 v27, v[22:23], off
	global_load_b32 v28, v[20:21], off
	v_add_co_u32 v20, vcc_lo, v22, s22
	v_add_co_ci_u32_e32 v21, vcc_lo, s23, v23, vcc_lo
	s_waitcnt vmcnt(16)
	ds_bpermute_b32 v22, v9, v19
	s_waitcnt vmcnt(15)
	ds_bpermute_b32 v23, v1, v18
	ds_bpermute_b32 v29, v8, v19
	global_load_b32 v20, v[20:21], off
	ds_bpermute_b32 v21, v1, v19
	ds_bpermute_b32 v40, v9, v18
	;; [unrolled: 1-line block ×5, first 2 shown]
	v_add_co_u32 v4, vcc_lo, v4, s24
	s_add_u32 s2, s2, s12
	v_add_co_ci_u32_e32 v5, vcc_lo, s25, v5, vcc_lo
	s_addc_u32 s3, s3, 0
	v_add_co_u32 v2, vcc_lo, v2, s12
	v_add_co_ci_u32_e32 v3, vcc_lo, 0, v3, vcc_lo
	v_cmp_lt_i64_e64 s1, s[2:3], s[20:21]
	v_add_co_u32 v15, vcc_lo, v15, s26
	v_add_co_ci_u32_e32 v16, vcc_lo, s27, v16, vcc_lo
	s_delay_alu instid0(VALU_DEP_3)
	s_and_b32 vcc_lo, exec_lo, s1
	s_waitcnt vmcnt(15)
	v_add_f32_e32 v17, v17, v30
	s_waitcnt vmcnt(14) lgkmcnt(4)
	v_sub_f32_e32 v21, v31, v21
	ds_bpermute_b32 v31, v8, v18
	s_waitcnt vmcnt(12)
	v_sub_f32_e32 v22, v33, v22
	ds_bpermute_b32 v33, v10, v18
	v_mul_f32_e32 v21, v30, v21
	ds_bpermute_b32 v30, v12, v18
	v_dual_fmac_f32 v0, v21, v23 :: v_dual_mul_f32 v21, v32, v22
	s_waitcnt vmcnt(10)
	v_sub_f32_e32 v22, v35, v29
	ds_bpermute_b32 v23, v11, v18
	ds_bpermute_b32 v29, v13, v19
	v_add_f32_e32 v17, v17, v32
	s_waitcnt lgkmcnt(8)
	v_dual_fmac_f32 v0, v21, v40 :: v_dual_mul_f32 v21, v34, v22
	s_waitcnt vmcnt(9) lgkmcnt(7)
	v_sub_f32_e32 v22, v36, v41
	ds_bpermute_b32 v19, v14, v19
	v_add_f32_e32 v17, v17, v34
	s_waitcnt lgkmcnt(5)
	v_fmac_f32_e32 v0, v21, v31
	s_waitcnt vmcnt(8)
	v_mul_f32_e32 v21, v37, v22
	s_waitcnt vmcnt(6)
	v_sub_f32_e32 v22, v25, v42
	ds_bpermute_b32 v25, v13, v18
	ds_bpermute_b32 v18, v14, v18
	s_waitcnt lgkmcnt(6)
	v_dual_fmac_f32 v0, v21, v33 :: v_dual_mul_f32 v21, v24, v22
	s_waitcnt vmcnt(4)
	v_sub_f32_e32 v22, v39, v43
	s_waitcnt lgkmcnt(4)
	s_delay_alu instid0(VALU_DEP_1) | instskip(SKIP_2) | instid1(VALU_DEP_2)
	v_dual_fmac_f32 v0, v21, v23 :: v_dual_mul_f32 v21, v38, v22
	s_waitcnt vmcnt(3) lgkmcnt(3)
	v_sub_f32_e32 v22, v26, v29
	v_fmac_f32_e32 v0, v21, v30
	s_waitcnt vmcnt(2)
	s_delay_alu instid0(VALU_DEP_2) | instskip(SKIP_1) | instid1(VALU_DEP_1)
	v_mul_f32_e32 v21, v27, v22
	s_waitcnt vmcnt(1) lgkmcnt(1)
	v_dual_sub_f32 v19, v28, v19 :: v_dual_fmac_f32 v0, v21, v25
	s_waitcnt vmcnt(0)
	s_delay_alu instid0(VALU_DEP_1) | instskip(SKIP_1) | instid1(VALU_DEP_1)
	v_mul_f32_e32 v19, v20, v19
	s_waitcnt lgkmcnt(0)
	v_dual_add_f32 v17, v17, v37 :: v_dual_fmac_f32 v0, v19, v18
	s_delay_alu instid0(VALU_DEP_1) | instskip(NEXT) | instid1(VALU_DEP_1)
	v_add_f32_e32 v17, v17, v24
	v_add_f32_e32 v17, v17, v38
	s_delay_alu instid0(VALU_DEP_1) | instskip(NEXT) | instid1(VALU_DEP_1)
	v_add_f32_e32 v17, v17, v27
	v_add_f32_e32 v17, v17, v20
	s_cbranch_vccz .LBB56_10
.LBB56_7:                               ; =>This Inner Loop Header: Depth=1
	v_dual_mov_b32 v18, 0 :: v_dual_mov_b32 v19, 0
	s_and_saveexec_b32 s1, s0
	s_cbranch_execz .LBB56_6
; %bb.8:                                ;   in Loop: Header=BB56_7 Depth=1
	v_dual_mov_b32 v19, 0 :: v_dual_mov_b32 v18, 0
	s_mov_b32 s13, exec_lo
	v_cmpx_gt_i64_e64 s[20:21], v[2:3]
	s_cbranch_execz .LBB56_5
; %bb.9:                                ;   in Loop: Header=BB56_7 Depth=1
	v_add_co_u32 v18, vcc_lo, s8, v4
	v_add_co_ci_u32_e32 v19, vcc_lo, s9, v5, vcc_lo
	v_add_co_u32 v20, vcc_lo, s10, v4
	v_add_co_ci_u32_e32 v21, vcc_lo, s11, v5, vcc_lo
	global_load_b32 v19, v[18:19], off
	global_load_b32 v18, v[20:21], off
	s_branch .LBB56_5
.LBB56_10:
	v_mov_b32_e32 v1, v7
.LBB56_11:
	s_delay_alu instid0(VALU_DEP_1) | instskip(SKIP_2) | instid1(VALU_DEP_1)
	v_mad_u32_u24 v2, 0x41, v1, v6
	s_mov_b32 s15, 0
	s_mov_b32 s0, exec_lo
	v_sub_nc_u32_e32 v1, v2, v1
	v_lshl_add_u32 v2, v2, 2, 0
	ds_store_b32 v2, v0
	ds_store_b32 v2, v17 offset:4160
	s_waitcnt lgkmcnt(0)
	s_barrier
	buffer_gl0_inv
	v_cmpx_gt_u32_e32 0x800, v1
	s_cbranch_execz .LBB56_21
; %bb.12:
	v_mbcnt_lo_u32_b32 v0, -1, 0
	v_lshrrev_b32_e32 v3, 5, v1
	v_cmp_eq_u32_e64 s1, 0, v6
	s_cmp_lg_u64 s[16:17], 0
	s_cselect_b32 s2, -1, 0
	v_xor_b32_e32 v1, 8, v0
	v_xor_b32_e32 v4, 4, v0
	;; [unrolled: 1-line block ×3, first 2 shown]
	s_cmp_lg_u64 s[18:19], 0
	s_delay_alu instid0(VALU_DEP_3)
	v_cmp_gt_i32_e32 vcc_lo, 32, v1
	v_and_b32_e32 v2, 31, v6
	v_xor_b32_e32 v6, 1, v0
	s_cselect_b32 s3, -1, 0
	s_lshl_b64 s[4:5], s[14:15], 8
	v_cndmask_b32_e32 v1, v0, v1, vcc_lo
	v_cmp_gt_i32_e32 vcc_lo, 32, v4
	v_mad_u32_u24 v11, 0x41, v2, v3
	v_cmp_gt_u32_e64 s0, 16, v2
	s_delay_alu instid0(VALU_DEP_4) | instskip(SKIP_2) | instid1(VALU_DEP_3)
	v_dual_cndmask_b32 v7, v0, v4 :: v_dual_lshlrev_b32 v4, 2, v1
	v_cmp_gt_i32_e32 vcc_lo, 32, v5
	v_dual_cndmask_b32 v8, v0, v5 :: v_dual_lshlrev_b32 v1, 2, v3
	v_lshlrev_b32_e32 v5, 2, v7
	v_cmp_gt_i32_e32 vcc_lo, 32, v6
	s_delay_alu instid0(VALU_DEP_3) | instskip(NEXT) | instid1(VALU_DEP_1)
	v_add_co_u32 v9, s4, s4, v1
	v_add_co_ci_u32_e64 v10, null, s5, 0, s4
	v_cndmask_b32_e32 v0, v0, v6, vcc_lo
	v_lshlrev_b32_e32 v6, 2, v8
	v_subrev_nc_u32_e32 v8, 32, v3
	s_delay_alu instid0(VALU_DEP_3)
	v_lshlrev_b32_e32 v7, 2, v0
	v_add_co_u32 v0, vcc_lo, s18, v9
	v_add_co_ci_u32_e32 v1, vcc_lo, s19, v10, vcc_lo
	v_add_co_u32 v2, vcc_lo, s16, v9
	v_add_co_ci_u32_e32 v3, vcc_lo, s17, v10, vcc_lo
	v_lshl_add_u32 v9, v11, 2, 0
                                        ; implicit-def: $vgpr10
                                        ; implicit-def: $vgpr11
	s_branch .LBB56_14
.LBB56_13:                              ;   in Loop: Header=BB56_14 Depth=1
	s_or_b32 exec_lo, exec_lo, s4
	v_add_co_u32 v0, vcc_lo, 0x80, v0
	v_add_co_u32 v8, s4, v8, 32
	v_add_co_ci_u32_e32 v1, vcc_lo, 0, v1, vcc_lo
	v_add_co_u32 v2, vcc_lo, 0x80, v2
	s_xor_b32 s4, s4, -1
	v_add_co_ci_u32_e32 v3, vcc_lo, 0, v3, vcc_lo
	v_add_nc_u32_e32 v9, 0x80, v9
	s_and_b32 s4, exec_lo, s4
	s_delay_alu instid0(SALU_CYCLE_1) | instskip(NEXT) | instid1(SALU_CYCLE_1)
	s_or_b32 s15, s4, s15
	s_and_not1_b32 exec_lo, exec_lo, s15
	s_cbranch_execz .LBB56_21
.LBB56_14:                              ; =>This Inner Loop Header: Depth=1
	s_and_saveexec_b32 s4, s0
	s_cbranch_execz .LBB56_16
; %bb.15:                               ;   in Loop: Header=BB56_14 Depth=1
	ds_load_b32 v10, v9
	ds_load_b32 v11, v9 offset:4160
.LBB56_16:                              ;   in Loop: Header=BB56_14 Depth=1
	s_or_b32 exec_lo, exec_lo, s4
	s_waitcnt lgkmcnt(1)
	ds_bpermute_b32 v12, v4, v10
	s_waitcnt lgkmcnt(1)
	ds_bpermute_b32 v13, v4, v11
	s_waitcnt lgkmcnt(0)
	v_dual_add_f32 v10, v10, v12 :: v_dual_add_f32 v11, v11, v13
	ds_bpermute_b32 v12, v5, v10
	ds_bpermute_b32 v13, v5, v11
	s_waitcnt lgkmcnt(0)
	v_dual_add_f32 v10, v10, v12 :: v_dual_add_f32 v11, v11, v13
	ds_bpermute_b32 v12, v6, v10
	;; [unrolled: 4-line block ×3, first 2 shown]
	ds_bpermute_b32 v13, v7, v11
	s_waitcnt lgkmcnt(0)
	v_dual_add_f32 v10, v10, v12 :: v_dual_add_f32 v11, v11, v13
	s_and_saveexec_b32 s4, s1
	s_cbranch_execz .LBB56_13
; %bb.17:                               ;   in Loop: Header=BB56_14 Depth=1
	s_and_not1_b32 vcc_lo, exec_lo, s2
	s_cbranch_vccnz .LBB56_19
; %bb.18:                               ;   in Loop: Header=BB56_14 Depth=1
	global_store_b32 v[2:3], v10, off
.LBB56_19:                              ;   in Loop: Header=BB56_14 Depth=1
	s_and_not1_b32 vcc_lo, exec_lo, s3
	s_cbranch_vccnz .LBB56_13
; %bb.20:                               ;   in Loop: Header=BB56_14 Depth=1
	global_store_b32 v[0:1], v11, off
	s_branch .LBB56_13
.LBB56_21:
	s_nop 0
	s_sendmsg sendmsg(MSG_DEALLOC_VGPRS)
	s_endpgm
	.section	.rodata,"a",@progbits
	.p2align	6, 0x0
	.amdhsa_kernel _ZN2at6native12_GLOBAL__N_135GammaBetaBackwardCUDAKernelTemplateIffLj64ELj16ELj128ELb0ELb1ELb0EEEvllPKT_S5_PKT0_S8_PS3_S9_
		.amdhsa_group_segment_fixed_size 0
		.amdhsa_private_segment_fixed_size 0
		.amdhsa_kernarg_size 320
		.amdhsa_user_sgpr_count 14
		.amdhsa_user_sgpr_dispatch_ptr 0
		.amdhsa_user_sgpr_queue_ptr 0
		.amdhsa_user_sgpr_kernarg_segment_ptr 1
		.amdhsa_user_sgpr_dispatch_id 0
		.amdhsa_user_sgpr_private_segment_size 0
		.amdhsa_wavefront_size32 1
		.amdhsa_uses_dynamic_stack 0
		.amdhsa_enable_private_segment 0
		.amdhsa_system_sgpr_workgroup_id_x 1
		.amdhsa_system_sgpr_workgroup_id_y 1
		.amdhsa_system_sgpr_workgroup_id_z 0
		.amdhsa_system_sgpr_workgroup_info 0
		.amdhsa_system_vgpr_workitem_id 1
		.amdhsa_next_free_vgpr 44
		.amdhsa_next_free_sgpr 28
		.amdhsa_reserve_vcc 1
		.amdhsa_float_round_mode_32 0
		.amdhsa_float_round_mode_16_64 0
		.amdhsa_float_denorm_mode_32 3
		.amdhsa_float_denorm_mode_16_64 3
		.amdhsa_dx10_clamp 1
		.amdhsa_ieee_mode 1
		.amdhsa_fp16_overflow 0
		.amdhsa_workgroup_processor_mode 1
		.amdhsa_memory_ordered 1
		.amdhsa_forward_progress 0
		.amdhsa_shared_vgpr_count 0
		.amdhsa_exception_fp_ieee_invalid_op 0
		.amdhsa_exception_fp_denorm_src 0
		.amdhsa_exception_fp_ieee_div_zero 0
		.amdhsa_exception_fp_ieee_overflow 0
		.amdhsa_exception_fp_ieee_underflow 0
		.amdhsa_exception_fp_ieee_inexact 0
		.amdhsa_exception_int_div_zero 0
	.end_amdhsa_kernel
	.section	.text._ZN2at6native12_GLOBAL__N_135GammaBetaBackwardCUDAKernelTemplateIffLj64ELj16ELj128ELb0ELb1ELb0EEEvllPKT_S5_PKT0_S8_PS3_S9_,"axG",@progbits,_ZN2at6native12_GLOBAL__N_135GammaBetaBackwardCUDAKernelTemplateIffLj64ELj16ELj128ELb0ELb1ELb0EEEvllPKT_S5_PKT0_S8_PS3_S9_,comdat
.Lfunc_end56:
	.size	_ZN2at6native12_GLOBAL__N_135GammaBetaBackwardCUDAKernelTemplateIffLj64ELj16ELj128ELb0ELb1ELb0EEEvllPKT_S5_PKT0_S8_PS3_S9_, .Lfunc_end56-_ZN2at6native12_GLOBAL__N_135GammaBetaBackwardCUDAKernelTemplateIffLj64ELj16ELj128ELb0ELb1ELb0EEEvllPKT_S5_PKT0_S8_PS3_S9_
                                        ; -- End function
	.section	.AMDGPU.csdata,"",@progbits
; Kernel info:
; codeLenInByte = 1784
; NumSgprs: 30
; NumVgprs: 44
; ScratchSize: 0
; MemoryBound: 0
; FloatMode: 240
; IeeeMode: 1
; LDSByteSize: 0 bytes/workgroup (compile time only)
; SGPRBlocks: 3
; VGPRBlocks: 5
; NumSGPRsForWavesPerEU: 30
; NumVGPRsForWavesPerEU: 44
; Occupancy: 16
; WaveLimiterHint : 0
; COMPUTE_PGM_RSRC2:SCRATCH_EN: 0
; COMPUTE_PGM_RSRC2:USER_SGPR: 14
; COMPUTE_PGM_RSRC2:TRAP_HANDLER: 0
; COMPUTE_PGM_RSRC2:TGID_X_EN: 1
; COMPUTE_PGM_RSRC2:TGID_Y_EN: 1
; COMPUTE_PGM_RSRC2:TGID_Z_EN: 0
; COMPUTE_PGM_RSRC2:TIDIG_COMP_CNT: 1
	.section	.text._ZN2at6native12_GLOBAL__N_135GammaBetaBackwardCUDAKernelTemplateIffLj64ELj16ELj128ELb0ELb0ELb0EEEvllPKT_S5_PKT0_S8_PS3_S9_,"axG",@progbits,_ZN2at6native12_GLOBAL__N_135GammaBetaBackwardCUDAKernelTemplateIffLj64ELj16ELj128ELb0ELb0ELb0EEEvllPKT_S5_PKT0_S8_PS3_S9_,comdat
	.globl	_ZN2at6native12_GLOBAL__N_135GammaBetaBackwardCUDAKernelTemplateIffLj64ELj16ELj128ELb0ELb0ELb0EEEvllPKT_S5_PKT0_S8_PS3_S9_ ; -- Begin function _ZN2at6native12_GLOBAL__N_135GammaBetaBackwardCUDAKernelTemplateIffLj64ELj16ELj128ELb0ELb0ELb0EEEvllPKT_S5_PKT0_S8_PS3_S9_
	.p2align	8
	.type	_ZN2at6native12_GLOBAL__N_135GammaBetaBackwardCUDAKernelTemplateIffLj64ELj16ELj128ELb0ELb0ELb0EEEvllPKT_S5_PKT0_S8_PS3_S9_,@function
_ZN2at6native12_GLOBAL__N_135GammaBetaBackwardCUDAKernelTemplateIffLj64ELj16ELj128ELb0ELb0ELb0EEEvllPKT_S5_PKT0_S8_PS3_S9_: ; @_ZN2at6native12_GLOBAL__N_135GammaBetaBackwardCUDAKernelTemplateIffLj64ELj16ELj128ELb0ELb0ELb0EEEvllPKT_S5_PKT0_S8_PS3_S9_
; %bb.0:
	s_clause 0x1
	s_load_b256 s[4:11], s[0:1], 0x0
	s_load_b128 s[24:27], s[0:1], 0x20
	s_mov_b32 s29, 0
	s_lshl_b32 s12, s15, 7
	s_mov_b32 s13, s29
	s_lshl_b32 s33, s14, 6
	s_delay_alu instid0(SALU_CYCLE_1) | instskip(SKIP_3) | instid1(VALU_DEP_2)
	s_or_b32 s28, s33, 63
	s_waitcnt lgkmcnt(0)
	v_cmp_lt_i64_e64 s15, s[12:13], s[4:5]
	v_cmp_ge_i64_e64 s2, s[28:29], s[6:7]
	v_cndmask_b32_e64 v1, 0, 1, s15
	s_delay_alu instid0(VALU_DEP_2) | instskip(NEXT) | instid1(VALU_DEP_1)
	s_and_b32 vcc_lo, exec_lo, s2
	v_cmp_ne_u32_e64 s2, 1, v1
	s_cbranch_vccz .LBB57_49
; %bb.1:
	v_mov_b32_e32 v49, 0
	v_mov_b32_e32 v53, 0
	s_delay_alu instid0(VALU_DEP_3)
	s_and_b32 vcc_lo, exec_lo, s2
	s_cbranch_vccnz .LBB57_50
; %bb.2:
	v_bfe_u32 v27, v0, 10, 10
	s_load_b32 s3, s[0:1], 0x44
	v_dual_mov_b32 v2, 0 :: v_dual_and_b32 v29, 0x3ff, v0
	s_add_u32 s30, s0, 64
	s_delay_alu instid0(VALU_DEP_2) | instskip(NEXT) | instid1(VALU_DEP_2)
	v_dual_mov_b32 v49, 0 :: v_dual_lshlrev_b32 v28, 3, v27
	v_dual_mov_b32 v64, 0 :: v_dual_add_nc_u32 v1, s33, v29
	s_addc_u32 s31, s1, 0
	s_delay_alu instid0(VALU_DEP_2) | instskip(NEXT) | instid1(VALU_DEP_1)
	v_add_co_u32 v9, s2, v28, s12
	v_add_co_ci_u32_e64 v10, null, 0, 0, s2
	s_delay_alu instid0(VALU_DEP_3) | instskip(NEXT) | instid1(VALU_DEP_3)
	v_cmp_gt_i64_e64 s2, s[6:7], v[1:2]
	v_add_co_u32 v5, vcc_lo, v9, 7
	s_delay_alu instid0(VALU_DEP_3) | instskip(SKIP_1) | instid1(VALU_DEP_3)
	v_add_co_ci_u32_e32 v3, vcc_lo, 0, v10, vcc_lo
	v_add_co_u32 v8, vcc_lo, v9, 6
	v_mul_lo_u32 v6, s7, v5
	s_delay_alu instid0(VALU_DEP_3)
	v_mul_lo_u32 v7, s6, v3
	v_mad_u64_u32 v[3:4], null, s6, v5, 0
	v_add_co_ci_u32_e32 v5, vcc_lo, 0, v10, vcc_lo
	v_lshlrev_b64 v[25:26], 2, v[1:2]
	v_mul_lo_u32 v1, s7, v8
	s_waitcnt lgkmcnt(0)
	s_lshl_b32 s28, s3, 7
	s_mov_b32 s16, 0
	s_delay_alu instid0(VALU_DEP_4) | instskip(SKIP_3) | instid1(VALU_DEP_3)
	v_add3_u32 v4, v4, v7, v6
	v_mul_lo_u32 v7, s6, v5
	v_mad_u64_u32 v[5:6], null, s6, v8, 0
	s_mul_i32 s3, s7, s28
	v_lshlrev_b64 v[3:4], 2, v[3:4]
	s_mul_hi_u32 s17, s6, s28
	s_mul_i32 s18, s6, s28
	s_add_i32 s19, s17, s3
	s_mov_b64 s[38:39], s[12:13]
	s_delay_alu instid0(VALU_DEP_2) | instskip(SKIP_4) | instid1(VALU_DEP_1)
	v_add3_u32 v6, v6, v7, v1
	v_add_co_u32 v30, vcc_lo, s8, v3
	v_add_co_ci_u32_e32 v31, vcc_lo, s9, v4, vcc_lo
	v_add_co_u32 v1, vcc_lo, v9, 5
	v_add_co_u32 v32, s3, s10, v3
	v_add_co_ci_u32_e64 v33, s3, s11, v4, s3
	v_lshlrev_b64 v[3:4], 2, v[5:6]
	v_add_co_ci_u32_e32 v5, vcc_lo, 0, v10, vcc_lo
	v_add_co_u32 v12, vcc_lo, v9, 4
	v_mul_lo_u32 v11, s7, v1
	s_delay_alu instid0(VALU_DEP_3) | instskip(SKIP_4) | instid1(VALU_DEP_3)
	v_mul_lo_u32 v13, s6, v5
	v_mad_u64_u32 v[5:6], null, s6, v1, 0
	v_add_co_ci_u32_e32 v7, vcc_lo, 0, v10, vcc_lo
	v_mul_lo_u32 v1, s7, v12
	v_add_co_u32 v34, vcc_lo, s8, v3
	v_mul_lo_u32 v14, s6, v7
	v_mad_u64_u32 v[7:8], null, s6, v12, 0
	v_add3_u32 v6, v6, v13, v11
	v_add_co_ci_u32_e32 v35, vcc_lo, s9, v4, vcc_lo
	v_add_co_u32 v36, vcc_lo, s10, v3
	v_add_co_ci_u32_e32 v37, vcc_lo, s11, v4, vcc_lo
	s_delay_alu instid0(VALU_DEP_4) | instskip(SKIP_3) | instid1(VALU_DEP_4)
	v_lshlrev_b64 v[3:4], 2, v[5:6]
	v_add3_u32 v8, v8, v14, v1
	v_add_co_u32 v1, vcc_lo, v9, 3
	v_add_co_ci_u32_e32 v11, vcc_lo, 0, v10, vcc_lo
	v_add_co_u32 v38, vcc_lo, s8, v3
	s_delay_alu instid0(VALU_DEP_4)
	v_lshlrev_b64 v[5:6], 2, v[7:8]
	v_add_co_ci_u32_e32 v39, vcc_lo, s9, v4, vcc_lo
	v_mul_lo_u32 v12, s7, v1
	v_mul_lo_u32 v11, s6, v11
	v_mad_u64_u32 v[7:8], null, s6, v1, 0
	v_add_co_u32 v40, vcc_lo, s10, v3
	v_add_co_ci_u32_e32 v41, vcc_lo, s11, v4, vcc_lo
	v_add_co_u32 v42, vcc_lo, s8, v5
	v_add_co_ci_u32_e32 v43, vcc_lo, s9, v6, vcc_lo
	v_add_co_u32 v1, vcc_lo, v9, 2
	v_add3_u32 v8, v8, v11, v12
	v_add_co_ci_u32_e32 v11, vcc_lo, 0, v10, vcc_lo
	v_add_co_u32 v44, vcc_lo, s10, v5
	v_add_co_ci_u32_e32 v45, vcc_lo, s11, v6, vcc_lo
	v_mul_lo_u32 v12, s7, v1
	s_delay_alu instid0(VALU_DEP_4)
	v_mul_lo_u32 v11, s6, v11
	v_mad_u64_u32 v[5:6], null, s6, v1, 0
	v_lshlrev_b64 v[3:4], 2, v[7:8]
	v_mul_lo_u32 v1, s7, v9
	v_mul_lo_u32 v10, s6, v10
	v_mad_u64_u32 v[7:8], null, s6, v9, 0
	s_lshl_b64 s[34:35], s[18:19], 2
	s_delay_alu instid0(VALU_DEP_4)
	v_add_co_u32 v46, vcc_lo, s8, v3
	v_add3_u32 v6, v6, v11, v12
	v_add_co_ci_u32_e32 v47, vcc_lo, s9, v4, vcc_lo
	v_add_co_u32 v48, vcc_lo, s10, v3
	v_add3_u32 v8, v8, v10, v1
	v_add_co_ci_u32_e32 v50, vcc_lo, s11, v4, vcc_lo
	v_lshlrev_b64 v[3:4], 2, v[5:6]
	v_add_co_u32 v5, vcc_lo, v7, s6
	s_delay_alu instid0(VALU_DEP_4) | instskip(SKIP_1) | instid1(VALU_DEP_3)
	v_add_co_ci_u32_e32 v6, vcc_lo, s7, v8, vcc_lo
	s_add_u32 s36, s12, 0x7f
	v_add_co_u32 v51, vcc_lo, s8, v3
	s_delay_alu instid0(VALU_DEP_2) | instskip(SKIP_3) | instid1(VALU_DEP_4)
	v_lshlrev_b64 v[5:6], 2, v[5:6]
	v_add_co_ci_u32_e32 v52, vcc_lo, s9, v4, vcc_lo
	v_add_co_u32 v54, vcc_lo, s10, v3
	v_add_co_ci_u32_e32 v55, vcc_lo, s11, v4, vcc_lo
	v_add_co_u32 v56, vcc_lo, s8, v5
	v_lshlrev_b64 v[3:4], 2, v[7:8]
	v_add_co_ci_u32_e32 v57, vcc_lo, s9, v6, vcc_lo
	v_add_co_u32 v58, vcc_lo, s10, v5
	v_add_co_ci_u32_e32 v59, vcc_lo, s11, v6, vcc_lo
	s_delay_alu instid0(VALU_DEP_4)
	v_add_co_u32 v60, vcc_lo, s8, v3
	v_add_co_ci_u32_e32 v61, vcc_lo, s9, v4, vcc_lo
	v_add_co_u32 v62, vcc_lo, s10, v3
	v_add_co_ci_u32_e32 v63, vcc_lo, s11, v4, vcc_lo
	s_addc_u32 s37, 0, 0
.LBB57_3:                               ; =>This Inner Loop Header: Depth=1
	s_delay_alu instid0(SALU_CYCLE_1) | instskip(SKIP_1) | instid1(VALU_DEP_1)
	v_cmp_ge_i64_e64 s3, s[36:37], s[4:5]
	v_add_co_u32 v65, s17, v28, s36
	v_add_co_ci_u32_e64 v66, null, 0, s37, s17
	s_delay_alu instid0(VALU_DEP_3)
	s_and_b32 vcc_lo, exec_lo, s3
	s_cbranch_vccz .LBB57_25
; %bb.4:                                ;   in Loop: Header=BB57_3 Depth=1
	s_load_b32 s3, s[30:31], 0xc
	v_dual_mov_b32 v67, 0 :: v_dual_mov_b32 v68, 0
	s_waitcnt lgkmcnt(0)
	s_and_b32 s3, s3, 0xffff
	s_delay_alu instid0(SALU_CYCLE_1) | instskip(SKIP_1) | instid1(VALU_DEP_1)
	v_mad_u32_u24 v1, v27, s3, v29
	s_mov_b32 s3, exec_lo
	v_and_b32_e32 v1, 31, v1
	s_delay_alu instid0(VALU_DEP_1)
	v_cmpx_gt_u32_e32 8, v1
	s_cbranch_execz .LBB57_8
; %bb.5:                                ;   in Loop: Header=BB57_3 Depth=1
	v_add_co_u32 v1, vcc_lo, v65, v1
	v_add_co_ci_u32_e32 v4, vcc_lo, 0, v66, vcc_lo
	v_dual_mov_b32 v67, 0 :: v_dual_mov_b32 v68, 0
	s_delay_alu instid0(VALU_DEP_3) | instskip(NEXT) | instid1(VALU_DEP_3)
	v_add_co_u32 v3, vcc_lo, 0xffffff81, v1
	v_add_co_ci_u32_e32 v4, vcc_lo, -1, v4, vcc_lo
	s_mov_b32 s17, exec_lo
	s_delay_alu instid0(VALU_DEP_1)
	v_cmpx_gt_i64_e64 s[4:5], v[3:4]
	s_cbranch_execz .LBB57_7
; %bb.6:                                ;   in Loop: Header=BB57_3 Depth=1
	v_lshlrev_b64 v[3:4], 2, v[3:4]
	s_delay_alu instid0(VALU_DEP_1) | instskip(NEXT) | instid1(VALU_DEP_2)
	v_add_co_u32 v5, vcc_lo, s24, v3
	v_add_co_ci_u32_e32 v6, vcc_lo, s25, v4, vcc_lo
	v_add_co_u32 v3, vcc_lo, s26, v3
	v_add_co_ci_u32_e32 v4, vcc_lo, s27, v4, vcc_lo
	global_load_b32 v67, v[5:6], off
	global_load_b32 v68, v[3:4], off
.LBB57_7:                               ;   in Loop: Header=BB57_3 Depth=1
	s_or_b32 exec_lo, exec_lo, s17
.LBB57_8:                               ;   in Loop: Header=BB57_3 Depth=1
	s_delay_alu instid0(SALU_CYCLE_1)
	s_or_b32 exec_lo, exec_lo, s3
	v_add_co_u32 v3, vcc_lo, 0xffffff81, v65
	v_add_co_ci_u32_e32 v4, vcc_lo, -1, v66, vcc_lo
	s_mov_b32 s22, s16
	s_mov_b32 s23, s16
	;; [unrolled: 1-line block ×7, first 2 shown]
	v_dual_mov_b32 v9, s16 :: v_dual_mov_b32 v10, s17
	v_dual_mov_b32 v15, s22 :: v_dual_mov_b32 v16, s23
	;; [unrolled: 1-line block ×4, first 2 shown]
	v_cmp_gt_i64_e32 vcc_lo, s[4:5], v[3:4]
	s_delay_alu instid0(VALU_DEP_4) | instskip(NEXT) | instid1(VALU_DEP_3)
	v_dual_mov_b32 v24, v16 :: v_dual_mov_b32 v23, v15
	v_dual_mov_b32 v21, v13 :: v_dual_mov_b32 v22, v14
	v_dual_mov_b32 v20, v12 :: v_dual_mov_b32 v19, v11
	v_dual_mov_b32 v18, v10 :: v_dual_mov_b32 v17, v9
	s_and_b32 s17, s2, vcc_lo
	s_delay_alu instid0(SALU_CYCLE_1)
	s_and_saveexec_b32 s3, s17
	s_cbranch_execz .LBB57_10
; %bb.9:                                ;   in Loop: Header=BB57_3 Depth=1
	v_add_co_u32 v3, vcc_lo, v60, v25
	v_add_co_ci_u32_e32 v4, vcc_lo, v61, v26, vcc_lo
	v_mov_b32_e32 v8, v2
	v_mov_b32_e32 v5, v2
	;; [unrolled: 1-line block ×3, first 2 shown]
	global_load_b32 v1, v[3:4], off
	v_add_co_u32 v3, vcc_lo, v62, v25
	v_add_co_ci_u32_e32 v4, vcc_lo, v63, v26, vcc_lo
	v_mov_b32_e32 v7, v2
	v_mov_b32_e32 v15, v2
	global_load_b32 v9, v[3:4], off
	v_mov_b32_e32 v3, v2
	v_mov_b32_e32 v4, v2
	s_waitcnt vmcnt(1)
	v_dual_mov_b32 v11, v2 :: v_dual_mov_b32 v24, v8
	v_dual_mov_b32 v10, v2 :: v_dual_mov_b32 v23, v7
	;; [unrolled: 1-line block ×5, first 2 shown]
	v_mov_b32_e32 v16, v2
	v_mov_b32_e32 v22, v6
	v_dual_mov_b32 v18, v2 :: v_dual_mov_b32 v17, v1
.LBB57_10:                              ;   in Loop: Header=BB57_3 Depth=1
	s_or_b32 exec_lo, exec_lo, s3
	v_add_co_u32 v3, vcc_lo, 0xffffff82, v65
	v_add_co_ci_u32_e32 v4, vcc_lo, -1, v66, vcc_lo
	s_delay_alu instid0(VALU_DEP_1) | instskip(SKIP_1) | instid1(SALU_CYCLE_1)
	v_cmp_gt_i64_e32 vcc_lo, s[4:5], v[3:4]
	s_and_b32 s17, s2, vcc_lo
	s_and_saveexec_b32 s3, s17
	s_cbranch_execz .LBB57_12
; %bb.11:                               ;   in Loop: Header=BB57_3 Depth=1
	v_add_co_u32 v3, vcc_lo, v56, v25
	v_add_co_ci_u32_e32 v4, vcc_lo, v57, v26, vcc_lo
	v_add_co_u32 v5, vcc_lo, v58, v25
	v_add_co_ci_u32_e32 v6, vcc_lo, v59, v26, vcc_lo
	global_load_b32 v18, v[3:4], off
	global_load_b32 v10, v[5:6], off
.LBB57_12:                              ;   in Loop: Header=BB57_3 Depth=1
	s_or_b32 exec_lo, exec_lo, s3
	v_add_co_u32 v3, vcc_lo, 0xffffff83, v65
	v_add_co_ci_u32_e32 v4, vcc_lo, -1, v66, vcc_lo
	s_delay_alu instid0(VALU_DEP_1) | instskip(SKIP_1) | instid1(SALU_CYCLE_1)
	v_cmp_gt_i64_e32 vcc_lo, s[4:5], v[3:4]
	s_and_b32 s17, s2, vcc_lo
	s_and_saveexec_b32 s3, s17
	s_cbranch_execz .LBB57_14
; %bb.13:                               ;   in Loop: Header=BB57_3 Depth=1
	v_add_co_u32 v3, vcc_lo, v51, v25
	v_add_co_ci_u32_e32 v4, vcc_lo, v52, v26, vcc_lo
	v_add_co_u32 v5, vcc_lo, v54, v25
	v_add_co_ci_u32_e32 v6, vcc_lo, v55, v26, vcc_lo
	global_load_b32 v19, v[3:4], off
	global_load_b32 v11, v[5:6], off
.LBB57_14:                              ;   in Loop: Header=BB57_3 Depth=1
	;; [unrolled: 16-line block ×7, first 2 shown]
	s_or_b32 exec_lo, exec_lo, s3
	s_waitcnt vmcnt(1)
	ds_bpermute_b32 v1, v2, v67
	ds_bpermute_b32 v3, v2, v67 offset:4
	ds_bpermute_b32 v4, v2, v67 offset:8
	;; [unrolled: 1-line block ×3, first 2 shown]
	s_waitcnt vmcnt(0)
	ds_bpermute_b32 v5, v2, v68
	ds_bpermute_b32 v7, v2, v68 offset:4
	ds_bpermute_b32 v8, v2, v67 offset:16
	;; [unrolled: 1-line block ×5, first 2 shown]
	s_waitcnt lgkmcnt(9)
	v_sub_f32_e32 v1, v9, v1
	s_waitcnt lgkmcnt(7)
	v_dual_add_f32 v9, v49, v17 :: v_dual_sub_f32 v4, v11, v4
	s_waitcnt lgkmcnt(6)
	v_dual_sub_f32 v6, v12, v6 :: v_dual_sub_f32 v3, v10, v3
	v_mul_f32_e32 v1, v17, v1
	ds_bpermute_b32 v10, v2, v68 offset:16
	v_mul_f32_e32 v4, v19, v4
	v_dual_mul_f32 v6, v20, v6 :: v_dual_mul_f32 v3, v18, v3
	s_waitcnt lgkmcnt(6)
	v_fma_f32 v53, v1, v5, v64
	ds_bpermute_b32 v17, v2, v67 offset:24
	ds_bpermute_b32 v5, v2, v68 offset:20
	;; [unrolled: 1-line block ×4, first 2 shown]
	s_waitcnt lgkmcnt(9)
	v_fmac_f32_e32 v53, v3, v7
	v_add_f32_e32 v3, v18, v9
	s_waitcnt lgkmcnt(7)
	v_dual_sub_f32 v7, v13, v8 :: v_dual_sub_f32 v8, v14, v71
	s_waitcnt lgkmcnt(6)
	s_delay_alu instid0(VALU_DEP_1) | instskip(SKIP_3) | instid1(VALU_DEP_1)
	v_dual_mul_f32 v8, v22, v8 :: v_dual_fmac_f32 v53, v4, v69
	v_add_f32_e32 v4, v19, v3
	ds_bpermute_b32 v3, v2, v67 offset:28
	v_dual_mul_f32 v7, v21, v7 :: v_dual_add_f32 v4, v20, v4
	v_add_f32_e32 v4, v21, v4
	s_delay_alu instid0(VALU_DEP_1) | instskip(SKIP_2) | instid1(VALU_DEP_2)
	v_add_f32_e32 v4, v22, v4
	s_waitcnt lgkmcnt(4)
	v_dual_fmac_f32 v53, v6, v70 :: v_dual_sub_f32 v6, v15, v17
	v_add_f32_e32 v4, v23, v4
	s_delay_alu instid0(VALU_DEP_2) | instskip(SKIP_1) | instid1(VALU_DEP_1)
	v_fmac_f32_e32 v53, v7, v10
	s_waitcnt lgkmcnt(3)
	v_dual_mul_f32 v6, v23, v6 :: v_dual_fmac_f32 v53, v8, v5
	s_waitcnt lgkmcnt(2)
	s_delay_alu instid0(VALU_DEP_1)
	v_fmac_f32_e32 v53, v6, v11
	s_branch .LBB57_40
.LBB57_25:                              ;   in Loop: Header=BB57_3 Depth=1
                                        ; implicit-def: $vgpr1
                                        ; implicit-def: $vgpr9_vgpr10_vgpr11_vgpr12_vgpr13_vgpr14_vgpr15_vgpr16
                                        ; implicit-def: $vgpr17_vgpr18_vgpr19_vgpr20_vgpr21_vgpr22_vgpr23_vgpr24
                                        ; implicit-def: $vgpr3
                                        ; implicit-def: $vgpr4
                                        ; implicit-def: $vgpr53
	s_cbranch_execz .LBB57_40
; %bb.26:                               ;   in Loop: Header=BB57_3 Depth=1
	s_load_b32 s3, s[30:31], 0x0
	v_mov_b32_e32 v67, 0
	v_mov_b32_e32 v53, 0
	s_waitcnt lgkmcnt(0)
	s_cmp_lt_u32 s14, s3
	s_cselect_b32 s3, 12, 18
	s_delay_alu instid0(SALU_CYCLE_1)
	s_add_u32 s18, s30, s3
	s_addc_u32 s19, s31, 0
	s_mov_b32 s3, exec_lo
	global_load_u16 v1, v2, s[18:19]
	s_waitcnt vmcnt(0)
	v_mad_u32_u24 v1, v27, v1, v29
	s_delay_alu instid0(VALU_DEP_1) | instskip(NEXT) | instid1(VALU_DEP_1)
	v_and_b32_e32 v1, 31, v1
	v_cmpx_gt_u32_e32 8, v1
	s_cbranch_execz .LBB57_30
; %bb.27:                               ;   in Loop: Header=BB57_3 Depth=1
	v_add_co_u32 v1, vcc_lo, v65, v1
	v_add_co_ci_u32_e32 v4, vcc_lo, 0, v66, vcc_lo
	v_mov_b32_e32 v53, 0
	s_delay_alu instid0(VALU_DEP_3) | instskip(NEXT) | instid1(VALU_DEP_3)
	v_add_co_u32 v3, vcc_lo, 0xffffff81, v1
	v_add_co_ci_u32_e32 v4, vcc_lo, -1, v4, vcc_lo
	v_mov_b32_e32 v67, 0
	s_mov_b32 s17, exec_lo
	s_delay_alu instid0(VALU_DEP_2)
	v_cmpx_gt_i64_e64 s[4:5], v[3:4]
	s_cbranch_execz .LBB57_29
; %bb.28:                               ;   in Loop: Header=BB57_3 Depth=1
	v_lshlrev_b64 v[3:4], 2, v[3:4]
	s_delay_alu instid0(VALU_DEP_1) | instskip(NEXT) | instid1(VALU_DEP_2)
	v_add_co_u32 v5, vcc_lo, s24, v3
	v_add_co_ci_u32_e32 v6, vcc_lo, s25, v4, vcc_lo
	v_add_co_u32 v3, vcc_lo, s26, v3
	v_add_co_ci_u32_e32 v4, vcc_lo, s27, v4, vcc_lo
	global_load_b32 v53, v[5:6], off
	global_load_b32 v67, v[3:4], off
.LBB57_29:                              ;   in Loop: Header=BB57_3 Depth=1
	s_or_b32 exec_lo, exec_lo, s17
.LBB57_30:                              ;   in Loop: Header=BB57_3 Depth=1
	s_delay_alu instid0(SALU_CYCLE_1)
	s_or_b32 exec_lo, exec_lo, s3
	s_mov_b32 s22, s16
	s_mov_b32 s23, s16
	;; [unrolled: 1-line block ×7, first 2 shown]
	v_dual_mov_b32 v9, s16 :: v_dual_mov_b32 v10, s17
	v_dual_mov_b32 v15, s22 :: v_dual_mov_b32 v16, s23
	;; [unrolled: 1-line block ×4, first 2 shown]
	s_delay_alu instid0(VALU_DEP_3) | instskip(NEXT) | instid1(VALU_DEP_3)
	v_dual_mov_b32 v24, v16 :: v_dual_mov_b32 v23, v15
	v_dual_mov_b32 v20, v12 :: v_dual_mov_b32 v19, v11
	s_delay_alu instid0(VALU_DEP_3)
	v_dual_mov_b32 v22, v14 :: v_dual_mov_b32 v21, v13
	v_dual_mov_b32 v18, v10 :: v_dual_mov_b32 v17, v9
	s_and_saveexec_b32 s3, s2
	s_cbranch_execnz .LBB57_42
; %bb.31:                               ;   in Loop: Header=BB57_3 Depth=1
	s_or_b32 exec_lo, exec_lo, s3
	s_and_saveexec_b32 s3, s2
	s_cbranch_execnz .LBB57_43
.LBB57_32:                              ;   in Loop: Header=BB57_3 Depth=1
	s_or_b32 exec_lo, exec_lo, s3
	s_and_saveexec_b32 s3, s2
	s_cbranch_execnz .LBB57_44
.LBB57_33:                              ;   in Loop: Header=BB57_3 Depth=1
	s_or_b32 exec_lo, exec_lo, s3
	s_and_saveexec_b32 s3, s2
	s_cbranch_execnz .LBB57_45
.LBB57_34:                              ;   in Loop: Header=BB57_3 Depth=1
	s_or_b32 exec_lo, exec_lo, s3
	s_and_saveexec_b32 s3, s2
	s_cbranch_execnz .LBB57_46
.LBB57_35:                              ;   in Loop: Header=BB57_3 Depth=1
	s_or_b32 exec_lo, exec_lo, s3
	s_and_saveexec_b32 s3, s2
	s_cbranch_execnz .LBB57_47
.LBB57_36:                              ;   in Loop: Header=BB57_3 Depth=1
	s_or_b32 exec_lo, exec_lo, s3
	s_and_saveexec_b32 s3, s2
	s_cbranch_execnz .LBB57_48
.LBB57_37:                              ;   in Loop: Header=BB57_3 Depth=1
	s_or_b32 exec_lo, exec_lo, s3
	s_and_saveexec_b32 s3, s2
	s_cbranch_execz .LBB57_39
.LBB57_38:                              ;   in Loop: Header=BB57_3 Depth=1
	v_add_co_u32 v3, vcc_lo, v30, v25
	v_add_co_ci_u32_e32 v4, vcc_lo, v31, v26, vcc_lo
	v_add_co_u32 v5, vcc_lo, v32, v25
	v_add_co_ci_u32_e32 v6, vcc_lo, v33, v26, vcc_lo
	global_load_b32 v24, v[3:4], off
	global_load_b32 v16, v[5:6], off
.LBB57_39:                              ;   in Loop: Header=BB57_3 Depth=1
	s_or_b32 exec_lo, exec_lo, s3
	s_waitcnt vmcnt(1)
	ds_bpermute_b32 v1, v2, v53
	ds_bpermute_b32 v3, v2, v53 offset:4
	ds_bpermute_b32 v4, v2, v53 offset:8
	s_waitcnt vmcnt(0)
	ds_bpermute_b32 v5, v2, v67
	ds_bpermute_b32 v6, v2, v53 offset:12
	ds_bpermute_b32 v7, v2, v67 offset:4
	;; [unrolled: 1-line block ×5, first 2 shown]
	s_waitcnt lgkmcnt(8)
	v_sub_f32_e32 v1, v9, v1
	ds_bpermute_b32 v9, v2, v67 offset:12
	s_waitcnt lgkmcnt(7)
	v_dual_sub_f32 v4, v11, v4 :: v_dual_sub_f32 v3, v10, v3
	v_add_f32_e32 v10, v49, v17
	v_mul_f32_e32 v1, v17, v1
	ds_bpermute_b32 v17, v2, v67 offset:16
	v_dual_mul_f32 v4, v19, v4 :: v_dual_mul_f32 v3, v18, v3
	ds_bpermute_b32 v11, v2, v67 offset:20
	s_waitcnt lgkmcnt(8)
	v_fmac_f32_e32 v64, v1, v5
	ds_bpermute_b32 v5, v2, v53 offset:24
	s_waitcnt lgkmcnt(6)
	v_dual_sub_f32 v1, v12, v6 :: v_dual_sub_f32 v6, v13, v8
	s_waitcnt lgkmcnt(4)
	v_sub_f32_e32 v8, v14, v66
	v_dual_fmac_f32 v64, v3, v7 :: v_dual_add_f32 v3, v18, v10
	s_delay_alu instid0(VALU_DEP_2) | instskip(NEXT) | instid1(VALU_DEP_2)
	v_dual_mul_f32 v1, v20, v1 :: v_dual_mul_f32 v8, v22, v8
	v_dual_fmac_f32 v64, v4, v65 :: v_dual_add_f32 v7, v19, v3
	ds_bpermute_b32 v4, v2, v67 offset:24
	v_mul_f32_e32 v6, v21, v6
	ds_bpermute_b32 v3, v2, v53 offset:28
	s_waitcnt lgkmcnt(5)
	v_dual_fmac_f32 v64, v1, v9 :: v_dual_add_f32 v7, v20, v7
	ds_bpermute_b32 v1, v2, v67 offset:28
	s_waitcnt lgkmcnt(5)
	v_fmac_f32_e32 v64, v6, v17
	s_waitcnt lgkmcnt(3)
	v_dual_sub_f32 v5, v15, v5 :: v_dual_add_f32 v6, v21, v7
	s_delay_alu instid0(VALU_DEP_1) | instskip(SKIP_1) | instid1(VALU_DEP_1)
	v_dual_fmac_f32 v64, v8, v11 :: v_dual_mul_f32 v5, v23, v5
	s_waitcnt lgkmcnt(2)
	v_fmac_f32_e32 v64, v5, v4
	s_delay_alu instid0(VALU_DEP_1) | instskip(NEXT) | instid1(VALU_DEP_1)
	v_dual_add_f32 v6, v22, v6 :: v_dual_mov_b32 v53, v64
	v_add_f32_e32 v4, v23, v6
.LBB57_40:                              ;   in Loop: Header=BB57_3 Depth=1
	v_add_co_u32 v30, vcc_lo, v30, s34
	v_add_co_ci_u32_e32 v31, vcc_lo, s35, v31, vcc_lo
	v_add_co_u32 v32, vcc_lo, v32, s34
	v_add_co_ci_u32_e32 v33, vcc_lo, s35, v33, vcc_lo
	;; [unrolled: 2-line block ×12, first 2 shown]
	v_add_co_u32 v56, vcc_lo, v56, s34
	s_waitcnt lgkmcnt(0)
	v_sub_f32_e32 v3, v16, v3
	v_add_co_ci_u32_e32 v57, vcc_lo, s35, v57, vcc_lo
	v_add_co_u32 v58, vcc_lo, v58, s34
	s_add_u32 s38, s38, s28
	v_add_co_ci_u32_e32 v59, vcc_lo, s35, v59, vcc_lo
	v_mul_f32_e32 v3, v24, v3
	s_addc_u32 s39, s39, 0
	v_add_co_u32 v60, vcc_lo, v60, s34
	v_cmp_lt_i64_e64 s3, s[38:39], s[4:5]
	v_add_co_ci_u32_e32 v61, vcc_lo, s35, v61, vcc_lo
	v_add_co_u32 v62, vcc_lo, v62, s34
	v_add_f32_e32 v49, v4, v24
	v_fmac_f32_e32 v53, v3, v1
	v_add_co_ci_u32_e32 v63, vcc_lo, s35, v63, vcc_lo
	s_add_u32 s36, s36, s28
	s_addc_u32 s37, s37, 0
	s_and_b32 vcc_lo, exec_lo, s3
	s_cbranch_vccz .LBB57_50
; %bb.41:                               ;   in Loop: Header=BB57_3 Depth=1
	v_mov_b32_e32 v64, v53
	s_branch .LBB57_3
.LBB57_42:                              ;   in Loop: Header=BB57_3 Depth=1
	v_add_co_u32 v3, vcc_lo, v60, v25
	v_add_co_ci_u32_e32 v4, vcc_lo, v61, v26, vcc_lo
	v_mov_b32_e32 v8, v2
	v_mov_b32_e32 v5, v2
	;; [unrolled: 1-line block ×3, first 2 shown]
	global_load_b32 v1, v[3:4], off
	v_add_co_u32 v3, vcc_lo, v62, v25
	v_add_co_ci_u32_e32 v4, vcc_lo, v63, v26, vcc_lo
	v_mov_b32_e32 v7, v2
	v_mov_b32_e32 v15, v2
	global_load_b32 v9, v[3:4], off
	v_mov_b32_e32 v3, v2
	v_mov_b32_e32 v4, v2
	s_waitcnt vmcnt(1)
	v_dual_mov_b32 v11, v2 :: v_dual_mov_b32 v24, v8
	v_dual_mov_b32 v10, v2 :: v_dual_mov_b32 v23, v7
	;; [unrolled: 1-line block ×5, first 2 shown]
	v_mov_b32_e32 v16, v2
	v_mov_b32_e32 v22, v6
	v_dual_mov_b32 v18, v2 :: v_dual_mov_b32 v17, v1
	s_or_b32 exec_lo, exec_lo, s3
	s_and_saveexec_b32 s3, s2
	s_cbranch_execz .LBB57_32
.LBB57_43:                              ;   in Loop: Header=BB57_3 Depth=1
	v_add_co_u32 v3, vcc_lo, v56, v25
	v_add_co_ci_u32_e32 v4, vcc_lo, v57, v26, vcc_lo
	v_add_co_u32 v5, vcc_lo, v58, v25
	v_add_co_ci_u32_e32 v6, vcc_lo, v59, v26, vcc_lo
	global_load_b32 v18, v[3:4], off
	global_load_b32 v10, v[5:6], off
	s_or_b32 exec_lo, exec_lo, s3
	s_and_saveexec_b32 s3, s2
	s_cbranch_execz .LBB57_33
.LBB57_44:                              ;   in Loop: Header=BB57_3 Depth=1
	v_add_co_u32 v3, vcc_lo, v51, v25
	v_add_co_ci_u32_e32 v4, vcc_lo, v52, v26, vcc_lo
	v_add_co_u32 v5, vcc_lo, v54, v25
	v_add_co_ci_u32_e32 v6, vcc_lo, v55, v26, vcc_lo
	global_load_b32 v19, v[3:4], off
	global_load_b32 v11, v[5:6], off
	s_or_b32 exec_lo, exec_lo, s3
	s_and_saveexec_b32 s3, s2
	s_cbranch_execz .LBB57_34
.LBB57_45:                              ;   in Loop: Header=BB57_3 Depth=1
	v_add_co_u32 v3, vcc_lo, v46, v25
	v_add_co_ci_u32_e32 v4, vcc_lo, v47, v26, vcc_lo
	v_add_co_u32 v5, vcc_lo, v48, v25
	v_add_co_ci_u32_e32 v6, vcc_lo, v50, v26, vcc_lo
	global_load_b32 v20, v[3:4], off
	global_load_b32 v12, v[5:6], off
	s_or_b32 exec_lo, exec_lo, s3
	s_and_saveexec_b32 s3, s2
	s_cbranch_execz .LBB57_35
.LBB57_46:                              ;   in Loop: Header=BB57_3 Depth=1
	v_add_co_u32 v3, vcc_lo, v42, v25
	v_add_co_ci_u32_e32 v4, vcc_lo, v43, v26, vcc_lo
	v_add_co_u32 v5, vcc_lo, v44, v25
	v_add_co_ci_u32_e32 v6, vcc_lo, v45, v26, vcc_lo
	global_load_b32 v21, v[3:4], off
	global_load_b32 v13, v[5:6], off
	s_or_b32 exec_lo, exec_lo, s3
	s_and_saveexec_b32 s3, s2
	s_cbranch_execz .LBB57_36
.LBB57_47:                              ;   in Loop: Header=BB57_3 Depth=1
	v_add_co_u32 v3, vcc_lo, v38, v25
	v_add_co_ci_u32_e32 v4, vcc_lo, v39, v26, vcc_lo
	v_add_co_u32 v5, vcc_lo, v40, v25
	v_add_co_ci_u32_e32 v6, vcc_lo, v41, v26, vcc_lo
	global_load_b32 v22, v[3:4], off
	global_load_b32 v14, v[5:6], off
	s_or_b32 exec_lo, exec_lo, s3
	s_and_saveexec_b32 s3, s2
	s_cbranch_execz .LBB57_37
.LBB57_48:                              ;   in Loop: Header=BB57_3 Depth=1
	v_add_co_u32 v3, vcc_lo, v34, v25
	v_add_co_ci_u32_e32 v4, vcc_lo, v35, v26, vcc_lo
	v_add_co_u32 v5, vcc_lo, v36, v25
	v_add_co_ci_u32_e32 v6, vcc_lo, v37, v26, vcc_lo
	global_load_b32 v23, v[3:4], off
	global_load_b32 v15, v[5:6], off
	s_or_b32 exec_lo, exec_lo, s3
	s_and_saveexec_b32 s3, s2
	s_cbranch_execnz .LBB57_38
	s_branch .LBB57_39
.LBB57_49:
	s_mov_b32 s29, -1
                                        ; implicit-def: $vgpr49
                                        ; implicit-def: $vgpr53
.LBB57_50:
	s_delay_alu instid0(SALU_CYCLE_1)
	s_and_not1_b32 vcc_lo, exec_lo, s29
	s_cbranch_vccnz .LBB57_82
; %bb.51:
	v_mov_b32_e32 v49, 0
	v_mov_b32_e32 v53, 0
	s_and_not1_b32 vcc_lo, exec_lo, s15
	s_mov_b32 s16, 0
	s_cbranch_vccnz .LBB57_82
; %bb.52:
	s_load_b32 s2, s[0:1], 0x44
	v_and_b32_e32 v50, 0x3ff, v0
	v_bfe_u32 v51, v0, 10, 10
	v_mov_b32_e32 v2, 0
	s_add_u32 s28, s0, 64
	s_addc_u32 s29, s1, 0
	v_add_nc_u32_e32 v1, s33, v50
	v_lshlrev_b32_e32 v3, 5, v51
	v_lshlrev_b32_e32 v52, 3, v51
	s_delay_alu instid0(VALU_DEP_3)
	v_lshlrev_b64 v[19:20], 2, v[1:2]
	s_waitcnt lgkmcnt(0)
	s_lshl_b32 s15, s2, 7
	s_add_u32 s30, s12, 0x7f
	s_addc_u32 s31, 0, 0
	s_lshl_b64 s[2:3], s[12:13], 2
	s_mul_i32 s17, s7, s15
	v_add_co_u32 v1, s2, v3, s2
	s_delay_alu instid0(VALU_DEP_1) | instskip(SKIP_1) | instid1(VALU_DEP_2)
	v_add_co_ci_u32_e64 v3, null, 0, s3, s2
	s_mul_hi_u32 s2, s6, s15
	v_add_co_u32 v7, vcc_lo, v1, 4
	s_delay_alu instid0(VALU_DEP_2) | instskip(SKIP_3) | instid1(VALU_DEP_4)
	v_add_co_ci_u32_e32 v4, vcc_lo, 0, v3, vcc_lo
	v_add_co_u32 v8, vcc_lo, v1, 8
	v_add_co_ci_u32_e32 v5, vcc_lo, 0, v3, vcc_lo
	v_add_co_u32 v11, vcc_lo, v1, 12
	v_mul_lo_u32 v9, s6, v4
	v_add_co_ci_u32_e32 v4, vcc_lo, 0, v3, vcc_lo
	v_add_co_u32 v14, vcc_lo, v1, 16
	v_mul_lo_u32 v12, s6, v5
	v_add_co_ci_u32_e32 v5, vcc_lo, 0, v3, vcc_lo
	s_delay_alu instid0(VALU_DEP_3) | instskip(SKIP_1) | instid1(VALU_DEP_3)
	v_mad_u64_u32 v[27:28], null, s6, v14, s[8:9]
	v_mul_lo_u32 v43, s7, v14
	v_mul_lo_u32 v17, s6, v5
	v_mad_u64_u32 v[41:42], null, s6, v14, s[10:11]
	v_add_co_u32 v18, vcc_lo, v1, 20
	v_mul_lo_u32 v15, s6, v4
	v_add_co_ci_u32_e32 v4, vcc_lo, 0, v3, vcc_lo
	s_delay_alu instid0(VALU_DEP_3) | instskip(SKIP_1) | instid1(VALU_DEP_3)
	v_mad_u64_u32 v[29:30], null, s6, v18, s[8:9]
	v_mul_lo_u32 v53, s7, v18
	v_mul_lo_u32 v49, s6, v4
	v_add3_u32 v28, v43, v28, v17
	v_add3_u32 v42, v43, v42, v17
	v_mad_u64_u32 v[43:44], null, s6, v18, s[10:11]
	v_add_co_u32 v47, vcc_lo, v1, 24
	v_add_co_ci_u32_e32 v5, vcc_lo, 0, v3, vcc_lo
	v_add3_u32 v30, v53, v30, v49
	v_add_co_u32 v1, vcc_lo, v1, 28
	v_add3_u32 v44, v53, v44, v49
	v_mov_b32_e32 v49, 0
	v_add_co_u32 v70, s3, v52, s12
	s_delay_alu instid0(VALU_DEP_1) | instskip(SKIP_2) | instid1(VALU_DEP_4)
	v_add_co_ci_u32_e64 v71, null, 0, 0, s3
	v_mul_lo_u32 v56, s6, v5
	v_add_co_ci_u32_e32 v5, vcc_lo, 0, v3, vcc_lo
	v_mul_lo_u32 v6, s7, v70
	s_delay_alu instid0(VALU_DEP_4) | instskip(SKIP_1) | instid1(VALU_DEP_4)
	v_mul_lo_u32 v35, s6, v71
	v_mad_u64_u32 v[3:4], null, s6, v70, 0
	v_mul_lo_u32 v58, s6, v5
	v_mad_u64_u32 v[21:22], null, s6, v7, s[8:9]
	v_mul_lo_u32 v10, s7, v7
	v_mad_u64_u32 v[23:24], null, s6, v8, s[8:9]
	v_add3_u32 v4, v4, v35, v6
	v_mad_u64_u32 v[35:36], null, s6, v7, s[10:11]
	v_mul_lo_u32 v13, s7, v8
	v_mad_u64_u32 v[37:38], null, s6, v8, s[10:11]
	s_delay_alu instid0(VALU_DEP_4)
	v_lshlrev_b64 v[5:6], 2, v[3:4]
	v_add3_u32 v22, v10, v22, v9
	v_mad_u64_u32 v[25:26], null, s6, v11, s[8:9]
	v_add3_u32 v36, v10, v36, v9
	v_add3_u32 v24, v13, v24, v12
	v_add_co_u32 v54, vcc_lo, s8, v5
	v_add_co_ci_u32_e32 v55, vcc_lo, s9, v6, vcc_lo
	v_add_co_u32 v9, vcc_lo, v70, 7
	v_add_co_ci_u32_e32 v7, vcc_lo, 0, v71, vcc_lo
	v_add3_u32 v38, v13, v38, v12
	v_add_co_u32 v12, vcc_lo, v70, 6
	v_mul_lo_u32 v16, s7, v11
	v_mad_u64_u32 v[31:32], null, s6, v47, s[8:9]
	v_mul_lo_u32 v57, s7, v47
	v_mad_u64_u32 v[33:34], null, s6, v1, s[8:9]
	;; [unrolled: 2-line block ×3, first 2 shown]
	v_mad_u64_u32 v[45:46], null, s6, v47, s[10:11]
	v_mad_u64_u32 v[47:48], null, s6, v1, s[10:11]
	v_mul_lo_u32 v1, s7, v9
	v_mul_lo_u32 v11, s6, v7
	v_mad_u64_u32 v[7:8], null, s6, v9, 0
	v_add_co_ci_u32_e32 v10, vcc_lo, 0, v71, vcc_lo
	v_mul_lo_u32 v13, s7, v12
	v_add3_u32 v32, v57, v32, v56
	v_add3_u32 v46, v57, v46, v56
	s_delay_alu instid0(VALU_DEP_4) | instskip(SKIP_4) | instid1(VALU_DEP_3)
	v_mul_lo_u32 v14, s6, v10
	v_mad_u64_u32 v[9:10], null, s6, v12, 0
	v_add3_u32 v8, v8, v11, v1
	v_add_co_u32 v56, vcc_lo, s10, v5
	v_add_co_ci_u32_e32 v57, vcc_lo, s11, v6, vcc_lo
	v_lshlrev_b64 v[5:6], 2, v[7:8]
	v_add3_u32 v10, v10, v14, v13
	v_add_co_u32 v1, vcc_lo, v70, 5
	v_add_co_ci_u32_e32 v11, vcc_lo, 0, v71, vcc_lo
	v_add3_u32 v34, v59, v34, v58
	v_add3_u32 v48, v59, v48, v58
	v_add_co_u32 v58, vcc_lo, s8, v5
	v_lshlrev_b64 v[7:8], 2, v[9:10]
	v_add_co_ci_u32_e32 v59, vcc_lo, s9, v6, vcc_lo
	v_mul_lo_u32 v12, s7, v1
	v_mul_lo_u32 v11, s6, v11
	v_mad_u64_u32 v[9:10], null, s6, v1, 0
	v_add_co_u32 v60, vcc_lo, s10, v5
	v_add_co_ci_u32_e32 v61, vcc_lo, s11, v6, vcc_lo
	v_add_co_u32 v62, vcc_lo, s8, v7
	v_add_co_ci_u32_e32 v63, vcc_lo, s9, v8, vcc_lo
	v_add_co_u32 v1, vcc_lo, v70, 4
	v_add3_u32 v10, v10, v11, v12
	s_add_i32 s3, s2, s17
	v_add_co_u32 v64, s2, s10, v7
	v_add_co_ci_u32_e32 v7, vcc_lo, 0, v71, vcc_lo
	v_add_co_u32 v12, vcc_lo, v70, 3
	v_lshlrev_b64 v[5:6], 2, v[9:10]
	v_add_co_ci_u32_e32 v9, vcc_lo, 0, v71, vcc_lo
	v_add_co_ci_u32_e64 v65, s2, s11, v8, s2
	v_mul_lo_u32 v11, s7, v1
	v_mul_lo_u32 v13, s6, v7
	v_mad_u64_u32 v[7:8], null, s6, v1, 0
	v_mul_lo_u32 v1, s7, v12
	v_mul_lo_u32 v14, s6, v9
	v_mad_u64_u32 v[9:10], null, s6, v12, 0
	v_add_co_u32 v66, vcc_lo, s8, v5
	v_add_co_ci_u32_e32 v67, vcc_lo, s9, v6, vcc_lo
	v_add3_u32 v8, v8, v13, v11
	v_add_co_u32 v68, vcc_lo, s10, v5
	v_add_co_ci_u32_e32 v69, vcc_lo, s11, v6, vcc_lo
	v_add3_u32 v10, v10, v14, v1
	v_add_co_u32 v1, vcc_lo, v70, 2
	v_lshlrev_b64 v[5:6], 2, v[7:8]
	v_add_co_ci_u32_e32 v11, vcc_lo, 0, v71, vcc_lo
	s_delay_alu instid0(VALU_DEP_4) | instskip(NEXT) | instid1(VALU_DEP_4)
	v_lshlrev_b64 v[7:8], 2, v[9:10]
	v_mul_lo_u32 v12, s7, v1
	v_mad_u64_u32 v[9:10], null, s6, v1, 0
	v_add_co_u32 v70, vcc_lo, s8, v5
	v_mul_lo_u32 v11, s6, v11
	v_add_co_ci_u32_e32 v71, vcc_lo, s9, v6, vcc_lo
	v_add_co_u32 v72, vcc_lo, s10, v5
	v_add_co_ci_u32_e32 v73, vcc_lo, s11, v6, vcc_lo
	v_add_co_u32 v74, vcc_lo, s8, v7
	v_add_co_ci_u32_e32 v75, vcc_lo, s9, v8, vcc_lo
	v_add3_u32 v10, v10, v11, v12
	v_add_co_u32 v76, vcc_lo, s10, v7
	v_add_co_ci_u32_e32 v77, vcc_lo, s11, v8, vcc_lo
	v_add_co_u32 v3, vcc_lo, v3, s6
	s_delay_alu instid0(VALU_DEP_4)
	v_lshlrev_b64 v[5:6], 2, v[9:10]
	v_add_co_ci_u32_e32 v4, vcc_lo, s7, v4, vcc_lo
	v_add3_u32 v26, v16, v26, v15
	v_add3_u32 v40, v16, v40, v15
	v_mov_b32_e32 v53, 0
	v_add_co_u32 v78, vcc_lo, s8, v5
	v_lshlrev_b64 v[3:4], 2, v[3:4]
	v_add_co_ci_u32_e32 v79, vcc_lo, s9, v6, vcc_lo
	v_add_co_u32 v80, vcc_lo, s10, v5
	v_add_co_ci_u32_e32 v81, vcc_lo, s11, v6, vcc_lo
	s_delay_alu instid0(VALU_DEP_4) | instskip(SKIP_4) | instid1(SALU_CYCLE_1)
	v_add_co_u32 v82, vcc_lo, s8, v3
	v_add_co_ci_u32_e32 v83, vcc_lo, s9, v4, vcc_lo
	v_add_co_u32 v84, vcc_lo, s10, v3
	v_add_co_ci_u32_e32 v85, vcc_lo, s11, v4, vcc_lo
	s_mul_i32 s2, s6, s15
	s_lshl_b64 s[2:3], s[2:3], 2
	s_branch .LBB57_56
.LBB57_53:                              ;   in Loop: Header=BB57_56 Depth=1
	s_or_b32 exec_lo, exec_lo, s9
.LBB57_54:                              ;   in Loop: Header=BB57_56 Depth=1
	s_delay_alu instid0(SALU_CYCLE_1)
	s_or_b32 exec_lo, exec_lo, s8
	v_add_co_u32 v3, vcc_lo, v54, v19
	v_add_co_ci_u32_e32 v4, vcc_lo, v55, v20, vcc_lo
	s_waitcnt vmcnt(1)
	ds_bpermute_b32 v88, v2, v1
	global_load_b32 v6, v[3:4], off
	v_add_co_u32 v3, vcc_lo, v56, v19
	v_add_co_ci_u32_e32 v4, vcc_lo, v57, v20, vcc_lo
	global_load_b32 v7, v[3:4], off
	v_add_co_u32 v3, vcc_lo, v21, v19
	v_add_co_ci_u32_e32 v4, vcc_lo, v22, v20, vcc_lo
	global_load_b32 v8, v[3:4], off
	v_add_co_u32 v3, vcc_lo, v35, v19
	v_add_co_ci_u32_e32 v4, vcc_lo, v36, v20, vcc_lo
	global_load_b32 v9, v[3:4], off
	v_add_co_u32 v3, vcc_lo, v23, v19
	v_add_co_ci_u32_e32 v4, vcc_lo, v24, v20, vcc_lo
	global_load_b32 v11, v[3:4], off
	v_add_co_u32 v3, vcc_lo, v37, v19
	v_add_co_ci_u32_e32 v4, vcc_lo, v38, v20, vcc_lo
	global_load_b32 v12, v[3:4], off
	v_add_co_u32 v3, vcc_lo, v25, v19
	v_add_co_ci_u32_e32 v4, vcc_lo, v26, v20, vcc_lo
	global_load_b32 v13, v[3:4], off
	v_add_co_u32 v3, vcc_lo, v39, v19
	v_add_co_ci_u32_e32 v4, vcc_lo, v40, v20, vcc_lo
	global_load_b32 v14, v[3:4], off
	v_add_co_u32 v3, vcc_lo, v27, v19
	v_add_co_ci_u32_e32 v4, vcc_lo, v28, v20, vcc_lo
	global_load_b32 v15, v[3:4], off
	v_add_co_u32 v3, vcc_lo, v41, v19
	v_add_co_ci_u32_e32 v4, vcc_lo, v42, v20, vcc_lo
	global_load_b32 v16, v[3:4], off
	v_add_co_u32 v3, vcc_lo, v29, v19
	v_add_co_ci_u32_e32 v4, vcc_lo, v30, v20, vcc_lo
	global_load_b32 v17, v[3:4], off
	v_add_co_u32 v3, vcc_lo, v43, v19
	v_add_co_ci_u32_e32 v4, vcc_lo, v44, v20, vcc_lo
	global_load_b32 v18, v[3:4], off
	v_add_co_u32 v3, vcc_lo, v31, v19
	v_add_co_ci_u32_e32 v4, vcc_lo, v32, v20, vcc_lo
	global_load_b32 v86, v[3:4], off
	v_add_co_u32 v3, vcc_lo, v45, v19
	v_add_co_ci_u32_e32 v4, vcc_lo, v46, v20, vcc_lo
	global_load_b32 v87, v[3:4], off
	v_add_co_u32 v3, vcc_lo, v33, v19
	v_add_co_ci_u32_e32 v4, vcc_lo, v34, v20, vcc_lo
	global_load_b32 v10, v[3:4], off
	v_add_co_u32 v3, vcc_lo, v47, v19
	v_add_co_ci_u32_e32 v4, vcc_lo, v48, v20, vcc_lo
	global_load_b32 v4, v[3:4], off
	s_waitcnt vmcnt(16)
	ds_bpermute_b32 v3, v2, v5
	s_waitcnt vmcnt(14) lgkmcnt(1)
	v_sub_f32_e32 v7, v7, v88
	s_delay_alu instid0(VALU_DEP_1) | instskip(SKIP_1) | instid1(VALU_DEP_1)
	v_mul_f32_e32 v7, v6, v7
	s_waitcnt lgkmcnt(0)
	v_fmac_f32_e32 v53, v7, v3
	ds_bpermute_b32 v7, v2, v1 offset:4
	v_add_f32_e32 v3, v49, v6
	ds_bpermute_b32 v6, v2, v5 offset:4
	s_waitcnt vmcnt(13)
	v_add_f32_e32 v3, v3, v8
	s_waitcnt vmcnt(11)
	s_delay_alu instid0(VALU_DEP_1) | instskip(SKIP_2) | instid1(VALU_DEP_1)
	v_add_f32_e32 v3, v3, v11
	s_waitcnt lgkmcnt(1)
	v_sub_f32_e32 v7, v9, v7
	v_mul_f32_e32 v7, v8, v7
	s_waitcnt vmcnt(9)
	v_add_f32_e32 v3, v3, v13
	s_waitcnt lgkmcnt(0)
	s_delay_alu instid0(VALU_DEP_2)
	v_fmac_f32_e32 v53, v7, v6
	ds_bpermute_b32 v7, v2, v1 offset:8
	ds_bpermute_b32 v6, v2, v5 offset:8
	s_waitcnt vmcnt(7)
	v_add_f32_e32 v3, v3, v15
	s_waitcnt lgkmcnt(1)
	v_sub_f32_e32 v7, v12, v7
	s_delay_alu instid0(VALU_DEP_1) | instskip(SKIP_3) | instid1(VALU_DEP_2)
	v_mul_f32_e32 v7, v11, v7
	s_waitcnt vmcnt(5)
	v_add_f32_e32 v3, v3, v17
	s_waitcnt lgkmcnt(0)
	v_fmac_f32_e32 v53, v7, v6
	ds_bpermute_b32 v7, v2, v1 offset:12
	ds_bpermute_b32 v6, v2, v5 offset:12
	s_waitcnt vmcnt(3)
	v_add_f32_e32 v3, v3, v86
	s_waitcnt lgkmcnt(1)
	v_sub_f32_e32 v7, v14, v7
	s_delay_alu instid0(VALU_DEP_1) | instskip(SKIP_1) | instid1(VALU_DEP_1)
	v_mul_f32_e32 v7, v13, v7
	s_waitcnt lgkmcnt(0)
	v_fmac_f32_e32 v53, v7, v6
	ds_bpermute_b32 v7, v2, v1 offset:16
	ds_bpermute_b32 v6, v2, v5 offset:16
	s_waitcnt lgkmcnt(1)
	v_sub_f32_e32 v7, v16, v7
	s_delay_alu instid0(VALU_DEP_1) | instskip(SKIP_1) | instid1(VALU_DEP_1)
	v_mul_f32_e32 v7, v15, v7
	s_waitcnt lgkmcnt(0)
	v_fmac_f32_e32 v53, v7, v6
	ds_bpermute_b32 v7, v2, v1 offset:20
	ds_bpermute_b32 v6, v2, v5 offset:20
	;; [unrolled: 8-line block ×3, first 2 shown]
	ds_bpermute_b32 v6, v2, v5 offset:24
	ds_bpermute_b32 v5, v2, v5 offset:28
	s_waitcnt vmcnt(2) lgkmcnt(3)
	v_sub_f32_e32 v7, v87, v7
	s_waitcnt vmcnt(0) lgkmcnt(2)
	v_sub_f32_e32 v1, v4, v1
	s_delay_alu instid0(VALU_DEP_2) | instskip(NEXT) | instid1(VALU_DEP_2)
	v_mul_f32_e32 v7, v86, v7
	v_mul_f32_e32 v1, v10, v1
	s_waitcnt lgkmcnt(0)
	s_delay_alu instid0(VALU_DEP_1) | instskip(NEXT) | instid1(VALU_DEP_1)
	v_dual_fmac_f32 v53, v7, v6 :: v_dual_mul_f32 v4, v1, v5
	v_mov_b32_e32 v1, v53
.LBB57_55:                              ;   in Loop: Header=BB57_56 Depth=1
	v_add_co_u32 v21, vcc_lo, v21, s2
	v_add_co_ci_u32_e32 v22, vcc_lo, s3, v22, vcc_lo
	v_add_co_u32 v23, vcc_lo, v23, s2
	v_add_co_ci_u32_e32 v24, vcc_lo, s3, v24, vcc_lo
	;; [unrolled: 2-line block ×27, first 2 shown]
	v_add_co_u32 v80, vcc_lo, v80, s2
	s_add_u32 s12, s12, s15
	v_add_co_ci_u32_e32 v81, vcc_lo, s3, v81, vcc_lo
	s_addc_u32 s13, s13, 0
	v_add_co_u32 v82, vcc_lo, v82, s2
	v_cmp_ge_i64_e64 s8, s[12:13], s[4:5]
	v_add_co_ci_u32_e32 v83, vcc_lo, s3, v83, vcc_lo
	v_add_co_u32 v84, vcc_lo, v84, s2
	v_add_f32_e32 v53, v1, v4
	v_add_f32_e32 v49, v3, v10
	v_add_co_ci_u32_e32 v85, vcc_lo, s3, v85, vcc_lo
	s_add_u32 s30, s30, s15
	s_addc_u32 s31, s31, 0
	s_and_b32 vcc_lo, exec_lo, s8
	s_cbranch_vccnz .LBB57_82
.LBB57_56:                              ; =>This Inner Loop Header: Depth=1
	v_cmp_ge_i64_e64 s8, s[30:31], s[4:5]
	v_add_co_u32 v86, s9, v52, s30
	s_delay_alu instid0(VALU_DEP_1) | instskip(NEXT) | instid1(VALU_DEP_3)
	v_add_co_ci_u32_e64 v87, null, 0, s31, s9
	s_and_b32 vcc_lo, exec_lo, s8
	s_cbranch_vccz .LBB57_78
; %bb.57:                               ;   in Loop: Header=BB57_56 Depth=1
	s_load_b32 s8, s[28:29], 0xc
	v_dual_mov_b32 v89, 0 :: v_dual_mov_b32 v88, 0
	s_waitcnt lgkmcnt(0)
	s_and_b32 s8, s8, 0xffff
	s_delay_alu instid0(SALU_CYCLE_1) | instskip(SKIP_1) | instid1(VALU_DEP_1)
	v_mad_u32_u24 v1, v51, s8, v50
	s_mov_b32 s8, exec_lo
	v_and_b32_e32 v1, 31, v1
	s_delay_alu instid0(VALU_DEP_1)
	v_cmpx_gt_u32_e32 8, v1
	s_cbranch_execz .LBB57_61
; %bb.58:                               ;   in Loop: Header=BB57_56 Depth=1
	v_add_co_u32 v1, vcc_lo, v86, v1
	v_add_co_ci_u32_e32 v4, vcc_lo, 0, v87, vcc_lo
	v_dual_mov_b32 v88, 0 :: v_dual_mov_b32 v89, 0
	s_delay_alu instid0(VALU_DEP_3) | instskip(NEXT) | instid1(VALU_DEP_3)
	v_add_co_u32 v3, vcc_lo, 0xffffff81, v1
	v_add_co_ci_u32_e32 v4, vcc_lo, -1, v4, vcc_lo
	s_mov_b32 s9, exec_lo
	s_delay_alu instid0(VALU_DEP_1)
	v_cmpx_gt_i64_e64 s[4:5], v[3:4]
	s_cbranch_execz .LBB57_60
; %bb.59:                               ;   in Loop: Header=BB57_56 Depth=1
	v_lshlrev_b64 v[3:4], 2, v[3:4]
	s_delay_alu instid0(VALU_DEP_1) | instskip(NEXT) | instid1(VALU_DEP_2)
	v_add_co_u32 v5, vcc_lo, s24, v3
	v_add_co_ci_u32_e32 v6, vcc_lo, s25, v4, vcc_lo
	v_add_co_u32 v3, vcc_lo, s26, v3
	v_add_co_ci_u32_e32 v4, vcc_lo, s27, v4, vcc_lo
	global_load_b32 v88, v[5:6], off
	global_load_b32 v89, v[3:4], off
.LBB57_60:                              ;   in Loop: Header=BB57_56 Depth=1
	s_or_b32 exec_lo, exec_lo, s9
.LBB57_61:                              ;   in Loop: Header=BB57_56 Depth=1
	s_delay_alu instid0(SALU_CYCLE_1)
	s_or_b32 exec_lo, exec_lo, s8
	v_add_co_u32 v3, vcc_lo, 0xffffff81, v86
	s_mov_b32 s17, s16
	s_mov_b32 s18, s16
	;; [unrolled: 1-line block ×7, first 2 shown]
	v_add_co_ci_u32_e32 v4, vcc_lo, -1, v87, vcc_lo
	v_dual_mov_b32 v11, s16 :: v_dual_mov_b32 v12, s17
	v_dual_mov_b32 v13, s18 :: v_dual_mov_b32 v14, s19
	;; [unrolled: 1-line block ×4, first 2 shown]
	v_cmp_gt_i64_e32 vcc_lo, s[4:5], v[3:4]
	v_dual_mov_b32 v3, v11 :: v_dual_mov_b32 v4, v12
	v_dual_mov_b32 v5, v13 :: v_dual_mov_b32 v6, v14
	;; [unrolled: 1-line block ×4, first 2 shown]
	s_and_saveexec_b32 s8, vcc_lo
	s_cbranch_execz .LBB57_63
; %bb.62:                               ;   in Loop: Header=BB57_56 Depth=1
	v_add_co_u32 v3, vcc_lo, v54, v19
	v_add_co_ci_u32_e32 v4, vcc_lo, v55, v20, vcc_lo
	v_mov_b32_e32 v8, v2
	v_mov_b32_e32 v5, v2
	;; [unrolled: 1-line block ×3, first 2 shown]
	global_load_b32 v1, v[3:4], off
	v_add_co_u32 v3, vcc_lo, v56, v19
	v_add_co_ci_u32_e32 v4, vcc_lo, v57, v20, vcc_lo
	v_mov_b32_e32 v7, v2
	v_mov_b32_e32 v17, v2
	global_load_b32 v11, v[3:4], off
	v_mov_b32_e32 v3, v2
	v_mov_b32_e32 v4, v2
	s_waitcnt vmcnt(1)
	v_dual_mov_b32 v13, v2 :: v_dual_mov_b32 v10, v8
	v_dual_mov_b32 v12, v2 :: v_dual_mov_b32 v9, v7
	v_mov_b32_e32 v8, v6
	v_dual_mov_b32 v14, v2 :: v_dual_mov_b32 v7, v5
	v_dual_mov_b32 v15, v2 :: v_dual_mov_b32 v6, v4
	;; [unrolled: 1-line block ×3, first 2 shown]
	v_mov_b32_e32 v4, v2
	v_dual_mov_b32 v18, v2 :: v_dual_mov_b32 v3, v1
.LBB57_63:                              ;   in Loop: Header=BB57_56 Depth=1
	s_or_b32 exec_lo, exec_lo, s8
	v_add_co_u32 v90, vcc_lo, 0xffffff82, v86
	v_add_co_ci_u32_e32 v91, vcc_lo, -1, v87, vcc_lo
	s_mov_b32 s8, exec_lo
	s_delay_alu instid0(VALU_DEP_1)
	v_cmpx_gt_i64_e64 s[4:5], v[90:91]
	s_cbranch_execz .LBB57_65
; %bb.64:                               ;   in Loop: Header=BB57_56 Depth=1
	v_add_co_u32 v90, vcc_lo, v82, v19
	v_add_co_ci_u32_e32 v91, vcc_lo, v83, v20, vcc_lo
	v_add_co_u32 v92, vcc_lo, v84, v19
	v_add_co_ci_u32_e32 v93, vcc_lo, v85, v20, vcc_lo
	global_load_b32 v4, v[90:91], off
	global_load_b32 v12, v[92:93], off
.LBB57_65:                              ;   in Loop: Header=BB57_56 Depth=1
	s_or_b32 exec_lo, exec_lo, s8
	v_add_co_u32 v90, vcc_lo, 0xffffff83, v86
	v_add_co_ci_u32_e32 v91, vcc_lo, -1, v87, vcc_lo
	s_mov_b32 s8, exec_lo
	s_delay_alu instid0(VALU_DEP_1)
	v_cmpx_gt_i64_e64 s[4:5], v[90:91]
	s_cbranch_execz .LBB57_67
; %bb.66:                               ;   in Loop: Header=BB57_56 Depth=1
	v_add_co_u32 v90, vcc_lo, v78, v19
	v_add_co_ci_u32_e32 v91, vcc_lo, v79, v20, vcc_lo
	v_add_co_u32 v92, vcc_lo, v80, v19
	v_add_co_ci_u32_e32 v93, vcc_lo, v81, v20, vcc_lo
	global_load_b32 v5, v[90:91], off
	global_load_b32 v13, v[92:93], off
.LBB57_67:                              ;   in Loop: Header=BB57_56 Depth=1
	;; [unrolled: 15-line block ×7, first 2 shown]
	s_or_b32 exec_lo, exec_lo, s8
	s_waitcnt vmcnt(1)
	ds_bpermute_b32 v90, v2, v88
	s_waitcnt vmcnt(0)
	ds_bpermute_b32 v1, v2, v89
	s_waitcnt lgkmcnt(1)
	v_sub_f32_e32 v11, v11, v90
	ds_bpermute_b32 v90, v2, v88 offset:4
	s_waitcnt lgkmcnt(0)
	v_sub_f32_e32 v12, v12, v90
	s_delay_alu instid0(VALU_DEP_1) | instskip(SKIP_1) | instid1(VALU_DEP_2)
	v_dual_mul_f32 v12, v4, v12 :: v_dual_mul_f32 v11, v3, v11
	v_add_f32_e32 v3, v49, v3
	v_fma_f32 v1, v11, v1, v53
	ds_bpermute_b32 v11, v2, v89 offset:4
	v_add_f32_e32 v3, v4, v3
	ds_bpermute_b32 v4, v2, v89 offset:8
	v_add_f32_e32 v3, v5, v3
	s_delay_alu instid0(VALU_DEP_1) | instskip(NEXT) | instid1(VALU_DEP_1)
	v_add_f32_e32 v3, v6, v3
	v_add_f32_e32 v3, v7, v3
	s_waitcnt lgkmcnt(1)
	v_fmac_f32_e32 v1, v12, v11
	ds_bpermute_b32 v11, v2, v88 offset:8
	v_add_f32_e32 v3, v8, v3
	s_delay_alu instid0(VALU_DEP_1) | instskip(SKIP_2) | instid1(VALU_DEP_1)
	v_add_f32_e32 v3, v9, v3
	s_waitcnt lgkmcnt(0)
	v_sub_f32_e32 v11, v13, v11
	v_mul_f32_e32 v11, v5, v11
	ds_bpermute_b32 v5, v2, v88 offset:12
	v_fmac_f32_e32 v1, v11, v4
	ds_bpermute_b32 v4, v2, v89 offset:12
	s_waitcnt lgkmcnt(1)
	v_sub_f32_e32 v5, v14, v5
	s_delay_alu instid0(VALU_DEP_1) | instskip(SKIP_1) | instid1(VALU_DEP_1)
	v_mul_f32_e32 v5, v6, v5
	s_waitcnt lgkmcnt(0)
	v_fmac_f32_e32 v1, v5, v4
	ds_bpermute_b32 v5, v2, v88 offset:16
	ds_bpermute_b32 v4, v2, v89 offset:16
	s_waitcnt lgkmcnt(1)
	v_sub_f32_e32 v5, v15, v5
	s_delay_alu instid0(VALU_DEP_1) | instskip(SKIP_1) | instid1(VALU_DEP_1)
	v_mul_f32_e32 v5, v7, v5
	s_waitcnt lgkmcnt(0)
	v_fmac_f32_e32 v1, v5, v4
	ds_bpermute_b32 v5, v2, v88 offset:20
	;; [unrolled: 8-line block ×4, first 2 shown]
	ds_bpermute_b32 v4, v2, v89 offset:28
	s_waitcnt lgkmcnt(1)
	v_sub_f32_e32 v5, v18, v5
	s_delay_alu instid0(VALU_DEP_1) | instskip(SKIP_1) | instid1(VALU_DEP_1)
	v_mul_f32_e32 v5, v10, v5
	s_waitcnt lgkmcnt(0)
	v_mul_f32_e32 v4, v5, v4
	s_branch .LBB57_55
.LBB57_78:                              ;   in Loop: Header=BB57_56 Depth=1
                                        ; implicit-def: $vgpr10
                                        ; implicit-def: $vgpr4
                                        ; implicit-def: $vgpr3
                                        ; implicit-def: $vgpr1
	s_cbranch_execz .LBB57_55
; %bb.79:                               ;   in Loop: Header=BB57_56 Depth=1
	s_load_b32 s8, s[28:29], 0x0
	v_mov_b32_e32 v5, 0
	s_waitcnt lgkmcnt(0)
	s_cmp_lt_u32 s14, s8
	s_cselect_b32 s8, 12, 18
	s_delay_alu instid0(SALU_CYCLE_1)
	s_add_u32 s8, s28, s8
	s_addc_u32 s9, s29, 0
	global_load_u16 v1, v2, s[8:9]
	s_mov_b32 s8, exec_lo
	s_waitcnt vmcnt(0)
	v_mad_u32_u24 v1, v51, v1, v50
	s_delay_alu instid0(VALU_DEP_1) | instskip(SKIP_1) | instid1(VALU_DEP_2)
	v_and_b32_e32 v3, 31, v1
	v_mov_b32_e32 v1, 0
	v_cmpx_gt_u32_e32 8, v3
	s_cbranch_execz .LBB57_54
; %bb.80:                               ;   in Loop: Header=BB57_56 Depth=1
	v_add_co_u32 v1, vcc_lo, v86, v3
	v_add_co_ci_u32_e32 v4, vcc_lo, 0, v87, vcc_lo
	v_mov_b32_e32 v5, 0
	s_delay_alu instid0(VALU_DEP_3) | instskip(NEXT) | instid1(VALU_DEP_3)
	v_add_co_u32 v3, vcc_lo, 0xffffff81, v1
	v_add_co_ci_u32_e32 v4, vcc_lo, -1, v4, vcc_lo
	v_mov_b32_e32 v1, 0
	s_mov_b32 s9, exec_lo
	s_delay_alu instid0(VALU_DEP_2)
	v_cmpx_gt_i64_e64 s[4:5], v[3:4]
	s_cbranch_execz .LBB57_53
; %bb.81:                               ;   in Loop: Header=BB57_56 Depth=1
	v_lshlrev_b64 v[3:4], 2, v[3:4]
	s_delay_alu instid0(VALU_DEP_1) | instskip(NEXT) | instid1(VALU_DEP_2)
	v_add_co_u32 v5, vcc_lo, s24, v3
	v_add_co_ci_u32_e32 v6, vcc_lo, s25, v4, vcc_lo
	v_add_co_u32 v3, vcc_lo, s26, v3
	v_add_co_ci_u32_e32 v4, vcc_lo, s27, v4, vcc_lo
	global_load_b32 v1, v[5:6], off
	global_load_b32 v5, v[3:4], off
	s_branch .LBB57_53
.LBB57_82:
	v_and_b32_e32 v1, 0x3ff, v0
	v_bfe_u32 v0, v0, 10, 10
	s_mov_b32 s15, 0
	s_mov_b32 s2, exec_lo
	s_delay_alu instid0(VALU_DEP_1) | instskip(NEXT) | instid1(VALU_DEP_1)
	v_mad_u32_u24 v2, 0x41, v0, v1
	v_sub_nc_u32_e32 v0, v2, v0
	v_lshl_add_u32 v2, v2, 2, 0
	ds_store_b32 v2, v53
	ds_store_b32 v2, v49 offset:4160
	s_waitcnt lgkmcnt(0)
	s_barrier
	buffer_gl0_inv
	v_cmpx_gt_u32_e32 0x800, v0
	s_cbranch_execz .LBB57_92
; %bb.83:
	v_mbcnt_lo_u32_b32 v2, -1, 0
	v_lshrrev_b32_e32 v4, 5, v0
	s_load_b128 s[8:11], s[0:1], 0x30
	v_cmp_eq_u32_e64 s0, 0, v1
	s_lshl_b64 s[4:5], s[14:15], 6
	v_xor_b32_e32 v0, 8, v2
	v_xor_b32_e32 v5, 2, v2
	;; [unrolled: 1-line block ×3, first 2 shown]
                                        ; implicit-def: $vgpr12
	v_mov_b32_e32 v9, 0
	s_delay_alu instid0(VALU_DEP_4) | instskip(SKIP_3) | instid1(VALU_DEP_3)
	v_cmp_gt_i32_e32 vcc_lo, 32, v0
	v_and_b32_e32 v3, 31, v1
	v_xor_b32_e32 v1, 4, v2
	v_cndmask_b32_e32 v0, v2, v0, vcc_lo
	v_mad_u32_u24 v11, 0x41, v3, v4
	s_delay_alu instid0(VALU_DEP_3)
	v_cmp_gt_i32_e32 vcc_lo, 32, v1
	v_cmp_gt_u32_e64 s1, 16, v3
	v_cndmask_b32_e32 v1, v2, v1, vcc_lo
	v_cmp_gt_i32_e32 vcc_lo, 32, v5
	s_waitcnt lgkmcnt(0)
	s_cmp_lg_u64 s[8:9], 0
	s_cselect_b32 s3, -1, 0
	s_cmp_lg_u64 s[10:11], 0
	v_cndmask_b32_e32 v7, v2, v5, vcc_lo
	v_cmp_gt_i32_e32 vcc_lo, 32, v6
	v_lshlrev_b32_e32 v5, 2, v0
	v_lshlrev_b32_e32 v0, 2, v4
	s_cselect_b32 s12, -1, 0
	s_lshl_b64 s[16:17], s[14:15], 8
	v_cndmask_b32_e32 v2, v2, v6, vcc_lo
	v_lshlrev_b32_e32 v6, 2, v1
	s_delay_alu instid0(VALU_DEP_2) | instskip(SKIP_1) | instid1(VALU_DEP_1)
	v_lshlrev_b32_e32 v8, 2, v2
	v_add_co_u32 v2, s2, s16, v0
	v_add_co_ci_u32_e64 v10, null, s17, 0, s2
	v_lshlrev_b32_e32 v7, 2, v7
	s_delay_alu instid0(VALU_DEP_3) | instskip(NEXT) | instid1(VALU_DEP_3)
	v_add_co_u32 v0, vcc_lo, s10, v2
	v_add_co_ci_u32_e32 v1, vcc_lo, s11, v10, vcc_lo
	v_add_co_u32 v2, vcc_lo, s8, v2
	v_add_co_ci_u32_e32 v3, vcc_lo, s9, v10, vcc_lo
	v_lshl_add_u32 v10, v11, 2, 0
                                        ; implicit-def: $vgpr11
	s_branch .LBB57_85
.LBB57_84:                              ;   in Loop: Header=BB57_85 Depth=1
	s_or_b32 exec_lo, exec_lo, s2
	v_add_co_u32 v4, vcc_lo, v4, 32
	v_add_co_ci_u32_e32 v9, vcc_lo, 0, v9, vcc_lo
	v_add_co_u32 v0, vcc_lo, 0x80, v0
	s_delay_alu instid0(VALU_DEP_3) | instskip(SKIP_2) | instid1(VALU_DEP_3)
	v_subrev_nc_u32_e32 v13, 32, v4
	v_add_co_ci_u32_e32 v1, vcc_lo, 0, v1, vcc_lo
	v_add_co_u32 v2, s2, 0x80, v2
	v_cmp_lt_u32_e32 vcc_lo, 31, v13
	v_add_co_ci_u32_e64 v3, s2, 0, v3, s2
	v_add_nc_u32_e32 v10, 0x80, v10
	s_or_b32 s15, vcc_lo, s15
	s_delay_alu instid0(SALU_CYCLE_1)
	s_and_not1_b32 exec_lo, exec_lo, s15
	s_cbranch_execz .LBB57_92
.LBB57_85:                              ; =>This Inner Loop Header: Depth=1
	s_and_saveexec_b32 s2, s1
	s_cbranch_execz .LBB57_87
; %bb.86:                               ;   in Loop: Header=BB57_85 Depth=1
	ds_load_b32 v11, v10
	ds_load_b32 v12, v10 offset:4160
.LBB57_87:                              ;   in Loop: Header=BB57_85 Depth=1
	s_or_b32 exec_lo, exec_lo, s2
	s_waitcnt lgkmcnt(1)
	ds_bpermute_b32 v13, v5, v11
	s_waitcnt lgkmcnt(1)
	ds_bpermute_b32 v14, v5, v12
	s_waitcnt lgkmcnt(0)
	v_dual_add_f32 v11, v11, v13 :: v_dual_add_f32 v12, v12, v14
	ds_bpermute_b32 v13, v6, v11
	ds_bpermute_b32 v14, v6, v12
	s_waitcnt lgkmcnt(0)
	v_dual_add_f32 v11, v11, v13 :: v_dual_add_f32 v12, v12, v14
	ds_bpermute_b32 v13, v7, v11
	ds_bpermute_b32 v14, v7, v12
	s_waitcnt lgkmcnt(0)
	v_dual_add_f32 v13, v11, v13 :: v_dual_add_f32 v14, v12, v14
	v_add_co_u32 v11, vcc_lo, s4, v4
	v_add_co_ci_u32_e32 v12, vcc_lo, s5, v9, vcc_lo
	ds_bpermute_b32 v15, v8, v13
	ds_bpermute_b32 v16, v8, v14
	v_cmp_gt_i64_e32 vcc_lo, s[6:7], v[11:12]
	s_and_b32 s8, s0, vcc_lo
	s_waitcnt lgkmcnt(0)
	v_dual_add_f32 v11, v13, v15 :: v_dual_add_f32 v12, v14, v16
	s_and_saveexec_b32 s2, s8
	s_cbranch_execz .LBB57_84
; %bb.88:                               ;   in Loop: Header=BB57_85 Depth=1
	s_and_not1_b32 vcc_lo, exec_lo, s3
	s_cbranch_vccnz .LBB57_90
; %bb.89:                               ;   in Loop: Header=BB57_85 Depth=1
	global_store_b32 v[2:3], v11, off
.LBB57_90:                              ;   in Loop: Header=BB57_85 Depth=1
	s_and_not1_b32 vcc_lo, exec_lo, s12
	s_cbranch_vccnz .LBB57_84
; %bb.91:                               ;   in Loop: Header=BB57_85 Depth=1
	global_store_b32 v[0:1], v12, off
	s_branch .LBB57_84
.LBB57_92:
	s_nop 0
	s_sendmsg sendmsg(MSG_DEALLOC_VGPRS)
	s_endpgm
	.section	.rodata,"a",@progbits
	.p2align	6, 0x0
	.amdhsa_kernel _ZN2at6native12_GLOBAL__N_135GammaBetaBackwardCUDAKernelTemplateIffLj64ELj16ELj128ELb0ELb0ELb0EEEvllPKT_S5_PKT0_S8_PS3_S9_
		.amdhsa_group_segment_fixed_size 0
		.amdhsa_private_segment_fixed_size 0
		.amdhsa_kernarg_size 320
		.amdhsa_user_sgpr_count 14
		.amdhsa_user_sgpr_dispatch_ptr 0
		.amdhsa_user_sgpr_queue_ptr 0
		.amdhsa_user_sgpr_kernarg_segment_ptr 1
		.amdhsa_user_sgpr_dispatch_id 0
		.amdhsa_user_sgpr_private_segment_size 0
		.amdhsa_wavefront_size32 1
		.amdhsa_uses_dynamic_stack 0
		.amdhsa_enable_private_segment 0
		.amdhsa_system_sgpr_workgroup_id_x 1
		.amdhsa_system_sgpr_workgroup_id_y 1
		.amdhsa_system_sgpr_workgroup_id_z 0
		.amdhsa_system_sgpr_workgroup_info 0
		.amdhsa_system_vgpr_workitem_id 1
		.amdhsa_next_free_vgpr 94
		.amdhsa_next_free_sgpr 40
		.amdhsa_reserve_vcc 1
		.amdhsa_float_round_mode_32 0
		.amdhsa_float_round_mode_16_64 0
		.amdhsa_float_denorm_mode_32 3
		.amdhsa_float_denorm_mode_16_64 3
		.amdhsa_dx10_clamp 1
		.amdhsa_ieee_mode 1
		.amdhsa_fp16_overflow 0
		.amdhsa_workgroup_processor_mode 1
		.amdhsa_memory_ordered 1
		.amdhsa_forward_progress 0
		.amdhsa_shared_vgpr_count 0
		.amdhsa_exception_fp_ieee_invalid_op 0
		.amdhsa_exception_fp_denorm_src 0
		.amdhsa_exception_fp_ieee_div_zero 0
		.amdhsa_exception_fp_ieee_overflow 0
		.amdhsa_exception_fp_ieee_underflow 0
		.amdhsa_exception_fp_ieee_inexact 0
		.amdhsa_exception_int_div_zero 0
	.end_amdhsa_kernel
	.section	.text._ZN2at6native12_GLOBAL__N_135GammaBetaBackwardCUDAKernelTemplateIffLj64ELj16ELj128ELb0ELb0ELb0EEEvllPKT_S5_PKT0_S8_PS3_S9_,"axG",@progbits,_ZN2at6native12_GLOBAL__N_135GammaBetaBackwardCUDAKernelTemplateIffLj64ELj16ELj128ELb0ELb0ELb0EEEvllPKT_S5_PKT0_S8_PS3_S9_,comdat
.Lfunc_end57:
	.size	_ZN2at6native12_GLOBAL__N_135GammaBetaBackwardCUDAKernelTemplateIffLj64ELj16ELj128ELb0ELb0ELb0EEEvllPKT_S5_PKT0_S8_PS3_S9_, .Lfunc_end57-_ZN2at6native12_GLOBAL__N_135GammaBetaBackwardCUDAKernelTemplateIffLj64ELj16ELj128ELb0ELb0ELb0EEEvllPKT_S5_PKT0_S8_PS3_S9_
                                        ; -- End function
	.section	.AMDGPU.csdata,"",@progbits
; Kernel info:
; codeLenInByte = 8232
; NumSgprs: 42
; NumVgprs: 94
; ScratchSize: 0
; MemoryBound: 0
; FloatMode: 240
; IeeeMode: 1
; LDSByteSize: 0 bytes/workgroup (compile time only)
; SGPRBlocks: 5
; VGPRBlocks: 11
; NumSGPRsForWavesPerEU: 42
; NumVGPRsForWavesPerEU: 94
; Occupancy: 16
; WaveLimiterHint : 0
; COMPUTE_PGM_RSRC2:SCRATCH_EN: 0
; COMPUTE_PGM_RSRC2:USER_SGPR: 14
; COMPUTE_PGM_RSRC2:TRAP_HANDLER: 0
; COMPUTE_PGM_RSRC2:TGID_X_EN: 1
; COMPUTE_PGM_RSRC2:TGID_Y_EN: 1
; COMPUTE_PGM_RSRC2:TGID_Z_EN: 0
; COMPUTE_PGM_RSRC2:TIDIG_COMP_CNT: 1
	.section	.text._ZN2at6native12_GLOBAL__N_135GammaBetaBackwardCUDAKernelTemplateIffLj64ELj16ELj256ELb0ELb1ELb0EEEvllPKT_S5_PKT0_S8_PS3_S9_,"axG",@progbits,_ZN2at6native12_GLOBAL__N_135GammaBetaBackwardCUDAKernelTemplateIffLj64ELj16ELj256ELb0ELb1ELb0EEEvllPKT_S5_PKT0_S8_PS3_S9_,comdat
	.globl	_ZN2at6native12_GLOBAL__N_135GammaBetaBackwardCUDAKernelTemplateIffLj64ELj16ELj256ELb0ELb1ELb0EEEvllPKT_S5_PKT0_S8_PS3_S9_ ; -- Begin function _ZN2at6native12_GLOBAL__N_135GammaBetaBackwardCUDAKernelTemplateIffLj64ELj16ELj256ELb0ELb1ELb0EEEvllPKT_S5_PKT0_S8_PS3_S9_
	.p2align	8
	.type	_ZN2at6native12_GLOBAL__N_135GammaBetaBackwardCUDAKernelTemplateIffLj64ELj16ELj256ELb0ELb1ELb0EEEvllPKT_S5_PKT0_S8_PS3_S9_,@function
_ZN2at6native12_GLOBAL__N_135GammaBetaBackwardCUDAKernelTemplateIffLj64ELj16ELj256ELb0ELb1ELb0EEEvllPKT_S5_PKT0_S8_PS3_S9_: ; @_ZN2at6native12_GLOBAL__N_135GammaBetaBackwardCUDAKernelTemplateIffLj64ELj16ELj256ELb0ELb1ELb0EEEvllPKT_S5_PKT0_S8_PS3_S9_
; %bb.0:
	s_load_b128 s[20:23], s[0:1], 0x0
	s_mov_b32 s3, 0
	s_lshl_b32 s2, s15, 8
	v_bfe_u32 v7, v0, 10, 10
	s_waitcnt lgkmcnt(0)
	v_cmp_lt_i64_e64 s4, s[2:3], s[20:21]
	s_delay_alu instid0(VALU_DEP_1)
	s_and_b32 vcc_lo, exec_lo, s4
	s_cbranch_vccnz .LBB58_2
; %bb.1:
	v_bfe_u32 v1, v0, 10, 10
	s_mov_b32 s5, 0
	s_mov_b32 s4, s3
	s_branch .LBB58_3
.LBB58_2:
	s_mov_b32 s4, -1
                                        ; implicit-def: $sgpr5
                                        ; implicit-def: $vgpr1
.LBB58_3:
	s_load_b128 s[16:19], s[0:1], 0x30
	v_dual_mov_b32 v27, s5 :: v_dual_and_b32 v6, 0x3ff, v0
	v_mov_b32_e32 v0, s5
	s_and_not1_b32 vcc_lo, exec_lo, s4
	s_cbranch_vccnz .LBB58_11
; %bb.4:
	s_clause 0x2
	s_load_b32 s12, s[0:1], 0x4c
	s_load_b32 s15, s[0:1], 0x44
	s_load_b256 s[4:11], s[0:1], 0x10
	v_dual_mov_b32 v1, 0 :: v_dual_lshlrev_b32 v2, 4, v7
	v_lshl_add_u32 v0, s14, 6, v6
	v_dual_mov_b32 v8, 16 :: v_dual_mov_b32 v9, 4
	s_delay_alu instid0(VALU_DEP_3) | instskip(NEXT) | instid1(VALU_DEP_1)
	v_add_co_u32 v2, s0, v2, s2
	v_add_co_ci_u32_e64 v3, null, 0, 0, s0
	s_delay_alu instid0(VALU_DEP_4) | instskip(NEXT) | instid1(VALU_DEP_3)
	v_lshlrev_b64 v[25:26], 2, v[0:1]
	v_mul_lo_u32 v22, s23, v2
	v_mad_u64_u32 v[4:5], null, s22, v2, 0
	s_delay_alu instid0(VALU_DEP_4)
	v_mul_lo_u32 v23, s22, v3
	v_dual_mov_b32 v10, 8 :: v_dual_mov_b32 v11, 12
	v_dual_mov_b32 v12, 20 :: v_dual_mov_b32 v13, 24
	s_waitcnt lgkmcnt(0)
	s_and_b32 s0, s12, 0xffff
	s_lshl_b32 s12, s15, 8
	v_mad_u32_u24 v18, v7, s0, v6
	s_delay_alu instid0(VALU_DEP_4) | instskip(SKIP_2) | instid1(VALU_DEP_2)
	v_add3_u32 v5, v5, v23, v22
	s_mul_i32 s1, s23, s12
	s_mul_hi_u32 s15, s22, s12
	v_dual_mov_b32 v19, 48 :: v_dual_and_b32 v24, 31, v18
	v_dual_mov_b32 v14, 28 :: v_dual_mov_b32 v15, 32
	v_dual_mov_b32 v16, 36 :: v_dual_mov_b32 v17, 40
	s_delay_alu instid0(VALU_DEP_3)
	v_cmp_gt_u32_e64 s0, 16, v24
	v_add_co_u32 v2, vcc_lo, v2, v24
	v_lshlrev_b64 v[23:24], 2, v[4:5]
	v_add_co_ci_u32_e32 v3, vcc_lo, 0, v3, vcc_lo
	v_dual_mov_b32 v18, 44 :: v_dual_mov_b32 v21, 56
	v_dual_mov_b32 v20, 52 :: v_dual_mov_b32 v27, 0
	s_delay_alu instid0(VALU_DEP_4) | instskip(NEXT) | instid1(VALU_DEP_4)
	v_add_co_u32 v23, vcc_lo, v23, v25
	v_lshlrev_b64 v[4:5], 2, v[2:3]
	v_mov_b32_e32 v22, 60
	v_add_co_ci_u32_e32 v24, vcc_lo, v24, v26, vcc_lo
	v_mov_b32_e32 v0, 0
	s_mov_b32 s13, 0
	s_add_i32 s27, s15, s1
	s_mul_i32 s26, s22, s12
	s_lshl_b64 s[24:25], s[12:13], 2
	s_lshl_b64 s[26:27], s[26:27], 2
	s_lshl_b64 s[22:23], s[22:23], 2
	s_branch .LBB58_7
.LBB58_5:                               ;   in Loop: Header=BB58_7 Depth=1
	s_or_b32 exec_lo, exec_lo, s13
.LBB58_6:                               ;   in Loop: Header=BB58_7 Depth=1
	s_delay_alu instid0(SALU_CYCLE_1)
	s_or_b32 exec_lo, exec_lo, s1
	v_add_co_u32 v28, vcc_lo, s4, v23
	v_add_co_ci_u32_e32 v29, vcc_lo, s5, v24, vcc_lo
	v_add_co_u32 v30, vcc_lo, s6, v23
	v_add_co_ci_u32_e32 v31, vcc_lo, s7, v24, vcc_lo
	s_waitcnt vmcnt(0)
	ds_bpermute_b32 v64, v9, v25
	global_load_b32 v38, v[28:29], off
	global_load_b32 v39, v[30:31], off
	v_add_co_u32 v28, vcc_lo, v28, s22
	v_add_co_ci_u32_e32 v29, vcc_lo, s23, v29, vcc_lo
	v_add_co_u32 v30, vcc_lo, v30, s22
	v_add_co_ci_u32_e32 v31, vcc_lo, s23, v31, vcc_lo
	s_delay_alu instid0(VALU_DEP_4) | instskip(NEXT) | instid1(VALU_DEP_4)
	v_add_co_u32 v32, vcc_lo, v28, s22
	v_add_co_ci_u32_e32 v33, vcc_lo, s23, v29, vcc_lo
	s_delay_alu instid0(VALU_DEP_4) | instskip(NEXT) | instid1(VALU_DEP_4)
	v_add_co_u32 v34, vcc_lo, v30, s22
	v_add_co_ci_u32_e32 v35, vcc_lo, s23, v31, vcc_lo
	s_delay_alu instid0(VALU_DEP_4) | instskip(NEXT) | instid1(VALU_DEP_4)
	v_add_co_u32 v36, vcc_lo, v32, s22
	v_add_co_ci_u32_e32 v37, vcc_lo, s23, v33, vcc_lo
	global_load_b32 v40, v[28:29], off
	global_load_b32 v41, v[30:31], off
	global_load_b32 v42, v[32:33], off
	global_load_b32 v43, v[34:35], off
	global_load_b32 v44, v[36:37], off
	v_add_co_u32 v28, vcc_lo, v34, s22
	v_add_co_ci_u32_e32 v29, vcc_lo, s23, v35, vcc_lo
	v_add_co_u32 v30, vcc_lo, v36, s22
	v_add_co_ci_u32_e32 v31, vcc_lo, s23, v37, vcc_lo
	s_delay_alu instid0(VALU_DEP_4) | instskip(NEXT) | instid1(VALU_DEP_4)
	v_add_co_u32 v32, vcc_lo, v28, s22
	v_add_co_ci_u32_e32 v33, vcc_lo, s23, v29, vcc_lo
	s_delay_alu instid0(VALU_DEP_4) | instskip(NEXT) | instid1(VALU_DEP_4)
	v_add_co_u32 v34, vcc_lo, v30, s22
	v_add_co_ci_u32_e32 v35, vcc_lo, s23, v31, vcc_lo
	s_delay_alu instid0(VALU_DEP_4) | instskip(NEXT) | instid1(VALU_DEP_4)
	v_add_co_u32 v36, vcc_lo, v32, s22
	v_add_co_ci_u32_e32 v37, vcc_lo, s23, v33, vcc_lo
	global_load_b32 v45, v[28:29], off
	global_load_b32 v46, v[30:31], off
	global_load_b32 v47, v[32:33], off
	;; [unrolled: 18-line block ×4, first 2 shown]
	global_load_b32 v58, v[34:35], off
	global_load_b32 v59, v[36:37], off
	v_add_co_u32 v28, vcc_lo, v36, s22
	v_add_co_ci_u32_e32 v29, vcc_lo, s23, v37, vcc_lo
	v_add_co_u32 v30, vcc_lo, v34, s22
	v_add_co_ci_u32_e32 v31, vcc_lo, s23, v35, vcc_lo
	global_load_b32 v60, v[28:29], off
	v_add_co_u32 v32, vcc_lo, v30, s22
	v_add_co_ci_u32_e32 v33, vcc_lo, s23, v31, vcc_lo
	v_add_co_u32 v28, vcc_lo, v28, s22
	v_add_co_ci_u32_e32 v29, vcc_lo, s23, v29, vcc_lo
	s_delay_alu instid0(VALU_DEP_4) | instskip(NEXT) | instid1(VALU_DEP_4)
	v_add_co_u32 v34, vcc_lo, v32, s22
	v_add_co_ci_u32_e32 v35, vcc_lo, s23, v33, vcc_lo
	s_delay_alu instid0(VALU_DEP_4) | instskip(NEXT) | instid1(VALU_DEP_4)
	v_add_co_u32 v36, vcc_lo, v28, s22
	v_add_co_ci_u32_e32 v37, vcc_lo, s23, v29, vcc_lo
	global_load_b32 v61, v[30:31], off
	global_load_b32 v32, v[32:33], off
	;; [unrolled: 1-line block ×5, first 2 shown]
	v_add_co_u32 v28, vcc_lo, v36, s22
	v_add_co_ci_u32_e32 v29, vcc_lo, s23, v37, vcc_lo
	v_add_co_u32 v30, vcc_lo, v34, s22
	v_add_co_ci_u32_e32 v31, vcc_lo, s23, v35, vcc_lo
	global_load_b32 v34, v[28:29], off
	v_add_co_u32 v28, vcc_lo, v28, s22
	v_add_co_ci_u32_e32 v29, vcc_lo, s23, v29, vcc_lo
	global_load_b32 v35, v[30:31], off
	global_load_b32 v36, v[28:29], off
	v_add_co_u32 v28, vcc_lo, v30, s22
	v_add_co_ci_u32_e32 v29, vcc_lo, s23, v31, vcc_lo
	ds_bpermute_b32 v30, v9, v26
	ds_bpermute_b32 v31, v1, v25
	;; [unrolled: 1-line block ×3, first 2 shown]
	global_load_b32 v28, v[28:29], off
	ds_bpermute_b32 v29, v1, v26
	ds_bpermute_b32 v65, v11, v26
	;; [unrolled: 1-line block ×4, first 2 shown]
	v_add_co_u32 v4, vcc_lo, v4, s24
	s_add_u32 s2, s2, s12
	v_add_co_ci_u32_e32 v5, vcc_lo, s25, v5, vcc_lo
	s_addc_u32 s3, s3, 0
	v_add_co_u32 v2, vcc_lo, v2, s12
	v_add_co_ci_u32_e32 v3, vcc_lo, 0, v3, vcc_lo
	v_cmp_lt_i64_e64 s1, s[2:3], s[20:21]
	v_add_co_u32 v23, vcc_lo, v23, s26
	v_add_co_ci_u32_e32 v24, vcc_lo, s27, v24, vcc_lo
	s_delay_alu instid0(VALU_DEP_3)
	s_and_b32 vcc_lo, exec_lo, s1
	s_waitcnt vmcnt(30) lgkmcnt(3)
	v_sub_f32_e32 v29, v39, v29
	ds_bpermute_b32 v39, v10, v25
	s_waitcnt vmcnt(28)
	v_dual_sub_f32 v30, v41, v30 :: v_dual_mul_f32 v29, v38, v29
	ds_bpermute_b32 v41, v11, v25
	v_add_f32_e32 v27, v27, v38
	ds_bpermute_b32 v38, v12, v25
	v_dual_fmac_f32 v0, v29, v31 :: v_dual_mul_f32 v29, v40, v30
	s_waitcnt vmcnt(26)
	v_sub_f32_e32 v30, v43, v37
	ds_bpermute_b32 v31, v8, v25
	ds_bpermute_b32 v37, v13, v26
	v_add_f32_e32 v27, v27, v40
	v_dual_fmac_f32 v0, v29, v64 :: v_dual_mul_f32 v29, v42, v30
	ds_bpermute_b32 v40, v14, v26
	ds_bpermute_b32 v43, v16, v26
	s_waitcnt lgkmcnt(6)
	v_fmac_f32_e32 v0, v29, v39
	ds_bpermute_b32 v39, v13, v25
	s_waitcnt vmcnt(24)
	v_dual_sub_f32 v30, v45, v65 :: v_dual_add_f32 v27, v27, v42
	ds_bpermute_b32 v42, v15, v26
	v_mul_f32_e32 v29, v44, v30
	s_waitcnt vmcnt(22)
	v_sub_f32_e32 v30, v47, v66
	s_waitcnt lgkmcnt(7)
	s_delay_alu instid0(VALU_DEP_2) | instskip(SKIP_1) | instid1(VALU_DEP_2)
	v_dual_add_f32 v27, v27, v44 :: v_dual_fmac_f32 v0, v29, v41
	s_waitcnt vmcnt(20)
	v_dual_mul_f32 v29, v46, v30 :: v_dual_sub_f32 v30, v49, v67
	ds_bpermute_b32 v41, v14, v25
	s_waitcnt lgkmcnt(6)
	v_dual_add_f32 v27, v27, v46 :: v_dual_fmac_f32 v0, v29, v31
	v_mul_f32_e32 v29, v48, v30
	ds_bpermute_b32 v31, v15, v25
	v_dual_add_f32 v27, v27, v48 :: v_dual_fmac_f32 v0, v29, v38
	s_waitcnt vmcnt(18) lgkmcnt(6)
	v_sub_f32_e32 v30, v51, v37
	ds_bpermute_b32 v37, v17, v26
	ds_bpermute_b32 v38, v16, v25
	s_waitcnt vmcnt(16) lgkmcnt(7)
	v_dual_mul_f32 v29, v50, v30 :: v_dual_sub_f32 v30, v53, v40
	ds_bpermute_b32 v40, v18, v26
	s_waitcnt lgkmcnt(6)
	v_dual_add_f32 v27, v27, v50 :: v_dual_fmac_f32 v0, v29, v39
	v_mul_f32_e32 v29, v52, v30
	ds_bpermute_b32 v39, v17, v25
	s_waitcnt lgkmcnt(5)
	v_dual_add_f32 v27, v27, v52 :: v_dual_fmac_f32 v0, v29, v41
	ds_bpermute_b32 v41, v18, v25
	s_waitcnt vmcnt(14)
	v_sub_f32_e32 v30, v55, v42
	ds_bpermute_b32 v42, v19, v26
	s_waitcnt vmcnt(12)
	v_dual_mul_f32 v29, v54, v30 :: v_dual_sub_f32 v30, v57, v43
	ds_bpermute_b32 v43, v20, v26
	s_waitcnt lgkmcnt(7)
	v_dual_add_f32 v27, v27, v54 :: v_dual_fmac_f32 v0, v29, v31
	s_waitcnt vmcnt(10) lgkmcnt(6)
	v_dual_mul_f32 v29, v56, v30 :: v_dual_sub_f32 v30, v59, v37
	ds_bpermute_b32 v31, v19, v25
	ds_bpermute_b32 v37, v21, v26
	;; [unrolled: 1-line block ×3, first 2 shown]
	s_waitcnt lgkmcnt(8)
	v_dual_add_f32 v27, v27, v56 :: v_dual_fmac_f32 v0, v29, v38
	s_waitcnt vmcnt(9) lgkmcnt(7)
	v_dual_mul_f32 v29, v58, v30 :: v_dual_sub_f32 v30, v60, v40
	ds_bpermute_b32 v38, v20, v25
	s_waitcnt lgkmcnt(7)
	v_dual_add_f32 v27, v27, v58 :: v_dual_fmac_f32 v0, v29, v39
	s_waitcnt vmcnt(8)
	v_mul_f32_e32 v29, v61, v30
	s_waitcnt vmcnt(6) lgkmcnt(5)
	s_delay_alu instid0(VALU_DEP_2)
	v_dual_add_f32 v27, v27, v61 :: v_dual_sub_f32 v30, v33, v42
	ds_bpermute_b32 v33, v21, v25
	ds_bpermute_b32 v25, v22, v25
	v_dual_fmac_f32 v0, v29, v41 :: v_dual_mul_f32 v29, v32, v30
	s_waitcnt vmcnt(4) lgkmcnt(6)
	v_sub_f32_e32 v30, v63, v43
	s_waitcnt lgkmcnt(5)
	s_delay_alu instid0(VALU_DEP_2) | instskip(NEXT) | instid1(VALU_DEP_2)
	v_dual_add_f32 v27, v27, v32 :: v_dual_fmac_f32 v0, v29, v31
	v_mul_f32_e32 v29, v62, v30
	s_waitcnt vmcnt(3) lgkmcnt(4)
	v_sub_f32_e32 v30, v34, v37
	s_waitcnt lgkmcnt(2)
	s_delay_alu instid0(VALU_DEP_2) | instskip(SKIP_3) | instid1(VALU_DEP_1)
	v_fmac_f32_e32 v0, v29, v38
	s_waitcnt vmcnt(1)
	v_sub_f32_e32 v26, v36, v26
	s_waitcnt vmcnt(0)
	v_mul_f32_e32 v26, v28, v26
	v_mul_f32_e32 v29, v35, v30
	s_waitcnt lgkmcnt(1)
	s_delay_alu instid0(VALU_DEP_1) | instskip(SKIP_1) | instid1(VALU_DEP_1)
	v_dual_add_f32 v27, v27, v62 :: v_dual_fmac_f32 v0, v29, v33
	s_waitcnt lgkmcnt(0)
	v_dual_add_f32 v27, v27, v35 :: v_dual_fmac_f32 v0, v26, v25
	s_delay_alu instid0(VALU_DEP_1)
	v_add_f32_e32 v27, v27, v28
	s_cbranch_vccz .LBB58_10
.LBB58_7:                               ; =>This Inner Loop Header: Depth=1
	v_dual_mov_b32 v25, 0 :: v_dual_mov_b32 v26, 0
	s_and_saveexec_b32 s1, s0
	s_cbranch_execz .LBB58_6
; %bb.8:                                ;   in Loop: Header=BB58_7 Depth=1
	v_dual_mov_b32 v26, 0 :: v_dual_mov_b32 v25, 0
	s_mov_b32 s13, exec_lo
	v_cmpx_gt_i64_e64 s[20:21], v[2:3]
	s_cbranch_execz .LBB58_5
; %bb.9:                                ;   in Loop: Header=BB58_7 Depth=1
	v_add_co_u32 v25, vcc_lo, s8, v4
	v_add_co_ci_u32_e32 v26, vcc_lo, s9, v5, vcc_lo
	v_add_co_u32 v28, vcc_lo, s10, v4
	v_add_co_ci_u32_e32 v29, vcc_lo, s11, v5, vcc_lo
	global_load_b32 v26, v[25:26], off
	global_load_b32 v25, v[28:29], off
	s_branch .LBB58_5
.LBB58_10:
	v_mov_b32_e32 v1, v7
.LBB58_11:
	s_delay_alu instid0(VALU_DEP_1) | instskip(SKIP_2) | instid1(VALU_DEP_1)
	v_mad_u32_u24 v2, 0x41, v1, v6
	s_mov_b32 s15, 0
	s_mov_b32 s0, exec_lo
	v_sub_nc_u32_e32 v1, v2, v1
	v_lshl_add_u32 v2, v2, 2, 0
	ds_store_b32 v2, v0
	ds_store_b32 v2, v27 offset:4160
	s_waitcnt lgkmcnt(0)
	s_barrier
	buffer_gl0_inv
	v_cmpx_gt_u32_e32 0x800, v1
	s_cbranch_execz .LBB58_21
; %bb.12:
	v_mbcnt_lo_u32_b32 v0, -1, 0
	v_lshrrev_b32_e32 v3, 5, v1
	v_cmp_eq_u32_e64 s1, 0, v6
	s_cmp_lg_u64 s[16:17], 0
	s_cselect_b32 s2, -1, 0
	v_xor_b32_e32 v1, 8, v0
	v_xor_b32_e32 v4, 4, v0
	;; [unrolled: 1-line block ×3, first 2 shown]
	s_cmp_lg_u64 s[18:19], 0
	s_delay_alu instid0(VALU_DEP_3)
	v_cmp_gt_i32_e32 vcc_lo, 32, v1
	v_and_b32_e32 v2, 31, v6
	v_xor_b32_e32 v6, 1, v0
	s_cselect_b32 s3, -1, 0
	s_lshl_b64 s[4:5], s[14:15], 8
	v_cndmask_b32_e32 v1, v0, v1, vcc_lo
	v_cmp_gt_i32_e32 vcc_lo, 32, v4
	v_mad_u32_u24 v11, 0x41, v2, v3
	v_cmp_gt_u32_e64 s0, 16, v2
	s_delay_alu instid0(VALU_DEP_4) | instskip(SKIP_2) | instid1(VALU_DEP_3)
	v_dual_cndmask_b32 v7, v0, v4 :: v_dual_lshlrev_b32 v4, 2, v1
	v_cmp_gt_i32_e32 vcc_lo, 32, v5
	v_dual_cndmask_b32 v8, v0, v5 :: v_dual_lshlrev_b32 v1, 2, v3
	v_lshlrev_b32_e32 v5, 2, v7
	v_cmp_gt_i32_e32 vcc_lo, 32, v6
	s_delay_alu instid0(VALU_DEP_3) | instskip(NEXT) | instid1(VALU_DEP_1)
	v_add_co_u32 v9, s4, s4, v1
	v_add_co_ci_u32_e64 v10, null, s5, 0, s4
	v_cndmask_b32_e32 v0, v0, v6, vcc_lo
	v_lshlrev_b32_e32 v6, 2, v8
	v_subrev_nc_u32_e32 v8, 32, v3
	s_delay_alu instid0(VALU_DEP_3)
	v_lshlrev_b32_e32 v7, 2, v0
	v_add_co_u32 v0, vcc_lo, s18, v9
	v_add_co_ci_u32_e32 v1, vcc_lo, s19, v10, vcc_lo
	v_add_co_u32 v2, vcc_lo, s16, v9
	v_add_co_ci_u32_e32 v3, vcc_lo, s17, v10, vcc_lo
	v_lshl_add_u32 v9, v11, 2, 0
                                        ; implicit-def: $vgpr10
                                        ; implicit-def: $vgpr11
	s_branch .LBB58_14
.LBB58_13:                              ;   in Loop: Header=BB58_14 Depth=1
	s_or_b32 exec_lo, exec_lo, s4
	v_add_co_u32 v0, vcc_lo, 0x80, v0
	v_add_co_u32 v8, s4, v8, 32
	v_add_co_ci_u32_e32 v1, vcc_lo, 0, v1, vcc_lo
	v_add_co_u32 v2, vcc_lo, 0x80, v2
	s_xor_b32 s4, s4, -1
	v_add_co_ci_u32_e32 v3, vcc_lo, 0, v3, vcc_lo
	v_add_nc_u32_e32 v9, 0x80, v9
	s_and_b32 s4, exec_lo, s4
	s_delay_alu instid0(SALU_CYCLE_1) | instskip(NEXT) | instid1(SALU_CYCLE_1)
	s_or_b32 s15, s4, s15
	s_and_not1_b32 exec_lo, exec_lo, s15
	s_cbranch_execz .LBB58_21
.LBB58_14:                              ; =>This Inner Loop Header: Depth=1
	s_and_saveexec_b32 s4, s0
	s_cbranch_execz .LBB58_16
; %bb.15:                               ;   in Loop: Header=BB58_14 Depth=1
	ds_load_b32 v10, v9
	ds_load_b32 v11, v9 offset:4160
.LBB58_16:                              ;   in Loop: Header=BB58_14 Depth=1
	s_or_b32 exec_lo, exec_lo, s4
	s_waitcnt lgkmcnt(1)
	ds_bpermute_b32 v12, v4, v10
	s_waitcnt lgkmcnt(1)
	ds_bpermute_b32 v13, v4, v11
	s_waitcnt lgkmcnt(0)
	v_dual_add_f32 v10, v10, v12 :: v_dual_add_f32 v11, v11, v13
	ds_bpermute_b32 v12, v5, v10
	ds_bpermute_b32 v13, v5, v11
	s_waitcnt lgkmcnt(0)
	v_dual_add_f32 v10, v10, v12 :: v_dual_add_f32 v11, v11, v13
	ds_bpermute_b32 v12, v6, v10
	;; [unrolled: 4-line block ×3, first 2 shown]
	ds_bpermute_b32 v13, v7, v11
	s_waitcnt lgkmcnt(0)
	v_dual_add_f32 v10, v10, v12 :: v_dual_add_f32 v11, v11, v13
	s_and_saveexec_b32 s4, s1
	s_cbranch_execz .LBB58_13
; %bb.17:                               ;   in Loop: Header=BB58_14 Depth=1
	s_and_not1_b32 vcc_lo, exec_lo, s2
	s_cbranch_vccnz .LBB58_19
; %bb.18:                               ;   in Loop: Header=BB58_14 Depth=1
	global_store_b32 v[2:3], v10, off
.LBB58_19:                              ;   in Loop: Header=BB58_14 Depth=1
	s_and_not1_b32 vcc_lo, exec_lo, s3
	s_cbranch_vccnz .LBB58_13
; %bb.20:                               ;   in Loop: Header=BB58_14 Depth=1
	global_store_b32 v[0:1], v11, off
	s_branch .LBB58_13
.LBB58_21:
	s_nop 0
	s_sendmsg sendmsg(MSG_DEALLOC_VGPRS)
	s_endpgm
	.section	.rodata,"a",@progbits
	.p2align	6, 0x0
	.amdhsa_kernel _ZN2at6native12_GLOBAL__N_135GammaBetaBackwardCUDAKernelTemplateIffLj64ELj16ELj256ELb0ELb1ELb0EEEvllPKT_S5_PKT0_S8_PS3_S9_
		.amdhsa_group_segment_fixed_size 0
		.amdhsa_private_segment_fixed_size 0
		.amdhsa_kernarg_size 320
		.amdhsa_user_sgpr_count 14
		.amdhsa_user_sgpr_dispatch_ptr 0
		.amdhsa_user_sgpr_queue_ptr 0
		.amdhsa_user_sgpr_kernarg_segment_ptr 1
		.amdhsa_user_sgpr_dispatch_id 0
		.amdhsa_user_sgpr_private_segment_size 0
		.amdhsa_wavefront_size32 1
		.amdhsa_uses_dynamic_stack 0
		.amdhsa_enable_private_segment 0
		.amdhsa_system_sgpr_workgroup_id_x 1
		.amdhsa_system_sgpr_workgroup_id_y 1
		.amdhsa_system_sgpr_workgroup_id_z 0
		.amdhsa_system_sgpr_workgroup_info 0
		.amdhsa_system_vgpr_workitem_id 1
		.amdhsa_next_free_vgpr 68
		.amdhsa_next_free_sgpr 28
		.amdhsa_reserve_vcc 1
		.amdhsa_float_round_mode_32 0
		.amdhsa_float_round_mode_16_64 0
		.amdhsa_float_denorm_mode_32 3
		.amdhsa_float_denorm_mode_16_64 3
		.amdhsa_dx10_clamp 1
		.amdhsa_ieee_mode 1
		.amdhsa_fp16_overflow 0
		.amdhsa_workgroup_processor_mode 1
		.amdhsa_memory_ordered 1
		.amdhsa_forward_progress 0
		.amdhsa_shared_vgpr_count 0
		.amdhsa_exception_fp_ieee_invalid_op 0
		.amdhsa_exception_fp_denorm_src 0
		.amdhsa_exception_fp_ieee_div_zero 0
		.amdhsa_exception_fp_ieee_overflow 0
		.amdhsa_exception_fp_ieee_underflow 0
		.amdhsa_exception_fp_ieee_inexact 0
		.amdhsa_exception_int_div_zero 0
	.end_amdhsa_kernel
	.section	.text._ZN2at6native12_GLOBAL__N_135GammaBetaBackwardCUDAKernelTemplateIffLj64ELj16ELj256ELb0ELb1ELb0EEEvllPKT_S5_PKT0_S8_PS3_S9_,"axG",@progbits,_ZN2at6native12_GLOBAL__N_135GammaBetaBackwardCUDAKernelTemplateIffLj64ELj16ELj256ELb0ELb1ELb0EEEvllPKT_S5_PKT0_S8_PS3_S9_,comdat
.Lfunc_end58:
	.size	_ZN2at6native12_GLOBAL__N_135GammaBetaBackwardCUDAKernelTemplateIffLj64ELj16ELj256ELb0ELb1ELb0EEEvllPKT_S5_PKT0_S8_PS3_S9_, .Lfunc_end58-_ZN2at6native12_GLOBAL__N_135GammaBetaBackwardCUDAKernelTemplateIffLj64ELj16ELj256ELb0ELb1ELb0EEEvllPKT_S5_PKT0_S8_PS3_S9_
                                        ; -- End function
	.section	.AMDGPU.csdata,"",@progbits
; Kernel info:
; codeLenInByte = 2492
; NumSgprs: 30
; NumVgprs: 68
; ScratchSize: 0
; MemoryBound: 0
; FloatMode: 240
; IeeeMode: 1
; LDSByteSize: 0 bytes/workgroup (compile time only)
; SGPRBlocks: 3
; VGPRBlocks: 8
; NumSGPRsForWavesPerEU: 30
; NumVGPRsForWavesPerEU: 68
; Occupancy: 16
; WaveLimiterHint : 0
; COMPUTE_PGM_RSRC2:SCRATCH_EN: 0
; COMPUTE_PGM_RSRC2:USER_SGPR: 14
; COMPUTE_PGM_RSRC2:TRAP_HANDLER: 0
; COMPUTE_PGM_RSRC2:TGID_X_EN: 1
; COMPUTE_PGM_RSRC2:TGID_Y_EN: 1
; COMPUTE_PGM_RSRC2:TGID_Z_EN: 0
; COMPUTE_PGM_RSRC2:TIDIG_COMP_CNT: 1
	.section	.text._ZN2at6native12_GLOBAL__N_135GammaBetaBackwardCUDAKernelTemplateIffLj64ELj16ELj256ELb0ELb0ELb0EEEvllPKT_S5_PKT0_S8_PS3_S9_,"axG",@progbits,_ZN2at6native12_GLOBAL__N_135GammaBetaBackwardCUDAKernelTemplateIffLj64ELj16ELj256ELb0ELb0ELb0EEEvllPKT_S5_PKT0_S8_PS3_S9_,comdat
	.globl	_ZN2at6native12_GLOBAL__N_135GammaBetaBackwardCUDAKernelTemplateIffLj64ELj16ELj256ELb0ELb0ELb0EEEvllPKT_S5_PKT0_S8_PS3_S9_ ; -- Begin function _ZN2at6native12_GLOBAL__N_135GammaBetaBackwardCUDAKernelTemplateIffLj64ELj16ELj256ELb0ELb0ELb0EEEvllPKT_S5_PKT0_S8_PS3_S9_
	.p2align	8
	.type	_ZN2at6native12_GLOBAL__N_135GammaBetaBackwardCUDAKernelTemplateIffLj64ELj16ELj256ELb0ELb0ELb0EEEvllPKT_S5_PKT0_S8_PS3_S9_,@function
_ZN2at6native12_GLOBAL__N_135GammaBetaBackwardCUDAKernelTemplateIffLj64ELj16ELj256ELb0ELb0ELb0EEEvllPKT_S5_PKT0_S8_PS3_S9_: ; @_ZN2at6native12_GLOBAL__N_135GammaBetaBackwardCUDAKernelTemplateIffLj64ELj16ELj256ELb0ELb0ELb0EEEvllPKT_S5_PKT0_S8_PS3_S9_
; %bb.0:
	s_clause 0x1
	s_load_b256 s[4:11], s[0:1], 0x0
	s_load_b128 s[36:39], s[0:1], 0x20
	s_mov_b32 s35, 0
	s_lshl_b32 s12, s15, 8
	s_mov_b32 s13, s35
	s_lshl_b32 s33, s14, 6
	s_delay_alu instid0(SALU_CYCLE_1) | instskip(SKIP_3) | instid1(VALU_DEP_2)
	s_or_b32 s34, s33, 63
	s_waitcnt lgkmcnt(0)
	v_cmp_lt_i64_e64 s15, s[12:13], s[4:5]
	v_cmp_ge_i64_e64 s2, s[34:35], s[6:7]
	v_cndmask_b32_e64 v1, 0, 1, s15
	s_delay_alu instid0(VALU_DEP_2) | instskip(NEXT) | instid1(VALU_DEP_1)
	s_and_b32 vcc_lo, exec_lo, s2
	v_cmp_ne_u32_e64 s2, 1, v1
	s_cbranch_vccz .LBB59_81
; %bb.1:
	v_dual_mov_b32 v97, 0 :: v_dual_mov_b32 v100, 0
	s_delay_alu instid0(VALU_DEP_2)
	s_and_b32 vcc_lo, exec_lo, s2
	s_cbranch_vccnz .LBB59_82
; %bb.2:
	v_bfe_u32 v51, v0, 10, 10
	v_and_b32_e32 v53, 0x3ff, v0
	s_load_b32 s3, s[0:1], 0x44
	s_add_u32 s40, s0, 64
	s_addc_u32 s41, s1, 0
	v_dual_mov_b32 v97, 0 :: v_dual_lshlrev_b32 v52, 4, v51
	s_mov_b32 s16, 0
	s_mov_b64 s[46:47], s[12:13]
	v_mov_b32_e32 v120, 0
	s_delay_alu instid0(VALU_DEP_2) | instskip(NEXT) | instid1(VALU_DEP_1)
	v_add_co_u32 v9, s2, v52, s12
	v_add_co_ci_u32_e64 v10, null, 0, 0, s2
	s_delay_alu instid0(VALU_DEP_2) | instskip(NEXT) | instid1(VALU_DEP_2)
	v_add_co_u32 v1, vcc_lo, v9, 15
	v_add_co_ci_u32_e32 v2, vcc_lo, 0, v10, vcc_lo
	v_add_co_u32 v7, vcc_lo, v9, 14
	s_delay_alu instid0(VALU_DEP_3) | instskip(NEXT) | instid1(VALU_DEP_3)
	v_mul_lo_u32 v5, s7, v1
	v_mul_lo_u32 v6, s6, v2
	v_mad_u64_u32 v[3:4], null, s6, v1, 0
	v_dual_mov_b32 v2, 0 :: v_dual_add_nc_u32 v1, s33, v53
	s_waitcnt lgkmcnt(0)
	s_lshl_b32 s34, s3, 8
	s_delay_alu instid0(SALU_CYCLE_1) | instskip(SKIP_1) | instid1(VALU_DEP_2)
	s_mul_i32 s3, s7, s34
	s_mul_hi_u32 s17, s6, s34
	v_add3_u32 v4, v4, v6, v5
	v_add_co_ci_u32_e32 v5, vcc_lo, 0, v10, vcc_lo
	v_cmp_gt_i64_e64 s2, s[6:7], v[1:2]
	v_lshlrev_b64 v[49:50], 2, v[1:2]
	s_delay_alu instid0(VALU_DEP_4) | instskip(SKIP_4) | instid1(VALU_DEP_4)
	v_lshlrev_b64 v[3:4], 2, v[3:4]
	v_mul_lo_u32 v1, s7, v7
	v_mul_lo_u32 v11, s6, v5
	v_mad_u64_u32 v[5:6], null, s6, v7, 0
	s_add_i32 s19, s17, s3
	v_add_co_u32 v54, vcc_lo, s8, v3
	v_add_co_ci_u32_e32 v55, vcc_lo, s9, v4, vcc_lo
	v_add_co_u32 v12, vcc_lo, v9, 13
	v_add_co_ci_u32_e32 v8, vcc_lo, 0, v10, vcc_lo
	v_add3_u32 v6, v6, v11, v1
	s_delay_alu instid0(VALU_DEP_3) | instskip(SKIP_1) | instid1(VALU_DEP_4)
	v_mul_lo_u32 v13, s7, v12
	v_add_co_u32 v56, vcc_lo, s10, v3
	v_mul_lo_u32 v14, s6, v8
	v_mad_u64_u32 v[7:8], null, s6, v12, 0
	v_add_co_ci_u32_e32 v57, vcc_lo, s11, v4, vcc_lo
	v_lshlrev_b64 v[3:4], 2, v[5:6]
	v_add_co_u32 v1, vcc_lo, v9, 12
	v_add_co_ci_u32_e32 v11, vcc_lo, 0, v10, vcc_lo
	v_add3_u32 v8, v8, v14, v13
	s_delay_alu instid0(VALU_DEP_4) | instskip(SKIP_1) | instid1(VALU_DEP_3)
	v_add_co_u32 v58, vcc_lo, s8, v3
	v_add_co_ci_u32_e32 v59, vcc_lo, s9, v4, vcc_lo
	v_lshlrev_b64 v[5:6], 2, v[7:8]
	v_add_co_u32 v60, vcc_lo, s10, v3
	v_mul_lo_u32 v12, s7, v1
	v_mul_lo_u32 v11, s6, v11
	v_mad_u64_u32 v[7:8], null, s6, v1, 0
	v_add_co_ci_u32_e32 v61, vcc_lo, s11, v4, vcc_lo
	v_add_co_u32 v62, vcc_lo, s8, v5
	v_add_co_ci_u32_e32 v63, vcc_lo, s9, v6, vcc_lo
	v_add_co_u32 v1, vcc_lo, v9, 11
	v_add_co_u32 v64, s3, s10, v5
	v_add_co_ci_u32_e32 v5, vcc_lo, 0, v10, vcc_lo
	v_add3_u32 v8, v8, v11, v12
	v_add_co_u32 v12, vcc_lo, v9, 10
	v_add_co_ci_u32_e64 v65, s3, s11, v6, s3
	v_mul_lo_u32 v11, s7, v1
	v_mul_lo_u32 v13, s6, v5
	v_mad_u64_u32 v[5:6], null, s6, v1, 0
	v_lshlrev_b64 v[3:4], 2, v[7:8]
	v_add_co_ci_u32_e32 v7, vcc_lo, 0, v10, vcc_lo
	v_mul_lo_u32 v1, s7, v12
	s_mul_i32 s18, s6, s34
	s_delay_alu instid0(VALU_DEP_2)
	v_mul_lo_u32 v14, s6, v7
	v_mad_u64_u32 v[7:8], null, s6, v12, 0
	v_add_co_u32 v66, vcc_lo, s8, v3
	v_add3_u32 v6, v6, v13, v11
	v_add_co_ci_u32_e32 v67, vcc_lo, s9, v4, vcc_lo
	v_add_co_u32 v68, vcc_lo, s10, v3
	v_add_co_ci_u32_e32 v69, vcc_lo, s11, v4, vcc_lo
	s_delay_alu instid0(VALU_DEP_4) | instskip(SKIP_3) | instid1(VALU_DEP_4)
	v_lshlrev_b64 v[3:4], 2, v[5:6]
	v_add3_u32 v8, v8, v14, v1
	v_add_co_u32 v1, vcc_lo, v9, 9
	v_add_co_ci_u32_e32 v11, vcc_lo, 0, v10, vcc_lo
	v_add_co_u32 v70, vcc_lo, s8, v3
	s_delay_alu instid0(VALU_DEP_4)
	v_lshlrev_b64 v[5:6], 2, v[7:8]
	v_add_co_ci_u32_e32 v71, vcc_lo, s9, v4, vcc_lo
	v_add_co_u32 v72, vcc_lo, s10, v3
	v_mul_lo_u32 v12, s7, v1
	v_mul_lo_u32 v11, s6, v11
	v_mad_u64_u32 v[7:8], null, s6, v1, 0
	v_add_co_ci_u32_e32 v73, vcc_lo, s11, v4, vcc_lo
	v_add_co_u32 v74, vcc_lo, s8, v5
	v_add_co_ci_u32_e32 v75, vcc_lo, s9, v6, vcc_lo
	v_add_co_u32 v1, vcc_lo, v9, 8
	v_add_co_u32 v76, s3, s10, v5
	v_add_co_ci_u32_e32 v5, vcc_lo, 0, v10, vcc_lo
	v_add3_u32 v8, v8, v11, v12
	v_add_co_u32 v12, vcc_lo, v9, 7
	v_add_co_ci_u32_e64 v77, s3, s11, v6, s3
	v_mul_lo_u32 v11, s7, v1
	v_mul_lo_u32 v13, s6, v5
	v_mad_u64_u32 v[5:6], null, s6, v1, 0
	v_lshlrev_b64 v[3:4], 2, v[7:8]
	v_add_co_ci_u32_e32 v7, vcc_lo, 0, v10, vcc_lo
	v_mul_lo_u32 v1, s7, v12
	s_lshl_b64 s[42:43], s[18:19], 2
	s_add_u32 s44, s12, 0xff
	s_delay_alu instid0(VALU_DEP_2)
	v_mul_lo_u32 v14, s6, v7
	v_mad_u64_u32 v[7:8], null, s6, v12, 0
	v_add_co_u32 v78, vcc_lo, s8, v3
	v_add3_u32 v6, v6, v13, v11
	v_add_co_ci_u32_e32 v79, vcc_lo, s9, v4, vcc_lo
	v_add_co_u32 v80, vcc_lo, s10, v3
	v_add_co_ci_u32_e32 v81, vcc_lo, s11, v4, vcc_lo
	s_delay_alu instid0(VALU_DEP_4) | instskip(SKIP_3) | instid1(VALU_DEP_4)
	v_lshlrev_b64 v[3:4], 2, v[5:6]
	v_add3_u32 v8, v8, v14, v1
	v_add_co_u32 v1, vcc_lo, v9, 6
	v_add_co_ci_u32_e32 v11, vcc_lo, 0, v10, vcc_lo
	v_add_co_u32 v82, vcc_lo, s8, v3
	s_delay_alu instid0(VALU_DEP_4)
	v_lshlrev_b64 v[5:6], 2, v[7:8]
	v_add_co_ci_u32_e32 v83, vcc_lo, s9, v4, vcc_lo
	v_add_co_u32 v84, vcc_lo, s10, v3
	v_mul_lo_u32 v12, s7, v1
	v_mul_lo_u32 v11, s6, v11
	v_mad_u64_u32 v[7:8], null, s6, v1, 0
	v_add_co_ci_u32_e32 v85, vcc_lo, s11, v4, vcc_lo
	v_add_co_u32 v86, vcc_lo, s8, v5
	v_add_co_ci_u32_e32 v87, vcc_lo, s9, v6, vcc_lo
	v_add_co_u32 v1, vcc_lo, v9, 5
	v_add_co_u32 v88, s3, s10, v5
	v_add_co_ci_u32_e32 v5, vcc_lo, 0, v10, vcc_lo
	v_add3_u32 v8, v8, v11, v12
	v_add_co_u32 v12, vcc_lo, v9, 4
	v_add_co_ci_u32_e64 v89, s3, s11, v6, s3
	v_mul_lo_u32 v11, s7, v1
	v_mul_lo_u32 v13, s6, v5
	v_mad_u64_u32 v[5:6], null, s6, v1, 0
	v_lshlrev_b64 v[3:4], 2, v[7:8]
	v_add_co_ci_u32_e32 v7, vcc_lo, 0, v10, vcc_lo
	v_mul_lo_u32 v1, s7, v12
	s_addc_u32 s45, 0, 0
	s_delay_alu instid0(VALU_DEP_2)
	v_mul_lo_u32 v14, s6, v7
	v_mad_u64_u32 v[7:8], null, s6, v12, 0
	v_add_co_u32 v90, vcc_lo, s8, v3
	v_add3_u32 v6, v6, v13, v11
	v_add_co_ci_u32_e32 v91, vcc_lo, s9, v4, vcc_lo
	v_add_co_u32 v92, vcc_lo, s10, v3
	v_add_co_ci_u32_e32 v93, vcc_lo, s11, v4, vcc_lo
	s_delay_alu instid0(VALU_DEP_4) | instskip(SKIP_3) | instid1(VALU_DEP_4)
	v_lshlrev_b64 v[3:4], 2, v[5:6]
	v_add3_u32 v8, v8, v14, v1
	v_add_co_u32 v1, vcc_lo, v9, 3
	v_add_co_ci_u32_e32 v11, vcc_lo, 0, v10, vcc_lo
	v_add_co_u32 v94, vcc_lo, s8, v3
	s_delay_alu instid0(VALU_DEP_4)
	v_lshlrev_b64 v[5:6], 2, v[7:8]
	v_add_co_ci_u32_e32 v95, vcc_lo, s9, v4, vcc_lo
	v_mul_lo_u32 v12, s7, v1
	v_mul_lo_u32 v11, s6, v11
	v_mad_u64_u32 v[7:8], null, s6, v1, 0
	v_add_co_u32 v96, vcc_lo, s10, v3
	v_add_co_ci_u32_e32 v98, vcc_lo, s11, v4, vcc_lo
	v_add_co_u32 v99, vcc_lo, s8, v5
	v_add_co_ci_u32_e32 v101, vcc_lo, s9, v6, vcc_lo
	v_add_co_u32 v1, vcc_lo, v9, 2
	v_add3_u32 v8, v8, v11, v12
	v_add_co_ci_u32_e32 v11, vcc_lo, 0, v10, vcc_lo
	v_add_co_u32 v102, vcc_lo, s10, v5
	v_add_co_ci_u32_e32 v103, vcc_lo, s11, v6, vcc_lo
	v_mul_lo_u32 v12, s7, v1
	s_delay_alu instid0(VALU_DEP_4)
	v_mul_lo_u32 v11, s6, v11
	v_mad_u64_u32 v[5:6], null, s6, v1, 0
	v_lshlrev_b64 v[3:4], 2, v[7:8]
	v_mul_lo_u32 v1, s7, v9
	v_mul_lo_u32 v10, s6, v10
	v_mad_u64_u32 v[7:8], null, s6, v9, 0
	s_delay_alu instid0(VALU_DEP_4)
	v_add_co_u32 v104, vcc_lo, s8, v3
	v_add3_u32 v6, v6, v11, v12
	v_add_co_ci_u32_e32 v105, vcc_lo, s9, v4, vcc_lo
	v_add_co_u32 v106, vcc_lo, s10, v3
	v_add3_u32 v8, v8, v10, v1
	v_add_co_ci_u32_e32 v107, vcc_lo, s11, v4, vcc_lo
	v_lshlrev_b64 v[3:4], 2, v[5:6]
	v_add_co_u32 v5, vcc_lo, v7, s6
	s_delay_alu instid0(VALU_DEP_4) | instskip(NEXT) | instid1(VALU_DEP_3)
	v_add_co_ci_u32_e32 v6, vcc_lo, s7, v8, vcc_lo
	v_add_co_u32 v108, vcc_lo, s8, v3
	s_delay_alu instid0(VALU_DEP_2) | instskip(SKIP_3) | instid1(VALU_DEP_4)
	v_lshlrev_b64 v[5:6], 2, v[5:6]
	v_add_co_ci_u32_e32 v109, vcc_lo, s9, v4, vcc_lo
	v_add_co_u32 v110, vcc_lo, s10, v3
	v_add_co_ci_u32_e32 v111, vcc_lo, s11, v4, vcc_lo
	v_add_co_u32 v112, vcc_lo, s8, v5
	v_lshlrev_b64 v[3:4], 2, v[7:8]
	v_add_co_ci_u32_e32 v113, vcc_lo, s9, v6, vcc_lo
	v_add_co_u32 v114, vcc_lo, s10, v5
	v_add_co_ci_u32_e32 v115, vcc_lo, s11, v6, vcc_lo
	s_delay_alu instid0(VALU_DEP_4)
	v_add_co_u32 v116, vcc_lo, s8, v3
	v_add_co_ci_u32_e32 v117, vcc_lo, s9, v4, vcc_lo
	v_add_co_u32 v118, vcc_lo, s10, v3
	v_add_co_ci_u32_e32 v119, vcc_lo, s11, v4, vcc_lo
.LBB59_3:                               ; =>This Inner Loop Header: Depth=1
	v_cmp_ge_i64_e64 s3, s[44:45], s[4:5]
	v_add_co_u32 v121, s17, v52, s44
	s_delay_alu instid0(VALU_DEP_1) | instskip(NEXT) | instid1(VALU_DEP_3)
	v_add_co_ci_u32_e64 v122, null, 0, s45, s17
	s_and_b32 vcc_lo, exec_lo, s3
	s_cbranch_vccz .LBB59_41
; %bb.4:                                ;   in Loop: Header=BB59_3 Depth=1
	s_load_b32 s3, s[40:41], 0xc
	v_dual_mov_b32 v123, 0 :: v_dual_mov_b32 v124, 0
	s_waitcnt lgkmcnt(0)
	s_and_b32 s3, s3, 0xffff
	s_delay_alu instid0(SALU_CYCLE_1) | instskip(SKIP_1) | instid1(VALU_DEP_1)
	v_mad_u32_u24 v1, v51, s3, v53
	s_mov_b32 s3, exec_lo
	v_and_b32_e32 v1, 31, v1
	s_delay_alu instid0(VALU_DEP_1)
	v_cmpx_gt_u32_e32 16, v1
	s_cbranch_execz .LBB59_8
; %bb.5:                                ;   in Loop: Header=BB59_3 Depth=1
	v_add_co_u32 v1, vcc_lo, v121, v1
	v_add_co_ci_u32_e32 v4, vcc_lo, 0, v122, vcc_lo
	v_dual_mov_b32 v123, 0 :: v_dual_mov_b32 v124, 0
	s_delay_alu instid0(VALU_DEP_3) | instskip(NEXT) | instid1(VALU_DEP_3)
	v_add_co_u32 v3, vcc_lo, 0xffffff01, v1
	v_add_co_ci_u32_e32 v4, vcc_lo, -1, v4, vcc_lo
	s_mov_b32 s17, exec_lo
	s_delay_alu instid0(VALU_DEP_1)
	v_cmpx_gt_i64_e64 s[4:5], v[3:4]
	s_cbranch_execz .LBB59_7
; %bb.6:                                ;   in Loop: Header=BB59_3 Depth=1
	v_lshlrev_b64 v[3:4], 2, v[3:4]
	s_delay_alu instid0(VALU_DEP_1) | instskip(NEXT) | instid1(VALU_DEP_2)
	v_add_co_u32 v5, vcc_lo, s36, v3
	v_add_co_ci_u32_e32 v6, vcc_lo, s37, v4, vcc_lo
	v_add_co_u32 v3, vcc_lo, s38, v3
	v_add_co_ci_u32_e32 v4, vcc_lo, s39, v4, vcc_lo
	global_load_b32 v123, v[5:6], off
	global_load_b32 v124, v[3:4], off
.LBB59_7:                               ;   in Loop: Header=BB59_3 Depth=1
	s_or_b32 exec_lo, exec_lo, s17
.LBB59_8:                               ;   in Loop: Header=BB59_3 Depth=1
	s_delay_alu instid0(SALU_CYCLE_1)
	s_or_b32 exec_lo, exec_lo, s3
	v_add_co_u32 v3, vcc_lo, 0xffffff01, v121
	s_mov_b32 s31, s16
	v_add_co_ci_u32_e32 v4, vcc_lo, -1, v122, vcc_lo
	s_mov_b32 s17, s16
	s_mov_b32 s18, s16
	;; [unrolled: 1-line block ×14, first 2 shown]
	s_delay_alu instid0(SALU_CYCLE_1)
	v_dual_mov_b32 v32, s31 :: v_dual_mov_b32 v31, s30
	v_dual_mov_b32 v30, s29 :: v_dual_mov_b32 v29, s28
	;; [unrolled: 1-line block ×8, first 2 shown]
	v_cmp_gt_i64_e32 vcc_lo, s[4:5], v[3:4]
	v_dual_mov_b32 v48, v32 :: v_dual_mov_b32 v47, v31
	v_dual_mov_b32 v46, v30 :: v_dual_mov_b32 v45, v29
	;; [unrolled: 1-line block ×8, first 2 shown]
	s_and_b32 s17, s2, vcc_lo
	s_delay_alu instid0(SALU_CYCLE_1)
	s_and_saveexec_b32 s3, s17
	s_cbranch_execz .LBB59_10
; %bb.9:                                ;   in Loop: Header=BB59_3 Depth=1
	v_add_co_u32 v3, vcc_lo, v116, v49
	v_add_co_ci_u32_e32 v4, vcc_lo, v117, v50, vcc_lo
	v_mov_b32_e32 v16, v2
	v_mov_b32_e32 v5, v2
	;; [unrolled: 1-line block ×3, first 2 shown]
	global_load_b32 v1, v[3:4], off
	v_add_co_u32 v3, vcc_lo, v118, v49
	v_add_co_ci_u32_e32 v4, vcc_lo, v119, v50, vcc_lo
	v_mov_b32_e32 v7, v2
	v_mov_b32_e32 v8, v2
	v_mov_b32_e32 v9, v2
	global_load_b32 v17, v[3:4], off
	v_mov_b32_e32 v3, v2
	v_mov_b32_e32 v4, v2
	;; [unrolled: 1-line block ×8, first 2 shown]
	s_waitcnt vmcnt(1)
	v_dual_mov_b32 v19, v2 :: v_dual_mov_b32 v48, v16
	v_mov_b32_e32 v18, v2
	v_dual_mov_b32 v20, v2 :: v_dual_mov_b32 v45, v13
	v_dual_mov_b32 v21, v2 :: v_dual_mov_b32 v44, v12
	;; [unrolled: 1-line block ×7, first 2 shown]
	v_mov_b32_e32 v27, v2
	v_dual_mov_b32 v28, v2 :: v_dual_mov_b32 v37, v5
	v_mov_b32_e32 v29, v2
	v_dual_mov_b32 v30, v2 :: v_dual_mov_b32 v35, v3
	;; [unrolled: 2-line block ×3, first 2 shown]
	v_mov_b32_e32 v42, v10
	v_mov_b32_e32 v38, v6
	v_mov_b32_e32 v34, v2
	v_dual_mov_b32 v32, v2 :: v_dual_mov_b32 v33, v1
.LBB59_10:                              ;   in Loop: Header=BB59_3 Depth=1
	s_or_b32 exec_lo, exec_lo, s3
	v_add_co_u32 v3, vcc_lo, 0xffffff02, v121
	v_add_co_ci_u32_e32 v4, vcc_lo, -1, v122, vcc_lo
	s_delay_alu instid0(VALU_DEP_1) | instskip(SKIP_1) | instid1(SALU_CYCLE_1)
	v_cmp_gt_i64_e32 vcc_lo, s[4:5], v[3:4]
	s_and_b32 s17, s2, vcc_lo
	s_and_saveexec_b32 s3, s17
	s_cbranch_execz .LBB59_12
; %bb.11:                               ;   in Loop: Header=BB59_3 Depth=1
	v_add_co_u32 v3, vcc_lo, v112, v49
	v_add_co_ci_u32_e32 v4, vcc_lo, v113, v50, vcc_lo
	v_add_co_u32 v5, vcc_lo, v114, v49
	v_add_co_ci_u32_e32 v6, vcc_lo, v115, v50, vcc_lo
	global_load_b32 v34, v[3:4], off
	global_load_b32 v18, v[5:6], off
.LBB59_12:                              ;   in Loop: Header=BB59_3 Depth=1
	s_or_b32 exec_lo, exec_lo, s3
	v_add_co_u32 v3, vcc_lo, 0xffffff03, v121
	v_add_co_ci_u32_e32 v4, vcc_lo, -1, v122, vcc_lo
	s_delay_alu instid0(VALU_DEP_1) | instskip(SKIP_1) | instid1(SALU_CYCLE_1)
	v_cmp_gt_i64_e32 vcc_lo, s[4:5], v[3:4]
	s_and_b32 s17, s2, vcc_lo
	s_and_saveexec_b32 s3, s17
	s_cbranch_execz .LBB59_14
; %bb.13:                               ;   in Loop: Header=BB59_3 Depth=1
	v_add_co_u32 v3, vcc_lo, v108, v49
	v_add_co_ci_u32_e32 v4, vcc_lo, v109, v50, vcc_lo
	v_add_co_u32 v5, vcc_lo, v110, v49
	v_add_co_ci_u32_e32 v6, vcc_lo, v111, v50, vcc_lo
	global_load_b32 v35, v[3:4], off
	global_load_b32 v19, v[5:6], off
.LBB59_14:                              ;   in Loop: Header=BB59_3 Depth=1
	;; [unrolled: 16-line block ×15, first 2 shown]
	s_or_b32 exec_lo, exec_lo, s3
	s_waitcnt vmcnt(1)
	ds_bpermute_b32 v1, v2, v123
	ds_bpermute_b32 v3, v2, v123 offset:4
	ds_bpermute_b32 v6, v2, v123 offset:8
	ds_bpermute_b32 v10, v2, v123 offset:12
	s_waitcnt vmcnt(0)
	ds_bpermute_b32 v4, v2, v124
	ds_bpermute_b32 v7, v2, v124 offset:4
	v_add_f32_e32 v5, v97, v33
	ds_bpermute_b32 v8, v2, v124 offset:8
	ds_bpermute_b32 v12, v2, v123 offset:16
	;; [unrolled: 1-line block ×11, first 2 shown]
	s_waitcnt lgkmcnt(16)
	v_sub_f32_e32 v1, v17, v1
	ds_bpermute_b32 v17, v2, v123 offset:28
	s_waitcnt lgkmcnt(15)
	v_sub_f32_e32 v6, v19, v6
	s_waitcnt lgkmcnt(14)
	v_dual_sub_f32 v10, v20, v10 :: v_dual_sub_f32 v3, v18, v3
	ds_bpermute_b32 v18, v2, v124 offset:36
	v_mul_f32_e32 v6, v35, v6
	v_dual_mul_f32 v10, v36, v10 :: v_dual_mul_f32 v3, v34, v3
	v_mul_f32_e32 v1, v33, v1
	ds_bpermute_b32 v33, v2, v123 offset:36
	s_waitcnt lgkmcnt(15)
	v_fma_f32 v100, v1, v4, v120
	ds_bpermute_b32 v1, v2, v123 offset:40
	ds_bpermute_b32 v4, v2, v124 offset:40
	s_waitcnt lgkmcnt(16)
	v_dual_fmac_f32 v100, v3, v7 :: v_dual_add_f32 v3, v34, v5
	s_waitcnt lgkmcnt(14)
	v_sub_f32_e32 v7, v21, v12
	s_waitcnt lgkmcnt(7)
	v_sub_f32_e32 v12, v25, v127
	ds_bpermute_b32 v5, v2, v124 offset:44
	v_fmac_f32_e32 v100, v6, v8
	v_dual_sub_f32 v8, v22, v14 :: v_dual_mul_f32 v7, v37, v7
	ds_bpermute_b32 v6, v2, v123 offset:44
	v_fmac_f32_e32 v100, v10, v9
	v_sub_f32_e32 v10, v23, v16
	v_dual_add_f32 v3, v35, v3 :: v_dual_mul_f32 v8, v38, v8
	ds_bpermute_b32 v9, v2, v124 offset:48
	s_waitcnt lgkmcnt(7)
	v_dual_fmac_f32 v100, v7, v11 :: v_dual_sub_f32 v11, v24, v17
	v_dual_add_f32 v3, v36, v3 :: v_dual_mul_f32 v10, v39, v10
	ds_bpermute_b32 v7, v2, v123 offset:48
	s_waitcnt lgkmcnt(5)
	v_sub_f32_e32 v1, v27, v1
	v_dual_add_f32 v3, v37, v3 :: v_dual_fmac_f32 v100, v8, v13
	v_sub_f32_e32 v13, v26, v33
	v_dual_mul_f32 v11, v40, v11 :: v_dual_mul_f32 v12, v41, v12
	s_delay_alu instid0(VALU_DEP_3) | instskip(NEXT) | instid1(VALU_DEP_4)
	v_add_f32_e32 v3, v38, v3
	v_fmac_f32_e32 v100, v10, v15
	ds_bpermute_b32 v10, v2, v123 offset:52
	s_waitcnt lgkmcnt(3)
	v_dual_mul_f32 v13, v42, v13 :: v_dual_sub_f32 v6, v28, v6
	ds_bpermute_b32 v8, v2, v124 offset:52
	v_fmac_f32_e32 v100, v11, v125
	v_add_f32_e32 v3, v39, v3
	ds_bpermute_b32 v11, v2, v123 offset:56
	v_mul_f32_e32 v14, v43, v1
	v_mul_f32_e32 v6, v44, v6
	v_fmac_f32_e32 v100, v12, v126
	v_add_f32_e32 v3, v40, v3
	ds_bpermute_b32 v12, v2, v124 offset:56
	s_waitcnt lgkmcnt(4)
	v_sub_f32_e32 v7, v29, v7
	ds_bpermute_b32 v1, v2, v124 offset:60
	v_add_f32_e32 v3, v41, v3
	v_fmac_f32_e32 v100, v13, v18
	v_mul_f32_e32 v7, v45, v7
	s_delay_alu instid0(VALU_DEP_3) | instskip(NEXT) | instid1(VALU_DEP_3)
	v_add_f32_e32 v3, v42, v3
	v_fmac_f32_e32 v100, v14, v4
	s_waitcnt lgkmcnt(4)
	v_sub_f32_e32 v10, v30, v10
	s_delay_alu instid0(VALU_DEP_3)
	v_add_f32_e32 v4, v43, v3
	ds_bpermute_b32 v3, v2, v123 offset:60
	s_waitcnt lgkmcnt(3)
	v_dual_fmac_f32 v100, v6, v5 :: v_dual_sub_f32 v5, v31, v11
	v_mul_f32_e32 v6, v46, v10
	v_add_f32_e32 v4, v44, v4
	s_delay_alu instid0(VALU_DEP_3) | instskip(NEXT) | instid1(VALU_DEP_2)
	v_fmac_f32_e32 v100, v7, v9
	v_dual_mul_f32 v5, v47, v5 :: v_dual_add_f32 v4, v45, v4
	s_delay_alu instid0(VALU_DEP_2) | instskip(NEXT) | instid1(VALU_DEP_2)
	v_fmac_f32_e32 v100, v6, v8
	v_add_f32_e32 v4, v46, v4
	s_waitcnt lgkmcnt(2)
	s_delay_alu instid0(VALU_DEP_2) | instskip(NEXT) | instid1(VALU_DEP_2)
	v_fmac_f32_e32 v100, v5, v12
	v_add_f32_e32 v4, v47, v4
	s_branch .LBB59_64
.LBB59_41:                              ;   in Loop: Header=BB59_3 Depth=1
                                        ; implicit-def: $vgpr1
                                        ; implicit-def: $vgpr17_vgpr18_vgpr19_vgpr20_vgpr21_vgpr22_vgpr23_vgpr24_vgpr25_vgpr26_vgpr27_vgpr28_vgpr29_vgpr30_vgpr31_vgpr32
                                        ; implicit-def: $vgpr33_vgpr34_vgpr35_vgpr36_vgpr37_vgpr38_vgpr39_vgpr40_vgpr41_vgpr42_vgpr43_vgpr44_vgpr45_vgpr46_vgpr47_vgpr48
                                        ; implicit-def: $vgpr3
                                        ; implicit-def: $vgpr4
                                        ; implicit-def: $vgpr100
	s_cbranch_execz .LBB59_64
; %bb.42:                               ;   in Loop: Header=BB59_3 Depth=1
	s_load_b32 s3, s[40:41], 0x0
	v_dual_mov_b32 v123, 0 :: v_dual_mov_b32 v100, 0
	s_waitcnt lgkmcnt(0)
	s_cmp_lt_u32 s14, s3
	s_cselect_b32 s3, 12, 18
	s_delay_alu instid0(SALU_CYCLE_1)
	s_add_u32 s18, s40, s3
	s_addc_u32 s19, s41, 0
	s_mov_b32 s3, exec_lo
	global_load_u16 v1, v2, s[18:19]
	s_waitcnt vmcnt(0)
	v_mad_u32_u24 v1, v51, v1, v53
	s_delay_alu instid0(VALU_DEP_1) | instskip(NEXT) | instid1(VALU_DEP_1)
	v_and_b32_e32 v1, 31, v1
	v_cmpx_gt_u32_e32 16, v1
	s_cbranch_execz .LBB59_46
; %bb.43:                               ;   in Loop: Header=BB59_3 Depth=1
	v_add_co_u32 v1, vcc_lo, v121, v1
	v_add_co_ci_u32_e32 v4, vcc_lo, 0, v122, vcc_lo
	v_dual_mov_b32 v100, 0 :: v_dual_mov_b32 v123, 0
	s_delay_alu instid0(VALU_DEP_3) | instskip(NEXT) | instid1(VALU_DEP_3)
	v_add_co_u32 v3, vcc_lo, 0xffffff01, v1
	v_add_co_ci_u32_e32 v4, vcc_lo, -1, v4, vcc_lo
	s_mov_b32 s17, exec_lo
	s_delay_alu instid0(VALU_DEP_1)
	v_cmpx_gt_i64_e64 s[4:5], v[3:4]
	s_cbranch_execz .LBB59_45
; %bb.44:                               ;   in Loop: Header=BB59_3 Depth=1
	v_lshlrev_b64 v[3:4], 2, v[3:4]
	s_delay_alu instid0(VALU_DEP_1) | instskip(NEXT) | instid1(VALU_DEP_2)
	v_add_co_u32 v5, vcc_lo, s36, v3
	v_add_co_ci_u32_e32 v6, vcc_lo, s37, v4, vcc_lo
	v_add_co_u32 v3, vcc_lo, s38, v3
	v_add_co_ci_u32_e32 v4, vcc_lo, s39, v4, vcc_lo
	global_load_b32 v100, v[5:6], off
	global_load_b32 v123, v[3:4], off
.LBB59_45:                              ;   in Loop: Header=BB59_3 Depth=1
	s_or_b32 exec_lo, exec_lo, s17
.LBB59_46:                              ;   in Loop: Header=BB59_3 Depth=1
	s_delay_alu instid0(SALU_CYCLE_1)
	s_or_b32 exec_lo, exec_lo, s3
	s_mov_b32 s31, s16
	s_mov_b32 s17, s16
	;; [unrolled: 1-line block ×15, first 2 shown]
	s_delay_alu instid0(SALU_CYCLE_1)
	v_dual_mov_b32 v32, s31 :: v_dual_mov_b32 v31, s30
	v_dual_mov_b32 v30, s29 :: v_dual_mov_b32 v29, s28
	;; [unrolled: 1-line block ×16, first 2 shown]
	s_and_saveexec_b32 s3, s2
	s_cbranch_execnz .LBB59_66
; %bb.47:                               ;   in Loop: Header=BB59_3 Depth=1
	s_or_b32 exec_lo, exec_lo, s3
	s_and_saveexec_b32 s3, s2
	s_cbranch_execnz .LBB59_67
.LBB59_48:                              ;   in Loop: Header=BB59_3 Depth=1
	s_or_b32 exec_lo, exec_lo, s3
	s_and_saveexec_b32 s3, s2
	s_cbranch_execnz .LBB59_68
.LBB59_49:                              ;   in Loop: Header=BB59_3 Depth=1
	s_or_b32 exec_lo, exec_lo, s3
	s_and_saveexec_b32 s3, s2
	s_cbranch_execnz .LBB59_69
.LBB59_50:                              ;   in Loop: Header=BB59_3 Depth=1
	s_or_b32 exec_lo, exec_lo, s3
	s_and_saveexec_b32 s3, s2
	s_cbranch_execnz .LBB59_70
.LBB59_51:                              ;   in Loop: Header=BB59_3 Depth=1
	s_or_b32 exec_lo, exec_lo, s3
	s_and_saveexec_b32 s3, s2
	s_cbranch_execnz .LBB59_71
.LBB59_52:                              ;   in Loop: Header=BB59_3 Depth=1
	s_or_b32 exec_lo, exec_lo, s3
	s_and_saveexec_b32 s3, s2
	s_cbranch_execnz .LBB59_72
.LBB59_53:                              ;   in Loop: Header=BB59_3 Depth=1
	s_or_b32 exec_lo, exec_lo, s3
	s_and_saveexec_b32 s3, s2
	s_cbranch_execnz .LBB59_73
.LBB59_54:                              ;   in Loop: Header=BB59_3 Depth=1
	s_or_b32 exec_lo, exec_lo, s3
	s_and_saveexec_b32 s3, s2
	s_cbranch_execnz .LBB59_74
.LBB59_55:                              ;   in Loop: Header=BB59_3 Depth=1
	s_or_b32 exec_lo, exec_lo, s3
	s_and_saveexec_b32 s3, s2
	s_cbranch_execnz .LBB59_75
.LBB59_56:                              ;   in Loop: Header=BB59_3 Depth=1
	s_or_b32 exec_lo, exec_lo, s3
	s_and_saveexec_b32 s3, s2
	s_cbranch_execnz .LBB59_76
.LBB59_57:                              ;   in Loop: Header=BB59_3 Depth=1
	s_or_b32 exec_lo, exec_lo, s3
	s_and_saveexec_b32 s3, s2
	s_cbranch_execnz .LBB59_77
.LBB59_58:                              ;   in Loop: Header=BB59_3 Depth=1
	s_or_b32 exec_lo, exec_lo, s3
	s_and_saveexec_b32 s3, s2
	s_cbranch_execnz .LBB59_78
.LBB59_59:                              ;   in Loop: Header=BB59_3 Depth=1
	s_or_b32 exec_lo, exec_lo, s3
	s_and_saveexec_b32 s3, s2
	s_cbranch_execnz .LBB59_79
.LBB59_60:                              ;   in Loop: Header=BB59_3 Depth=1
	s_or_b32 exec_lo, exec_lo, s3
	s_and_saveexec_b32 s3, s2
	s_cbranch_execnz .LBB59_80
.LBB59_61:                              ;   in Loop: Header=BB59_3 Depth=1
	s_or_b32 exec_lo, exec_lo, s3
	s_and_saveexec_b32 s3, s2
	s_cbranch_execz .LBB59_63
.LBB59_62:                              ;   in Loop: Header=BB59_3 Depth=1
	v_add_co_u32 v3, vcc_lo, v54, v49
	v_add_co_ci_u32_e32 v4, vcc_lo, v55, v50, vcc_lo
	v_add_co_u32 v5, vcc_lo, v56, v49
	v_add_co_ci_u32_e32 v6, vcc_lo, v57, v50, vcc_lo
	global_load_b32 v48, v[3:4], off
	global_load_b32 v32, v[5:6], off
.LBB59_63:                              ;   in Loop: Header=BB59_3 Depth=1
	s_or_b32 exec_lo, exec_lo, s3
	s_waitcnt vmcnt(1)
	ds_bpermute_b32 v1, v2, v100
	ds_bpermute_b32 v3, v2, v100 offset:4
	ds_bpermute_b32 v10, v2, v100 offset:12
	s_waitcnt vmcnt(0)
	ds_bpermute_b32 v4, v2, v123
	ds_bpermute_b32 v5, v2, v100 offset:8
	ds_bpermute_b32 v7, v2, v123 offset:4
	v_add_f32_e32 v6, v97, v33
	ds_bpermute_b32 v8, v2, v123 offset:8
	ds_bpermute_b32 v9, v2, v123 offset:12
	;; [unrolled: 1-line block ×10, first 2 shown]
	s_waitcnt lgkmcnt(15)
	v_sub_f32_e32 v1, v17, v1
	s_waitcnt lgkmcnt(13)
	v_dual_sub_f32 v3, v18, v3 :: v_dual_sub_f32 v10, v20, v10
	ds_bpermute_b32 v18, v2, v100 offset:32
	ds_bpermute_b32 v17, v2, v123 offset:28
	v_add_f32_e32 v6, v34, v6
	v_dual_mul_f32 v3, v34, v3 :: v_dual_mul_f32 v10, v36, v10
	v_mul_f32_e32 v1, v33, v1
	s_waitcnt lgkmcnt(13)
	v_sub_f32_e32 v5, v19, v5
	ds_bpermute_b32 v33, v2, v123 offset:36
	v_add_f32_e32 v6, v35, v6
	v_dual_fmac_f32 v120, v1, v4 :: v_dual_mul_f32 v5, v35, v5
	ds_bpermute_b32 v1, v2, v100 offset:36
	ds_bpermute_b32 v4, v2, v123 offset:40
	v_add_f32_e32 v6, v36, v6
	s_waitcnt lgkmcnt(15)
	v_fmac_f32_e32 v120, v3, v7
	ds_bpermute_b32 v3, v2, v100 offset:40
	s_waitcnt lgkmcnt(13)
	v_sub_f32_e32 v7, v21, v12
	v_fmac_f32_e32 v120, v5, v8
	s_waitcnt lgkmcnt(12)
	s_delay_alu instid0(VALU_DEP_2)
	v_dual_sub_f32 v8, v22, v14 :: v_dual_mul_f32 v7, v37, v7
	s_waitcnt lgkmcnt(5)
	v_sub_f32_e32 v12, v25, v18
	ds_bpermute_b32 v5, v2, v123 offset:44
	v_fmac_f32_e32 v120, v10, v9
	ds_bpermute_b32 v9, v2, v100 offset:44
	v_mul_f32_e32 v8, v38, v8
	v_mul_f32_e32 v12, v41, v12
	v_dual_fmac_f32 v120, v7, v11 :: v_dual_sub_f32 v11, v24, v97
	s_waitcnt lgkmcnt(4)
	v_dual_sub_f32 v1, v26, v1 :: v_dual_sub_f32 v10, v23, v16
	ds_bpermute_b32 v7, v2, v123 offset:48
	s_waitcnt lgkmcnt(3)
	v_sub_f32_e32 v3, v27, v3
	v_mul_f32_e32 v1, v42, v1
	v_dual_mul_f32 v11, v40, v11 :: v_dual_add_f32 v6, v37, v6
	s_delay_alu instid0(VALU_DEP_3)
	v_mul_f32_e32 v3, v43, v3
	s_waitcnt lgkmcnt(1)
	v_sub_f32_e32 v9, v28, v9
	v_fmac_f32_e32 v120, v8, v13
	ds_bpermute_b32 v8, v2, v100 offset:48
	v_mul_f32_e32 v10, v39, v10
	s_delay_alu instid0(VALU_DEP_1)
	v_fmac_f32_e32 v120, v10, v15
	ds_bpermute_b32 v10, v2, v100 offset:52
	v_fmac_f32_e32 v120, v11, v17
	ds_bpermute_b32 v11, v2, v123 offset:52
	;; [unrolled: 2-line block ×3, first 2 shown]
	v_add_f32_e32 v6, v38, v6
	v_fmac_f32_e32 v120, v1, v33
	s_waitcnt lgkmcnt(3)
	v_dual_sub_f32 v1, v29, v8 :: v_dual_mul_f32 v8, v44, v9
	s_waitcnt lgkmcnt(2)
	s_delay_alu instid0(VALU_DEP_2) | instskip(NEXT) | instid1(VALU_DEP_2)
	v_dual_fmac_f32 v120, v3, v4 :: v_dual_sub_f32 v9, v30, v10
	v_mul_f32_e32 v10, v45, v1
	ds_bpermute_b32 v4, v2, v123 offset:56
	ds_bpermute_b32 v1, v2, v123 offset:60
	v_fmac_f32_e32 v120, v8, v5
	v_mul_f32_e32 v5, v46, v9
	ds_bpermute_b32 v3, v2, v100 offset:60
	s_waitcnt lgkmcnt(3)
	v_dual_fmac_f32 v120, v10, v7 :: v_dual_sub_f32 v7, v31, v12
	v_add_f32_e32 v6, v39, v6
	s_delay_alu instid0(VALU_DEP_2) | instskip(NEXT) | instid1(VALU_DEP_2)
	v_fmac_f32_e32 v120, v5, v11
	v_dual_mul_f32 v5, v47, v7 :: v_dual_add_f32 v6, v40, v6
	s_delay_alu instid0(VALU_DEP_1) | instskip(SKIP_1) | instid1(VALU_DEP_2)
	v_add_f32_e32 v6, v41, v6
	s_waitcnt lgkmcnt(2)
	v_fmac_f32_e32 v120, v5, v4
	s_delay_alu instid0(VALU_DEP_2) | instskip(NEXT) | instid1(VALU_DEP_2)
	v_add_f32_e32 v6, v42, v6
	v_mov_b32_e32 v100, v120
	s_delay_alu instid0(VALU_DEP_2) | instskip(NEXT) | instid1(VALU_DEP_1)
	v_add_f32_e32 v6, v43, v6
	v_add_f32_e32 v6, v44, v6
	s_delay_alu instid0(VALU_DEP_1) | instskip(NEXT) | instid1(VALU_DEP_1)
	v_add_f32_e32 v6, v45, v6
	v_add_f32_e32 v6, v46, v6
	s_delay_alu instid0(VALU_DEP_1)
	v_add_f32_e32 v4, v47, v6
.LBB59_64:                              ;   in Loop: Header=BB59_3 Depth=1
	v_add_co_u32 v54, vcc_lo, v54, s42
	v_add_co_ci_u32_e32 v55, vcc_lo, s43, v55, vcc_lo
	v_add_co_u32 v56, vcc_lo, v56, s42
	v_add_co_ci_u32_e32 v57, vcc_lo, s43, v57, vcc_lo
	;; [unrolled: 2-line block ×28, first 2 shown]
	v_add_co_u32 v112, vcc_lo, v112, s42
	s_waitcnt lgkmcnt(0)
	v_sub_f32_e32 v3, v32, v3
	v_add_co_ci_u32_e32 v113, vcc_lo, s43, v113, vcc_lo
	v_add_co_u32 v114, vcc_lo, v114, s42
	s_add_u32 s46, s46, s34
	v_add_co_ci_u32_e32 v115, vcc_lo, s43, v115, vcc_lo
	v_mul_f32_e32 v3, v48, v3
	s_addc_u32 s47, s47, 0
	v_add_co_u32 v116, vcc_lo, v116, s42
	v_cmp_lt_i64_e64 s3, s[46:47], s[4:5]
	v_add_co_ci_u32_e32 v117, vcc_lo, s43, v117, vcc_lo
	v_add_co_u32 v118, vcc_lo, v118, s42
	v_dual_add_f32 v97, v4, v48 :: v_dual_fmac_f32 v100, v3, v1
	v_add_co_ci_u32_e32 v119, vcc_lo, s43, v119, vcc_lo
	s_add_u32 s44, s44, s34
	s_addc_u32 s45, s45, 0
	s_and_b32 vcc_lo, exec_lo, s3
	s_cbranch_vccz .LBB59_82
; %bb.65:                               ;   in Loop: Header=BB59_3 Depth=1
	v_mov_b32_e32 v120, v100
	s_branch .LBB59_3
.LBB59_66:                              ;   in Loop: Header=BB59_3 Depth=1
	v_add_co_u32 v3, vcc_lo, v116, v49
	v_add_co_ci_u32_e32 v4, vcc_lo, v117, v50, vcc_lo
	v_mov_b32_e32 v16, v2
	v_mov_b32_e32 v5, v2
	;; [unrolled: 1-line block ×3, first 2 shown]
	global_load_b32 v1, v[3:4], off
	v_add_co_u32 v3, vcc_lo, v118, v49
	v_add_co_ci_u32_e32 v4, vcc_lo, v119, v50, vcc_lo
	v_mov_b32_e32 v7, v2
	v_mov_b32_e32 v8, v2
	;; [unrolled: 1-line block ×3, first 2 shown]
	global_load_b32 v17, v[3:4], off
	v_mov_b32_e32 v3, v2
	v_mov_b32_e32 v4, v2
	;; [unrolled: 1-line block ×8, first 2 shown]
	s_waitcnt vmcnt(1)
	v_dual_mov_b32 v19, v2 :: v_dual_mov_b32 v48, v16
	v_mov_b32_e32 v18, v2
	v_dual_mov_b32 v20, v2 :: v_dual_mov_b32 v45, v13
	v_dual_mov_b32 v21, v2 :: v_dual_mov_b32 v44, v12
	;; [unrolled: 1-line block ×7, first 2 shown]
	v_mov_b32_e32 v27, v2
	v_dual_mov_b32 v28, v2 :: v_dual_mov_b32 v37, v5
	v_mov_b32_e32 v29, v2
	v_dual_mov_b32 v30, v2 :: v_dual_mov_b32 v35, v3
	;; [unrolled: 2-line block ×3, first 2 shown]
	v_mov_b32_e32 v42, v10
	v_mov_b32_e32 v38, v6
	;; [unrolled: 1-line block ×3, first 2 shown]
	v_dual_mov_b32 v32, v2 :: v_dual_mov_b32 v33, v1
	s_or_b32 exec_lo, exec_lo, s3
	s_and_saveexec_b32 s3, s2
	s_cbranch_execz .LBB59_48
.LBB59_67:                              ;   in Loop: Header=BB59_3 Depth=1
	v_add_co_u32 v3, vcc_lo, v112, v49
	v_add_co_ci_u32_e32 v4, vcc_lo, v113, v50, vcc_lo
	v_add_co_u32 v5, vcc_lo, v114, v49
	v_add_co_ci_u32_e32 v6, vcc_lo, v115, v50, vcc_lo
	global_load_b32 v34, v[3:4], off
	global_load_b32 v18, v[5:6], off
	s_or_b32 exec_lo, exec_lo, s3
	s_and_saveexec_b32 s3, s2
	s_cbranch_execz .LBB59_49
.LBB59_68:                              ;   in Loop: Header=BB59_3 Depth=1
	v_add_co_u32 v3, vcc_lo, v108, v49
	v_add_co_ci_u32_e32 v4, vcc_lo, v109, v50, vcc_lo
	v_add_co_u32 v5, vcc_lo, v110, v49
	v_add_co_ci_u32_e32 v6, vcc_lo, v111, v50, vcc_lo
	global_load_b32 v35, v[3:4], off
	global_load_b32 v19, v[5:6], off
	s_or_b32 exec_lo, exec_lo, s3
	s_and_saveexec_b32 s3, s2
	s_cbranch_execz .LBB59_50
.LBB59_69:                              ;   in Loop: Header=BB59_3 Depth=1
	v_add_co_u32 v3, vcc_lo, v104, v49
	v_add_co_ci_u32_e32 v4, vcc_lo, v105, v50, vcc_lo
	v_add_co_u32 v5, vcc_lo, v106, v49
	v_add_co_ci_u32_e32 v6, vcc_lo, v107, v50, vcc_lo
	global_load_b32 v36, v[3:4], off
	global_load_b32 v20, v[5:6], off
	s_or_b32 exec_lo, exec_lo, s3
	s_and_saveexec_b32 s3, s2
	s_cbranch_execz .LBB59_51
.LBB59_70:                              ;   in Loop: Header=BB59_3 Depth=1
	v_add_co_u32 v3, vcc_lo, v99, v49
	v_add_co_ci_u32_e32 v4, vcc_lo, v101, v50, vcc_lo
	v_add_co_u32 v5, vcc_lo, v102, v49
	v_add_co_ci_u32_e32 v6, vcc_lo, v103, v50, vcc_lo
	global_load_b32 v37, v[3:4], off
	global_load_b32 v21, v[5:6], off
	s_or_b32 exec_lo, exec_lo, s3
	s_and_saveexec_b32 s3, s2
	s_cbranch_execz .LBB59_52
.LBB59_71:                              ;   in Loop: Header=BB59_3 Depth=1
	v_add_co_u32 v3, vcc_lo, v94, v49
	v_add_co_ci_u32_e32 v4, vcc_lo, v95, v50, vcc_lo
	v_add_co_u32 v5, vcc_lo, v96, v49
	v_add_co_ci_u32_e32 v6, vcc_lo, v98, v50, vcc_lo
	global_load_b32 v38, v[3:4], off
	global_load_b32 v22, v[5:6], off
	s_or_b32 exec_lo, exec_lo, s3
	s_and_saveexec_b32 s3, s2
	s_cbranch_execz .LBB59_53
.LBB59_72:                              ;   in Loop: Header=BB59_3 Depth=1
	v_add_co_u32 v3, vcc_lo, v90, v49
	v_add_co_ci_u32_e32 v4, vcc_lo, v91, v50, vcc_lo
	v_add_co_u32 v5, vcc_lo, v92, v49
	v_add_co_ci_u32_e32 v6, vcc_lo, v93, v50, vcc_lo
	global_load_b32 v39, v[3:4], off
	global_load_b32 v23, v[5:6], off
	s_or_b32 exec_lo, exec_lo, s3
	s_and_saveexec_b32 s3, s2
	s_cbranch_execz .LBB59_54
.LBB59_73:                              ;   in Loop: Header=BB59_3 Depth=1
	v_add_co_u32 v3, vcc_lo, v86, v49
	v_add_co_ci_u32_e32 v4, vcc_lo, v87, v50, vcc_lo
	v_add_co_u32 v5, vcc_lo, v88, v49
	v_add_co_ci_u32_e32 v6, vcc_lo, v89, v50, vcc_lo
	global_load_b32 v40, v[3:4], off
	global_load_b32 v24, v[5:6], off
	s_or_b32 exec_lo, exec_lo, s3
	s_and_saveexec_b32 s3, s2
	s_cbranch_execz .LBB59_55
.LBB59_74:                              ;   in Loop: Header=BB59_3 Depth=1
	v_add_co_u32 v3, vcc_lo, v82, v49
	v_add_co_ci_u32_e32 v4, vcc_lo, v83, v50, vcc_lo
	v_add_co_u32 v5, vcc_lo, v84, v49
	v_add_co_ci_u32_e32 v6, vcc_lo, v85, v50, vcc_lo
	global_load_b32 v41, v[3:4], off
	global_load_b32 v25, v[5:6], off
	s_or_b32 exec_lo, exec_lo, s3
	s_and_saveexec_b32 s3, s2
	s_cbranch_execz .LBB59_56
.LBB59_75:                              ;   in Loop: Header=BB59_3 Depth=1
	v_add_co_u32 v3, vcc_lo, v78, v49
	v_add_co_ci_u32_e32 v4, vcc_lo, v79, v50, vcc_lo
	v_add_co_u32 v5, vcc_lo, v80, v49
	v_add_co_ci_u32_e32 v6, vcc_lo, v81, v50, vcc_lo
	global_load_b32 v42, v[3:4], off
	global_load_b32 v26, v[5:6], off
	s_or_b32 exec_lo, exec_lo, s3
	s_and_saveexec_b32 s3, s2
	s_cbranch_execz .LBB59_57
.LBB59_76:                              ;   in Loop: Header=BB59_3 Depth=1
	v_add_co_u32 v3, vcc_lo, v74, v49
	v_add_co_ci_u32_e32 v4, vcc_lo, v75, v50, vcc_lo
	v_add_co_u32 v5, vcc_lo, v76, v49
	v_add_co_ci_u32_e32 v6, vcc_lo, v77, v50, vcc_lo
	global_load_b32 v43, v[3:4], off
	global_load_b32 v27, v[5:6], off
	s_or_b32 exec_lo, exec_lo, s3
	s_and_saveexec_b32 s3, s2
	s_cbranch_execz .LBB59_58
.LBB59_77:                              ;   in Loop: Header=BB59_3 Depth=1
	v_add_co_u32 v3, vcc_lo, v70, v49
	v_add_co_ci_u32_e32 v4, vcc_lo, v71, v50, vcc_lo
	v_add_co_u32 v5, vcc_lo, v72, v49
	v_add_co_ci_u32_e32 v6, vcc_lo, v73, v50, vcc_lo
	global_load_b32 v44, v[3:4], off
	global_load_b32 v28, v[5:6], off
	s_or_b32 exec_lo, exec_lo, s3
	s_and_saveexec_b32 s3, s2
	s_cbranch_execz .LBB59_59
.LBB59_78:                              ;   in Loop: Header=BB59_3 Depth=1
	v_add_co_u32 v3, vcc_lo, v66, v49
	v_add_co_ci_u32_e32 v4, vcc_lo, v67, v50, vcc_lo
	v_add_co_u32 v5, vcc_lo, v68, v49
	v_add_co_ci_u32_e32 v6, vcc_lo, v69, v50, vcc_lo
	global_load_b32 v45, v[3:4], off
	global_load_b32 v29, v[5:6], off
	s_or_b32 exec_lo, exec_lo, s3
	s_and_saveexec_b32 s3, s2
	s_cbranch_execz .LBB59_60
.LBB59_79:                              ;   in Loop: Header=BB59_3 Depth=1
	v_add_co_u32 v3, vcc_lo, v62, v49
	v_add_co_ci_u32_e32 v4, vcc_lo, v63, v50, vcc_lo
	v_add_co_u32 v5, vcc_lo, v64, v49
	v_add_co_ci_u32_e32 v6, vcc_lo, v65, v50, vcc_lo
	global_load_b32 v46, v[3:4], off
	global_load_b32 v30, v[5:6], off
	s_or_b32 exec_lo, exec_lo, s3
	s_and_saveexec_b32 s3, s2
	s_cbranch_execz .LBB59_61
.LBB59_80:                              ;   in Loop: Header=BB59_3 Depth=1
	v_add_co_u32 v3, vcc_lo, v58, v49
	v_add_co_ci_u32_e32 v4, vcc_lo, v59, v50, vcc_lo
	v_add_co_u32 v5, vcc_lo, v60, v49
	v_add_co_ci_u32_e32 v6, vcc_lo, v61, v50, vcc_lo
	global_load_b32 v47, v[3:4], off
	global_load_b32 v31, v[5:6], off
	s_or_b32 exec_lo, exec_lo, s3
	s_and_saveexec_b32 s3, s2
	s_cbranch_execnz .LBB59_62
	s_branch .LBB59_63
.LBB59_81:
	s_mov_b32 s35, -1
                                        ; implicit-def: $vgpr97
                                        ; implicit-def: $vgpr100
.LBB59_82:
	s_delay_alu instid0(SALU_CYCLE_1)
	s_and_not1_b32 vcc_lo, exec_lo, s35
	s_cbranch_vccnz .LBB59_130
; %bb.83:
	v_dual_mov_b32 v97, 0 :: v_dual_mov_b32 v100, 0
	s_and_not1_b32 vcc_lo, exec_lo, s15
	s_mov_b32 s16, 0
	s_cbranch_vccnz .LBB59_130
; %bb.84:
	s_load_b32 s15, s[0:1], 0x44
	v_bfe_u32 v98, v0, 10, 10
	s_add_u32 s2, s0, 64
	s_addc_u32 s3, s1, 0
	v_and_b32_e32 v161, 0x3ff, v0
	s_delay_alu instid0(VALU_DEP_2)
	v_lshlrev_b32_e32 v1, 6, v98
	v_lshlrev_b32_e32 v99, 4, v98
	s_waitcnt lgkmcnt(0)
	s_lshl_b32 s15, s15, 8
	s_add_u32 s34, s12, 0xff
	s_addc_u32 s35, 0, 0
	s_lshl_b64 s[18:19], s[12:13], 2
	s_delay_alu instid0(SALU_CYCLE_1) | instskip(NEXT) | instid1(VALU_DEP_1)
	v_add_co_u32 v1, s17, v1, s18
	v_add_co_ci_u32_e64 v2, null, 0, s19, s17
	v_add_co_u32 v103, s17, v99, s12
	s_delay_alu instid0(VALU_DEP_3) | instskip(NEXT) | instid1(VALU_DEP_3)
	v_add_co_u32 v3, vcc_lo, v1, 4
	v_add_co_ci_u32_e32 v4, vcc_lo, 0, v2, vcc_lo
	v_add_co_u32 v5, vcc_lo, v1, 8
	v_add_co_ci_u32_e32 v6, vcc_lo, 0, v2, vcc_lo
	;; [unrolled: 2-line block ×13, first 2 shown]
	v_add_co_u32 v97, vcc_lo, v1, 56
	v_mad_u64_u32 v[39:40], null, s6, v7, s[8:9]
	v_mul_lo_u32 v8, s6, v8
	v_mul_lo_u32 v11, s7, v7
	v_mad_u64_u32 v[69:70], null, s6, v7, s[10:11]
	v_add_co_ci_u32_e32 v63, vcc_lo, 0, v2, vcc_lo
	v_mad_u64_u32 v[37:38], null, s6, v5, s[8:9]
	v_mul_lo_u32 v6, s6, v6
	v_mul_lo_u32 v10, s7, v5
	v_add_co_u32 v102, vcc_lo, v1, 60
	v_add_co_ci_u32_e64 v104, null, 0, 0, s17
	v_mad_u64_u32 v[67:68], null, s6, v5, s[10:11]
	v_add_co_ci_u32_e32 v1, vcc_lo, 0, v2, vcc_lo
	v_add_co_u32 v5, vcc_lo, v103, 15
	v_mad_u64_u32 v[35:36], null, s6, v3, s[8:9]
	v_mul_lo_u32 v4, s6, v4
	v_mul_lo_u32 v9, s7, v3
	v_mad_u64_u32 v[65:66], null, s6, v3, s[10:11]
	v_add_co_ci_u32_e32 v3, vcc_lo, 0, v104, vcc_lo
	v_add3_u32 v40, v11, v40, v8
	v_add3_u32 v70, v11, v70, v8
	v_add_co_u32 v8, vcc_lo, v103, 14
	v_add3_u32 v38, v10, v38, v6
	v_add3_u32 v68, v10, v68, v6
	v_add_co_ci_u32_e32 v6, vcc_lo, 0, v104, vcc_lo
	v_add3_u32 v36, v9, v36, v4
	v_add3_u32 v66, v9, v66, v4
	v_mul_lo_u32 v7, s7, v5
	v_mul_lo_u32 v9, s6, v3
	v_mad_u64_u32 v[3:4], null, s6, v5, 0
	v_mul_lo_u32 v10, s7, v8
	v_mul_lo_u32 v11, s6, v6
	v_mad_u64_u32 v[5:6], null, s6, v8, 0
	v_mul_lo_u32 v105, s6, v1
	v_mul_lo_u32 v75, s7, v103
	;; [unrolled: 1-line block ×3, first 2 shown]
	v_mad_u64_u32 v[1:2], null, s6, v103, 0
	v_mad_u64_u32 v[41:42], null, s6, v12, s[8:9]
	v_mul_lo_u32 v13, s6, v13
	v_mul_lo_u32 v16, s7, v12
	v_mad_u64_u32 v[71:72], null, s6, v12, s[10:11]
	v_mad_u64_u32 v[43:44], null, s6, v14, s[8:9]
	v_mul_lo_u32 v15, s6, v15
	v_mul_lo_u32 v18, s7, v14
	v_mad_u64_u32 v[73:74], null, s6, v14, s[10:11]
	v_add_co_u32 v12, vcc_lo, v103, 13
	v_add_co_ci_u32_e32 v8, vcc_lo, 0, v104, vcc_lo
	v_add3_u32 v6, v6, v11, v10
	v_add_co_u32 v11, vcc_lo, v103, 12
	v_mad_u64_u32 v[45:46], null, s6, v17, s[8:9]
	v_mul_lo_u32 v19, s6, v19
	v_mul_lo_u32 v22, s7, v17
	v_add3_u32 v2, v2, v76, v75
	v_mad_u64_u32 v[75:76], null, s6, v17, s[10:11]
	v_mad_u64_u32 v[47:48], null, s6, v20, s[8:9]
	v_mul_lo_u32 v21, s6, v21
	v_mul_lo_u32 v24, s7, v20
	v_mad_u64_u32 v[77:78], null, s6, v20, s[10:11]
	v_add3_u32 v4, v4, v9, v7
	v_add_co_ci_u32_e32 v9, vcc_lo, 0, v104, vcc_lo
	v_add3_u32 v42, v16, v42, v13
	v_add3_u32 v72, v16, v72, v13
	v_add_co_u32 v13, vcc_lo, v103, 11
	v_add3_u32 v44, v18, v44, v15
	v_add3_u32 v74, v18, v74, v15
	v_mul_lo_u32 v17, s7, v12
	v_mul_lo_u32 v18, s6, v8
	v_mad_u64_u32 v[7:8], null, s6, v12, 0
	v_add_co_ci_u32_e32 v12, vcc_lo, 0, v104, vcc_lo
	v_mad_u64_u32 v[49:50], null, s6, v23, s[8:9]
	v_mul_lo_u32 v25, s6, v25
	v_mul_lo_u32 v28, s7, v23
	v_mad_u64_u32 v[79:80], null, s6, v23, s[10:11]
	v_add_co_u32 v15, vcc_lo, v103, 10
	v_add3_u32 v46, v22, v46, v19
	v_add3_u32 v76, v22, v76, v19
	v_mul_lo_u32 v19, s7, v11
	v_mul_lo_u32 v20, s6, v9
	v_mad_u64_u32 v[9:10], null, s6, v11, 0
	v_add3_u32 v48, v24, v48, v21
	v_add3_u32 v78, v24, v78, v21
	v_mul_lo_u32 v21, s7, v13
	v_mul_lo_u32 v22, s6, v12
	v_mad_u64_u32 v[11:12], null, s6, v13, 0
	v_add_co_ci_u32_e32 v13, vcc_lo, 0, v104, vcc_lo
	v_mad_u64_u32 v[55:56], null, s6, v32, s[8:9]
	v_mul_lo_u32 v33, s6, v33
	v_mul_lo_u32 v91, s7, v32
	v_mad_u64_u32 v[85:86], null, s6, v32, s[10:11]
	v_add_co_u32 v24, vcc_lo, v103, 9
	v_add3_u32 v50, v28, v50, v25
	v_add3_u32 v80, v28, v80, v25
	v_mul_lo_u32 v23, s7, v15
	v_mul_lo_u32 v25, s6, v13
	v_mad_u64_u32 v[13:14], null, s6, v15, 0
	v_add_co_ci_u32_e32 v16, vcc_lo, 0, v104, vcc_lo
	v_add3_u32 v10, v10, v20, v19
	v_add_co_u32 v19, vcc_lo, v103, 8
	v_add3_u32 v8, v8, v18, v17
	v_add_co_ci_u32_e32 v17, vcc_lo, 0, v104, vcc_lo
	v_add3_u32 v12, v12, v22, v21
	v_add_co_u32 v21, vcc_lo, v103, 7
	v_mad_u64_u32 v[53:54], null, s6, v30, s[8:9]
	v_mul_lo_u32 v31, s6, v31
	v_mul_lo_u32 v34, s7, v30
	v_mad_u64_u32 v[57:58], null, s6, v89, s[8:9]
	v_mul_lo_u32 v93, s6, v59
	v_mul_lo_u32 v94, s7, v89
	;; [unrolled: 3-line block ×3, first 2 shown]
	v_add3_u32 v56, v91, v56, v33
	v_mad_u64_u32 v[61:62], null, s6, v97, s[8:9]
	v_mul_lo_u32 v100, s6, v63
	v_mul_lo_u32 v101, s7, v97
	v_mad_u64_u32 v[83:84], null, s6, v30, s[10:11]
	v_mad_u64_u32 v[87:88], null, s6, v89, s[10:11]
	;; [unrolled: 1-line block ×3, first 2 shown]
	v_add3_u32 v86, v91, v86, v33
	v_mad_u64_u32 v[91:92], null, s6, v97, s[10:11]
	v_add_co_ci_u32_e32 v20, vcc_lo, 0, v104, vcc_lo
	v_mad_u64_u32 v[51:52], null, s6, v26, s[8:9]
	v_mul_lo_u32 v27, s6, v27
	v_mul_lo_u32 v29, s7, v26
	v_mad_u64_u32 v[81:82], null, s6, v26, s[10:11]
	v_add3_u32 v14, v14, v25, v23
	v_add_co_u32 v23, vcc_lo, v103, 6
	v_add_co_ci_u32_e32 v22, vcc_lo, 0, v104, vcc_lo
	v_add_co_u32 v25, vcc_lo, v103, 5
	v_add3_u32 v54, v34, v54, v31
	v_add3_u32 v58, v94, v58, v93
	;; [unrolled: 1-line block ×3, first 2 shown]
	v_mad_u64_u32 v[63:64], null, s6, v102, s[8:9]
	v_mul_lo_u32 v106, s7, v102
	v_add3_u32 v62, v101, v62, v100
	v_add3_u32 v84, v34, v84, v31
	;; [unrolled: 1-line block ×4, first 2 shown]
	v_mad_u64_u32 v[93:94], null, s6, v102, s[10:11]
	v_add3_u32 v92, v101, v92, v100
	v_mul_lo_u32 v33, s7, v19
	v_mul_lo_u32 v34, s6, v17
	v_mad_u64_u32 v[17:18], null, s6, v19, 0
	v_mul_lo_u32 v95, s7, v21
	v_mul_lo_u32 v96, s6, v20
	v_mad_u64_u32 v[19:20], null, s6, v21, 0
	;; [unrolled: 3-line block ×3, first 2 shown]
	v_add_co_ci_u32_e32 v23, vcc_lo, 0, v104, vcc_lo
	v_add3_u32 v52, v29, v52, v27
	v_add3_u32 v82, v29, v82, v27
	v_add_co_u32 v27, vcc_lo, v103, 4
	v_mul_lo_u32 v31, s7, v24
	v_mul_lo_u32 v32, s6, v16
	v_mad_u64_u32 v[15:16], null, s6, v24, 0
	v_add_co_ci_u32_e32 v26, vcc_lo, 0, v104, vcc_lo
	v_add_co_u32 v29, vcc_lo, v103, 3
	v_add3_u32 v64, v106, v64, v105
	v_add3_u32 v94, v106, v94, v105
	v_mul_lo_u32 v101, s7, v25
	v_mul_lo_u32 v102, s6, v23
	v_mad_u64_u32 v[23:24], null, s6, v25, 0
	v_mul_lo_u32 v105, s7, v27
	v_mul_lo_u32 v106, s6, v26
	v_mad_u64_u32 v[25:26], null, s6, v27, 0
	v_add_co_ci_u32_e32 v27, vcc_lo, 0, v104, vcc_lo
	v_add_co_u32 v103, vcc_lo, v103, 2
	v_add3_u32 v16, v16, v32, v31
	v_lshlrev_b64 v[31:32], 2, v[1:2]
	v_add_co_ci_u32_e32 v30, vcc_lo, 0, v104, vcc_lo
	v_mul_lo_u32 v104, s6, v27
	v_mul_lo_u32 v107, s7, v29
	v_mad_u64_u32 v[27:28], null, s6, v29, 0
	v_add_co_u32 v1, vcc_lo, v1, s6
	v_add_co_ci_u32_e32 v2, vcc_lo, s7, v2, vcc_lo
	v_add3_u32 v24, v24, v102, v101
	v_add_co_u32 v101, vcc_lo, s8, v31
	v_lshlrev_b64 v[3:4], 2, v[3:4]
	v_add_co_ci_u32_e32 v102, vcc_lo, s9, v32, vcc_lo
	v_mul_lo_u32 v108, s6, v30
	v_mul_lo_u32 v109, s7, v103
	v_mad_u64_u32 v[29:30], null, s6, v103, 0
	v_add_co_u32 v103, vcc_lo, s10, v31
	v_add3_u32 v28, v28, v104, v107
	v_add_co_ci_u32_e32 v104, vcc_lo, s11, v32, vcc_lo
	v_add3_u32 v26, v26, v106, v105
	v_add_co_u32 v105, vcc_lo, s8, v3
	v_lshlrev_b64 v[5:6], 2, v[5:6]
	v_add_co_ci_u32_e32 v106, vcc_lo, s9, v4, vcc_lo
	v_add_co_u32 v107, vcc_lo, s10, v3
	v_add3_u32 v30, v30, v108, v109
	v_add_co_ci_u32_e32 v108, vcc_lo, s11, v4, vcc_lo
	v_add_co_u32 v109, vcc_lo, s8, v5
	v_lshlrev_b64 v[3:4], 2, v[7:8]
	v_add_co_ci_u32_e32 v110, vcc_lo, s9, v6, vcc_lo
	v_add_co_u32 v111, vcc_lo, s10, v5
	v_add_co_ci_u32_e32 v112, vcc_lo, s11, v6, vcc_lo
	s_delay_alu instid0(VALU_DEP_4) | instskip(SKIP_4) | instid1(VALU_DEP_4)
	v_add_co_u32 v113, vcc_lo, s8, v3
	v_lshlrev_b64 v[5:6], 2, v[9:10]
	v_add_co_ci_u32_e32 v114, vcc_lo, s9, v4, vcc_lo
	v_add_co_u32 v115, vcc_lo, s10, v3
	v_add_co_ci_u32_e32 v116, vcc_lo, s11, v4, vcc_lo
	v_add_co_u32 v117, vcc_lo, s8, v5
	v_lshlrev_b64 v[3:4], 2, v[11:12]
	v_add_co_ci_u32_e32 v118, vcc_lo, s9, v6, vcc_lo
	v_add_co_u32 v119, vcc_lo, s10, v5
	v_add_co_ci_u32_e32 v120, vcc_lo, s11, v6, vcc_lo
	s_delay_alu instid0(VALU_DEP_4) | instskip(SKIP_4) | instid1(VALU_DEP_4)
	v_add_co_u32 v121, vcc_lo, s8, v3
	v_lshlrev_b64 v[5:6], 2, v[13:14]
	v_add_co_ci_u32_e32 v122, vcc_lo, s9, v4, vcc_lo
	v_add_co_u32 v123, vcc_lo, s10, v3
	v_add_co_ci_u32_e32 v124, vcc_lo, s11, v4, vcc_lo
	v_add_co_u32 v125, vcc_lo, s8, v5
	v_lshlrev_b64 v[3:4], 2, v[15:16]
	v_add3_u32 v18, v18, v34, v33
	v_add_co_ci_u32_e32 v126, vcc_lo, s9, v6, vcc_lo
	v_add_co_u32 v127, vcc_lo, s10, v5
	v_add_co_ci_u32_e32 v128, vcc_lo, s11, v6, vcc_lo
	v_add_co_u32 v129, vcc_lo, s8, v3
	v_lshlrev_b64 v[5:6], 2, v[17:18]
	v_add3_u32 v20, v20, v96, v95
	;; [unrolled: 6-line block ×3, first 2 shown]
	v_mov_b32_e32 v100, 0
	v_add_co_ci_u32_e32 v134, vcc_lo, s9, v6, vcc_lo
	v_add_co_u32 v135, vcc_lo, s10, v5
	v_add_co_ci_u32_e32 v136, vcc_lo, s11, v6, vcc_lo
	v_add_co_u32 v137, vcc_lo, s8, v3
	v_lshlrev_b64 v[5:6], 2, v[21:22]
	v_add_co_ci_u32_e32 v138, vcc_lo, s9, v4, vcc_lo
	v_add_co_u32 v139, vcc_lo, s10, v3
	v_add_co_ci_u32_e32 v140, vcc_lo, s11, v4, vcc_lo
	s_delay_alu instid0(VALU_DEP_4) | instskip(SKIP_4) | instid1(VALU_DEP_4)
	v_add_co_u32 v141, vcc_lo, s8, v5
	v_lshlrev_b64 v[3:4], 2, v[23:24]
	v_add_co_ci_u32_e32 v142, vcc_lo, s9, v6, vcc_lo
	v_add_co_u32 v143, vcc_lo, s10, v5
	v_add_co_ci_u32_e32 v144, vcc_lo, s11, v6, vcc_lo
	v_add_co_u32 v145, vcc_lo, s8, v3
	v_lshlrev_b64 v[5:6], 2, v[25:26]
	v_add_co_ci_u32_e32 v146, vcc_lo, s9, v4, vcc_lo
	v_add_co_u32 v147, vcc_lo, s10, v3
	v_add_co_ci_u32_e32 v148, vcc_lo, s11, v4, vcc_lo
	s_delay_alu instid0(VALU_DEP_4) | instskip(SKIP_4) | instid1(VALU_DEP_4)
	v_add_co_u32 v149, vcc_lo, s8, v5
	v_lshlrev_b64 v[3:4], 2, v[27:28]
	v_add_co_ci_u32_e32 v150, vcc_lo, s9, v6, vcc_lo
	v_add_co_u32 v151, vcc_lo, s10, v5
	v_add_co_ci_u32_e32 v152, vcc_lo, s11, v6, vcc_lo
	v_add_co_u32 v153, vcc_lo, s8, v3
	v_lshlrev_b64 v[5:6], 2, v[29:30]
	v_add_co_ci_u32_e32 v154, vcc_lo, s9, v4, vcc_lo
	v_add_co_u32 v155, vcc_lo, s10, v3
	v_add_co_ci_u32_e32 v156, vcc_lo, s11, v4, vcc_lo
	s_delay_alu instid0(VALU_DEP_4)
	v_add_co_u32 v157, vcc_lo, s8, v5
	v_lshlrev_b64 v[3:4], 2, v[1:2]
	v_add_co_ci_u32_e32 v158, vcc_lo, s9, v6, vcc_lo
	v_add_co_u32 v159, vcc_lo, s10, v5
	v_add_co_ci_u32_e32 v160, vcc_lo, s11, v6, vcc_lo
	v_dual_mov_b32 v2, 0 :: v_dual_add_nc_u32 v1, s33, v161
	v_add_co_u32 v162, vcc_lo, s8, v3
	v_add_co_ci_u32_e32 v163, vcc_lo, s9, v4, vcc_lo
	v_add_co_u32 v164, vcc_lo, s10, v3
	s_mul_i32 s8, s7, s15
	s_mul_hi_u32 s9, s6, s15
	v_lshlrev_b64 v[95:96], 2, v[1:2]
	v_add_co_ci_u32_e32 v165, vcc_lo, s11, v4, vcc_lo
	v_mov_b32_e32 v97, 0
	s_add_i32 s9, s9, s8
	s_mul_i32 s8, s6, s15
	s_delay_alu instid0(SALU_CYCLE_1)
	s_lshl_b64 s[8:9], s[8:9], 2
	s_branch .LBB59_88
.LBB59_85:                              ;   in Loop: Header=BB59_88 Depth=1
	s_or_b32 exec_lo, exec_lo, s11
.LBB59_86:                              ;   in Loop: Header=BB59_88 Depth=1
	s_delay_alu instid0(SALU_CYCLE_1)
	s_or_b32 exec_lo, exec_lo, s10
	v_add_co_u32 v3, vcc_lo, v101, v95
	v_add_co_ci_u32_e32 v4, vcc_lo, v102, v96, vcc_lo
	v_add_co_u32 v6, vcc_lo, v103, v95
	v_add_co_ci_u32_e32 v7, vcc_lo, v104, v96, vcc_lo
	s_waitcnt vmcnt(0)
	ds_bpermute_b32 v172, v2, v1 offset:4
	global_load_b32 v14, v[3:4], off
	global_load_b32 v15, v[6:7], off
	v_add_co_u32 v3, vcc_lo, v35, v95
	v_add_co_ci_u32_e32 v4, vcc_lo, v36, v96, vcc_lo
	v_add_co_u32 v6, vcc_lo, v65, v95
	v_add_co_ci_u32_e32 v7, vcc_lo, v66, v96, vcc_lo
	v_add_co_u32 v8, vcc_lo, v37, v95
	v_add_co_ci_u32_e32 v9, vcc_lo, v38, v96, vcc_lo
	v_add_co_u32 v10, vcc_lo, v67, v95
	v_add_co_ci_u32_e32 v11, vcc_lo, v68, v96, vcc_lo
	v_add_co_u32 v12, vcc_lo, v39, v95
	v_add_co_ci_u32_e32 v13, vcc_lo, v40, v96, vcc_lo
	global_load_b32 v16, v[3:4], off
	global_load_b32 v17, v[6:7], off
	global_load_b32 v19, v[8:9], off
	global_load_b32 v20, v[10:11], off
	global_load_b32 v21, v[12:13], off
	v_add_co_u32 v3, vcc_lo, v69, v95
	v_add_co_ci_u32_e32 v4, vcc_lo, v70, v96, vcc_lo
	v_add_co_u32 v6, vcc_lo, v41, v95
	v_add_co_ci_u32_e32 v7, vcc_lo, v42, v96, vcc_lo
	v_add_co_u32 v8, vcc_lo, v71, v95
	v_add_co_ci_u32_e32 v9, vcc_lo, v72, v96, vcc_lo
	v_add_co_u32 v10, vcc_lo, v43, v95
	v_add_co_ci_u32_e32 v11, vcc_lo, v44, v96, vcc_lo
	v_add_co_u32 v12, vcc_lo, v73, v95
	v_add_co_ci_u32_e32 v13, vcc_lo, v74, v96, vcc_lo
	global_load_b32 v22, v[3:4], off
	global_load_b32 v23, v[6:7], off
	global_load_b32 v24, v[8:9], off
	;; [unrolled: 15-line block ×4, first 2 shown]
	global_load_b32 v166, v[10:11], off
	global_load_b32 v167, v[12:13], off
	v_add_co_u32 v3, vcc_lo, v85, v95
	v_add_co_ci_u32_e32 v4, vcc_lo, v86, v96, vcc_lo
	v_add_co_u32 v6, vcc_lo, v55, v95
	v_add_co_ci_u32_e32 v7, vcc_lo, v56, v96, vcc_lo
	global_load_b32 v168, v[3:4], off
	v_add_co_u32 v3, vcc_lo, v57, v95
	v_add_co_ci_u32_e32 v4, vcc_lo, v58, v96, vcc_lo
	v_add_co_u32 v8, vcc_lo, v87, v95
	v_add_co_ci_u32_e32 v9, vcc_lo, v88, v96, vcc_lo
	;; [unrolled: 2-line block ×4, first 2 shown]
	global_load_b32 v169, v[6:7], off
	global_load_b32 v170, v[3:4], off
	;; [unrolled: 1-line block ×5, first 2 shown]
	v_add_co_u32 v3, vcc_lo, v91, v95
	v_add_co_ci_u32_e32 v4, vcc_lo, v92, v96, vcc_lo
	v_add_co_u32 v6, vcc_lo, v93, v95
	v_add_co_ci_u32_e32 v7, vcc_lo, v94, v96, vcc_lo
	global_load_b32 v12, v[3:4], off
	global_load_b32 v6, v[6:7], off
	v_add_co_u32 v8, vcc_lo, v61, v95
	v_add_co_ci_u32_e32 v9, vcc_lo, v62, v96, vcc_lo
	v_add_co_u32 v3, vcc_lo, v63, v95
	v_add_co_ci_u32_e32 v4, vcc_lo, v64, v96, vcc_lo
	global_load_b32 v7, v[8:9], off
	global_load_b32 v18, v[3:4], off
	ds_bpermute_b32 v3, v2, v5
	ds_bpermute_b32 v4, v2, v5 offset:4
	ds_bpermute_b32 v8, v2, v5 offset:8
	ds_bpermute_b32 v9, v2, v1
	ds_bpermute_b32 v13, v2, v5 offset:12
	ds_bpermute_b32 v173, v2, v1 offset:8
	;; [unrolled: 1-line block ×14, first 2 shown]
	s_waitcnt vmcnt(30) lgkmcnt(17)
	v_sub_f32_e32 v3, v15, v3
	ds_bpermute_b32 v15, v2, v1 offset:32
	s_waitcnt vmcnt(28) lgkmcnt(17)
	v_dual_sub_f32 v4, v17, v4 :: v_dual_mul_f32 v3, v14, v3
	s_waitcnt vmcnt(26) lgkmcnt(16)
	v_sub_f32_e32 v8, v20, v8
	ds_bpermute_b32 v17, v2, v5 offset:36
	v_mul_f32_e32 v4, v16, v4
	s_waitcnt lgkmcnt(16)
	v_fmac_f32_e32 v100, v3, v9
	ds_bpermute_b32 v3, v2, v5 offset:40
	s_waitcnt vmcnt(24) lgkmcnt(16)
	v_sub_f32_e32 v9, v22, v13
	v_dual_add_f32 v13, v97, v14 :: v_dual_mul_f32 v8, v19, v8
	s_delay_alu instid0(VALU_DEP_2) | instskip(NEXT) | instid1(VALU_DEP_2)
	v_mul_f32_e32 v9, v21, v9
	v_add_f32_e32 v13, v13, v16
	v_fmac_f32_e32 v100, v4, v172
	s_waitcnt vmcnt(20) lgkmcnt(12)
	v_sub_f32_e32 v16, v26, v178
	ds_bpermute_b32 v4, v2, v1 offset:44
	v_dual_add_f32 v13, v13, v19 :: v_dual_sub_f32 v14, v24, v176
	v_fmac_f32_e32 v100, v8, v173
	ds_bpermute_b32 v8, v2, v5 offset:44
	v_dual_add_f32 v13, v13, v21 :: v_dual_mul_f32 v14, v23, v14
	s_delay_alu instid0(VALU_DEP_1)
	v_add_f32_e32 v13, v13, v23
	s_waitcnt vmcnt(18) lgkmcnt(13)
	v_dual_sub_f32 v19, v28, v180 :: v_dual_fmac_f32 v100, v9, v174
	v_mul_f32_e32 v16, v25, v16
	ds_bpermute_b32 v9, v2, v1 offset:48
	v_add_f32_e32 v13, v13, v25
	v_mul_f32_e32 v19, v27, v19
	s_waitcnt lgkmcnt(13)
	v_fmac_f32_e32 v100, v14, v175
	ds_bpermute_b32 v14, v2, v5 offset:48
	v_add_f32_e32 v13, v13, v27
	s_waitcnt vmcnt(17)
	s_delay_alu instid0(VALU_DEP_1)
	v_add_f32_e32 v13, v13, v29
	s_waitcnt vmcnt(14) lgkmcnt(11)
	v_dual_sub_f32 v21, v32, v183 :: v_dual_sub_f32 v20, v30, v182
	v_fmac_f32_e32 v100, v16, v177
	s_waitcnt vmcnt(12) lgkmcnt(5)
	v_sub_f32_e32 v17, v34, v17
	s_waitcnt vmcnt(10) lgkmcnt(4)
	v_sub_f32_e32 v3, v167, v3
	v_dual_mul_f32 v21, v31, v21 :: v_dual_mul_f32 v20, v29, v20
	s_delay_alu instid0(VALU_DEP_3)
	v_dual_fmac_f32 v100, v19, v179 :: v_dual_mul_f32 v17, v33, v17
	ds_bpermute_b32 v19, v2, v5 offset:52
	ds_bpermute_b32 v16, v2, v1 offset:52
	v_fmac_f32_e32 v100, v20, v181
	s_waitcnt vmcnt(9) lgkmcnt(4)
	v_dual_sub_f32 v8, v168, v8 :: v_dual_add_f32 v13, v13, v31
	ds_bpermute_b32 v20, v2, v5 offset:56
	ds_bpermute_b32 v5, v2, v5 offset:60
	s_waitcnt vmcnt(8)
	v_mul_f32_e32 v8, v169, v8
	s_waitcnt vmcnt(6) lgkmcnt(4)
	v_sub_f32_e32 v14, v171, v14
	v_fmac_f32_e32 v100, v21, v15
	v_mul_f32_e32 v3, v166, v3
	ds_bpermute_b32 v15, v2, v1 offset:56
	ds_bpermute_b32 v1, v2, v1 offset:60
	v_fmac_f32_e32 v100, v17, v184
	s_delay_alu instid0(VALU_DEP_1)
	v_fmac_f32_e32 v100, v3, v185
	s_waitcnt vmcnt(4) lgkmcnt(5)
	v_sub_f32_e32 v3, v11, v19
	v_add_f32_e32 v13, v13, v33
	v_mul_f32_e32 v11, v170, v14
	s_waitcnt vmcnt(2) lgkmcnt(2)
	v_dual_sub_f32 v5, v6, v5 :: v_dual_fmac_f32 v100, v8, v4
	s_delay_alu instid0(VALU_DEP_3) | instskip(NEXT) | instid1(VALU_DEP_1)
	v_dual_sub_f32 v8, v12, v20 :: v_dual_add_f32 v13, v13, v166
	v_dual_mul_f32 v3, v10, v3 :: v_dual_add_f32 v4, v13, v169
	s_waitcnt vmcnt(0)
	s_delay_alu instid0(VALU_DEP_1) | instskip(NEXT) | instid1(VALU_DEP_1)
	v_dual_mul_f32 v5, v18, v5 :: v_dual_add_f32 v4, v4, v170
	v_add_f32_e32 v4, v4, v10
	v_fmac_f32_e32 v100, v11, v9
	s_delay_alu instid0(VALU_DEP_1) | instskip(SKIP_2) | instid1(VALU_DEP_1)
	v_fmac_f32_e32 v100, v3, v16
	v_mul_f32_e32 v3, v7, v8
	s_waitcnt lgkmcnt(1)
	v_fmac_f32_e32 v100, v3, v15
	s_waitcnt lgkmcnt(0)
	v_dual_add_f32 v3, v4, v7 :: v_dual_mul_f32 v4, v5, v1
	s_delay_alu instid0(VALU_DEP_2)
	v_mov_b32_e32 v1, v100
.LBB59_87:                              ;   in Loop: Header=BB59_88 Depth=1
	v_add_co_u32 v35, vcc_lo, v35, s8
	v_add_co_ci_u32_e32 v36, vcc_lo, s9, v36, vcc_lo
	v_add_co_u32 v37, vcc_lo, v37, s8
	v_add_co_ci_u32_e32 v38, vcc_lo, s9, v38, vcc_lo
	;; [unrolled: 2-line block ×59, first 2 shown]
	v_add_co_u32 v159, vcc_lo, v159, s8
	s_add_u32 s12, s12, s15
	v_add_co_ci_u32_e32 v160, vcc_lo, s9, v160, vcc_lo
	s_addc_u32 s13, s13, 0
	v_add_co_u32 v162, vcc_lo, v162, s8
	v_cmp_ge_i64_e64 s10, s[12:13], s[4:5]
	v_add_co_ci_u32_e32 v163, vcc_lo, s9, v163, vcc_lo
	v_add_co_u32 v164, vcc_lo, v164, s8
	v_dual_add_f32 v100, v1, v4 :: v_dual_add_f32 v97, v3, v18
	v_add_co_ci_u32_e32 v165, vcc_lo, s9, v165, vcc_lo
	s_add_u32 s34, s34, s15
	s_addc_u32 s35, s35, 0
	s_and_b32 vcc_lo, exec_lo, s10
	s_cbranch_vccnz .LBB59_130
.LBB59_88:                              ; =>This Inner Loop Header: Depth=1
	v_cmp_ge_i64_e64 s10, s[34:35], s[4:5]
	v_add_co_u32 v166, s11, v99, s34
	s_delay_alu instid0(VALU_DEP_1) | instskip(NEXT) | instid1(VALU_DEP_3)
	v_add_co_ci_u32_e64 v167, null, 0, s35, s11
	s_and_b32 vcc_lo, exec_lo, s10
	s_cbranch_vccz .LBB59_126
; %bb.89:                               ;   in Loop: Header=BB59_88 Depth=1
	s_load_b32 s10, s[2:3], 0xc
	v_dual_mov_b32 v169, 0 :: v_dual_mov_b32 v168, 0
	s_waitcnt lgkmcnt(0)
	s_and_b32 s10, s10, 0xffff
	s_delay_alu instid0(SALU_CYCLE_1) | instskip(SKIP_1) | instid1(VALU_DEP_1)
	v_mad_u32_u24 v1, v98, s10, v161
	s_mov_b32 s10, exec_lo
	v_and_b32_e32 v1, 31, v1
	s_delay_alu instid0(VALU_DEP_1)
	v_cmpx_gt_u32_e32 16, v1
	s_cbranch_execz .LBB59_93
; %bb.90:                               ;   in Loop: Header=BB59_88 Depth=1
	v_add_co_u32 v1, vcc_lo, v166, v1
	v_add_co_ci_u32_e32 v4, vcc_lo, 0, v167, vcc_lo
	v_dual_mov_b32 v169, 0 :: v_dual_mov_b32 v168, 0
	s_delay_alu instid0(VALU_DEP_3) | instskip(NEXT) | instid1(VALU_DEP_3)
	v_add_co_u32 v3, vcc_lo, 0xffffff01, v1
	v_add_co_ci_u32_e32 v4, vcc_lo, -1, v4, vcc_lo
	s_mov_b32 s11, exec_lo
	s_delay_alu instid0(VALU_DEP_1)
	v_cmpx_gt_i64_e64 s[4:5], v[3:4]
	s_cbranch_execz .LBB59_92
; %bb.91:                               ;   in Loop: Header=BB59_88 Depth=1
	v_lshlrev_b64 v[3:4], 2, v[3:4]
	s_delay_alu instid0(VALU_DEP_1) | instskip(NEXT) | instid1(VALU_DEP_2)
	v_add_co_u32 v5, vcc_lo, s36, v3
	v_add_co_ci_u32_e32 v6, vcc_lo, s37, v4, vcc_lo
	v_add_co_u32 v3, vcc_lo, s38, v3
	v_add_co_ci_u32_e32 v4, vcc_lo, s39, v4, vcc_lo
	global_load_b32 v169, v[5:6], off
	global_load_b32 v168, v[3:4], off
.LBB59_92:                              ;   in Loop: Header=BB59_88 Depth=1
	s_or_b32 exec_lo, exec_lo, s11
.LBB59_93:                              ;   in Loop: Header=BB59_88 Depth=1
	s_delay_alu instid0(SALU_CYCLE_1)
	s_or_b32 exec_lo, exec_lo, s10
	s_mov_b32 s31, s16
	s_mov_b32 s17, s16
	v_add_co_u32 v3, vcc_lo, 0xffffff01, v166
	s_mov_b32 s18, s16
	s_mov_b32 s19, s16
	;; [unrolled: 1-line block ×13, first 2 shown]
	s_delay_alu instid0(SALU_CYCLE_1)
	v_dual_mov_b32 v34, s31 :: v_dual_mov_b32 v33, s30
	v_add_co_ci_u32_e32 v4, vcc_lo, -1, v167, vcc_lo
	v_dual_mov_b32 v20, s17 :: v_dual_mov_b32 v19, s16
	v_dual_mov_b32 v32, s29 :: v_dual_mov_b32 v31, s28
	;; [unrolled: 1-line block ×7, first 2 shown]
	v_cmp_gt_i64_e32 vcc_lo, s[4:5], v[3:4]
	v_dual_mov_b32 v3, v19 :: v_dual_mov_b32 v4, v20
	s_delay_alu instid0(VALU_DEP_3)
	v_dual_mov_b32 v6, v22 :: v_dual_mov_b32 v5, v21
	v_dual_mov_b32 v7, v23 :: v_dual_mov_b32 v8, v24
	;; [unrolled: 1-line block ×7, first 2 shown]
	s_and_saveexec_b32 s10, vcc_lo
	s_cbranch_execz .LBB59_95
; %bb.94:                               ;   in Loop: Header=BB59_88 Depth=1
	v_add_co_u32 v3, vcc_lo, v101, v95
	v_add_co_ci_u32_e32 v4, vcc_lo, v102, v96, vcc_lo
	v_mov_b32_e32 v16, v2
	v_mov_b32_e32 v5, v2
	;; [unrolled: 1-line block ×3, first 2 shown]
	global_load_b32 v1, v[3:4], off
	v_add_co_u32 v3, vcc_lo, v103, v95
	v_add_co_ci_u32_e32 v4, vcc_lo, v104, v96, vcc_lo
	v_mov_b32_e32 v7, v2
	v_mov_b32_e32 v8, v2
	;; [unrolled: 1-line block ×3, first 2 shown]
	global_load_b32 v19, v[3:4], off
	v_mov_b32_e32 v3, v2
	v_mov_b32_e32 v4, v2
	;; [unrolled: 1-line block ×8, first 2 shown]
	s_waitcnt vmcnt(1)
	v_dual_mov_b32 v21, v2 :: v_dual_mov_b32 v18, v16
	s_delay_alu instid0(VALU_DEP_2)
	v_dual_mov_b32 v20, v2 :: v_dual_mov_b32 v17, v15
	v_mov_b32_e32 v29, v2
	v_mov_b32_e32 v31, v2
	;; [unrolled: 1-line block ×4, first 2 shown]
	v_dual_mov_b32 v22, v2 :: v_dual_mov_b32 v15, v13
	v_dual_mov_b32 v23, v2 :: v_dual_mov_b32 v14, v12
	v_dual_mov_b32 v24, v2 :: v_dual_mov_b32 v13, v11
	v_mov_b32_e32 v12, v10
	v_dual_mov_b32 v26, v2 :: v_dual_mov_b32 v11, v9
	v_dual_mov_b32 v25, v2 :: v_dual_mov_b32 v10, v8
	v_dual_mov_b32 v28, v2 :: v_dual_mov_b32 v9, v7
	v_mov_b32_e32 v8, v6
	;; [unrolled: 4-line block ×3, first 2 shown]
	v_dual_mov_b32 v34, v2 :: v_dual_mov_b32 v3, v1
.LBB59_95:                              ;   in Loop: Header=BB59_88 Depth=1
	s_or_b32 exec_lo, exec_lo, s10
	v_add_co_u32 v170, vcc_lo, 0xffffff02, v166
	v_add_co_ci_u32_e32 v171, vcc_lo, -1, v167, vcc_lo
	s_mov_b32 s10, exec_lo
	s_delay_alu instid0(VALU_DEP_1)
	v_cmpx_gt_i64_e64 s[4:5], v[170:171]
	s_cbranch_execz .LBB59_97
; %bb.96:                               ;   in Loop: Header=BB59_88 Depth=1
	v_add_co_u32 v170, vcc_lo, v162, v95
	v_add_co_ci_u32_e32 v171, vcc_lo, v163, v96, vcc_lo
	v_add_co_u32 v172, vcc_lo, v164, v95
	v_add_co_ci_u32_e32 v173, vcc_lo, v165, v96, vcc_lo
	global_load_b32 v4, v[170:171], off
	global_load_b32 v20, v[172:173], off
.LBB59_97:                              ;   in Loop: Header=BB59_88 Depth=1
	s_or_b32 exec_lo, exec_lo, s10
	v_add_co_u32 v170, vcc_lo, 0xffffff03, v166
	v_add_co_ci_u32_e32 v171, vcc_lo, -1, v167, vcc_lo
	s_mov_b32 s10, exec_lo
	s_delay_alu instid0(VALU_DEP_1)
	v_cmpx_gt_i64_e64 s[4:5], v[170:171]
	s_cbranch_execz .LBB59_99
; %bb.98:                               ;   in Loop: Header=BB59_88 Depth=1
	v_add_co_u32 v170, vcc_lo, v157, v95
	v_add_co_ci_u32_e32 v171, vcc_lo, v158, v96, vcc_lo
	v_add_co_u32 v172, vcc_lo, v159, v95
	v_add_co_ci_u32_e32 v173, vcc_lo, v160, v96, vcc_lo
	global_load_b32 v5, v[170:171], off
	global_load_b32 v21, v[172:173], off
.LBB59_99:                              ;   in Loop: Header=BB59_88 Depth=1
	s_or_b32 exec_lo, exec_lo, s10
	v_add_co_u32 v170, vcc_lo, 0xffffff04, v166
	v_add_co_ci_u32_e32 v171, vcc_lo, -1, v167, vcc_lo
	s_mov_b32 s10, exec_lo
	s_delay_alu instid0(VALU_DEP_1)
	v_cmpx_gt_i64_e64 s[4:5], v[170:171]
	s_cbranch_execz .LBB59_101
; %bb.100:                              ;   in Loop: Header=BB59_88 Depth=1
	v_add_co_u32 v170, vcc_lo, v153, v95
	v_add_co_ci_u32_e32 v171, vcc_lo, v154, v96, vcc_lo
	v_add_co_u32 v172, vcc_lo, v155, v95
	v_add_co_ci_u32_e32 v173, vcc_lo, v156, v96, vcc_lo
	global_load_b32 v6, v[170:171], off
	global_load_b32 v22, v[172:173], off
.LBB59_101:                             ;   in Loop: Header=BB59_88 Depth=1
	s_or_b32 exec_lo, exec_lo, s10
	v_add_co_u32 v170, vcc_lo, 0xffffff05, v166
	v_add_co_ci_u32_e32 v171, vcc_lo, -1, v167, vcc_lo
	s_mov_b32 s10, exec_lo
	s_delay_alu instid0(VALU_DEP_1)
	v_cmpx_gt_i64_e64 s[4:5], v[170:171]
	s_cbranch_execz .LBB59_103
; %bb.102:                              ;   in Loop: Header=BB59_88 Depth=1
	v_add_co_u32 v170, vcc_lo, v149, v95
	v_add_co_ci_u32_e32 v171, vcc_lo, v150, v96, vcc_lo
	v_add_co_u32 v172, vcc_lo, v151, v95
	v_add_co_ci_u32_e32 v173, vcc_lo, v152, v96, vcc_lo
	global_load_b32 v7, v[170:171], off
	global_load_b32 v23, v[172:173], off
.LBB59_103:                             ;   in Loop: Header=BB59_88 Depth=1
	;; [unrolled: 15-line block ×13, first 2 shown]
	s_or_b32 exec_lo, exec_lo, s10
	s_waitcnt vmcnt(1)
	ds_bpermute_b32 v1, v2, v169
	ds_bpermute_b32 v170, v2, v169 offset:4
	s_waitcnt vmcnt(0)
	ds_bpermute_b32 v171, v2, v168
	ds_bpermute_b32 v174, v2, v169 offset:8
	ds_bpermute_b32 v173, v2, v168 offset:4
	;; [unrolled: 1-line block ×3, first 2 shown]
	v_add_f32_e32 v172, v97, v3
	ds_bpermute_b32 v175, v2, v168 offset:8
	ds_bpermute_b32 v179, v2, v169 offset:16
	;; [unrolled: 1-line block ×12, first 2 shown]
	s_waitcnt lgkmcnt(16)
	v_dual_sub_f32 v1, v19, v1 :: v_dual_sub_f32 v20, v20, v170
	ds_bpermute_b32 v19, v2, v168 offset:32
	ds_bpermute_b32 v170, v2, v168 offset:40
	v_mul_f32_e32 v1, v3, v1
	s_waitcnt lgkmcnt(16)
	v_dual_sub_f32 v21, v21, v174 :: v_dual_mul_f32 v20, v4, v20
	v_add_f32_e32 v4, v4, v172
	s_waitcnt lgkmcnt(14)
	v_sub_f32_e32 v22, v22, v177
	v_fma_f32 v1, v1, v171, v100
	v_mul_f32_e32 v21, v5, v21
	ds_bpermute_b32 v3, v2, v169 offset:36
	ds_bpermute_b32 v171, v2, v169 offset:40
	s_waitcnt lgkmcnt(14)
	v_dual_add_f32 v4, v5, v4 :: v_dual_sub_f32 v5, v23, v179
	v_dual_fmac_f32 v1, v20, v173 :: v_dual_mul_f32 v22, v6, v22
	ds_bpermute_b32 v20, v2, v168 offset:44
	v_dual_add_f32 v4, v6, v4 :: v_dual_mul_f32 v5, v7, v5
	s_waitcnt lgkmcnt(13)
	v_dual_fmac_f32 v1, v21, v175 :: v_dual_sub_f32 v6, v24, v181
	ds_bpermute_b32 v21, v2, v169 offset:44
	s_waitcnt lgkmcnt(12)
	v_dual_add_f32 v4, v7, v4 :: v_dual_sub_f32 v7, v25, v183
	v_dual_fmac_f32 v1, v22, v176 :: v_dual_mul_f32 v6, v8, v6
	s_waitcnt lgkmcnt(11)
	v_sub_f32_e32 v23, v26, v185
	ds_bpermute_b32 v22, v2, v168 offset:48
	v_dual_add_f32 v4, v8, v4 :: v_dual_fmac_f32 v1, v5, v178
	s_waitcnt lgkmcnt(11)
	v_dual_mul_f32 v7, v9, v7 :: v_dual_sub_f32 v8, v27, v186
	s_delay_alu instid0(VALU_DEP_2)
	v_dual_mul_f32 v23, v10, v23 :: v_dual_add_f32 v4, v9, v4
	s_waitcnt lgkmcnt(10)
	v_fmac_f32_e32 v1, v6, v180
	s_waitcnt lgkmcnt(4)
	v_dual_sub_f32 v3, v28, v3 :: v_dual_mul_f32 v8, v11, v8
	ds_bpermute_b32 v5, v2, v169 offset:48
	v_add_f32_e32 v4, v10, v4
	s_waitcnt lgkmcnt(4)
	v_sub_f32_e32 v10, v29, v171
	v_mul_f32_e32 v3, v12, v3
	ds_bpermute_b32 v9, v2, v169 offset:56
	ds_bpermute_b32 v6, v2, v168 offset:52
	v_add_f32_e32 v4, v11, v4
	v_fmac_f32_e32 v1, v7, v182
	ds_bpermute_b32 v7, v2, v169 offset:52
	v_mul_f32_e32 v10, v13, v10
	v_add_f32_e32 v4, v12, v4
	v_fmac_f32_e32 v1, v23, v184
	s_waitcnt lgkmcnt(5)
	v_sub_f32_e32 v11, v30, v21
	ds_bpermute_b32 v12, v2, v168 offset:56
	v_dual_add_f32 v4, v13, v4 :: v_dual_fmac_f32 v1, v8, v19
	ds_bpermute_b32 v8, v2, v169 offset:60
	v_dual_add_f32 v4, v14, v4 :: v_dual_fmac_f32 v1, v3, v187
	s_delay_alu instid0(VALU_DEP_1)
	v_add_f32_e32 v4, v15, v4
	s_waitcnt lgkmcnt(5)
	v_sub_f32_e32 v3, v31, v5
	v_mul_f32_e32 v5, v14, v11
	v_fmac_f32_e32 v1, v10, v170
	ds_bpermute_b32 v10, v2, v168 offset:60
	s_waitcnt lgkmcnt(3)
	v_sub_f32_e32 v7, v32, v7
	v_dual_add_f32 v4, v16, v4 :: v_dual_mul_f32 v3, v15, v3
	v_fmac_f32_e32 v1, v5, v20
	v_sub_f32_e32 v5, v33, v9
	s_delay_alu instid0(VALU_DEP_4) | instskip(NEXT) | instid1(VALU_DEP_3)
	v_mul_f32_e32 v7, v16, v7
	v_fmac_f32_e32 v1, v3, v22
	s_waitcnt lgkmcnt(1)
	v_sub_f32_e32 v3, v34, v8
	v_mul_f32_e32 v5, v17, v5
	s_delay_alu instid0(VALU_DEP_2) | instskip(SKIP_2) | instid1(VALU_DEP_2)
	v_dual_fmac_f32 v1, v7, v6 :: v_dual_mul_f32 v6, v18, v3
	v_add_f32_e32 v3, v17, v4
	s_waitcnt lgkmcnt(0)
	v_dual_fmac_f32 v1, v5, v12 :: v_dual_mul_f32 v4, v6, v10
	s_branch .LBB59_87
.LBB59_126:                             ;   in Loop: Header=BB59_88 Depth=1
                                        ; implicit-def: $vgpr18
                                        ; implicit-def: $vgpr4
                                        ; implicit-def: $vgpr3
                                        ; implicit-def: $vgpr1
	s_cbranch_execz .LBB59_87
; %bb.127:                              ;   in Loop: Header=BB59_88 Depth=1
	s_load_b32 s10, s[2:3], 0x0
	v_mov_b32_e32 v5, 0
	s_waitcnt lgkmcnt(0)
	s_cmp_lt_u32 s14, s10
	s_cselect_b32 s10, 12, 18
	s_delay_alu instid0(SALU_CYCLE_1)
	s_add_u32 s10, s2, s10
	s_addc_u32 s11, s3, 0
	global_load_u16 v1, v2, s[10:11]
	s_mov_b32 s10, exec_lo
	s_waitcnt vmcnt(0)
	v_mad_u32_u24 v1, v98, v1, v161
	s_delay_alu instid0(VALU_DEP_1) | instskip(SKIP_1) | instid1(VALU_DEP_2)
	v_and_b32_e32 v3, 31, v1
	v_mov_b32_e32 v1, 0
	v_cmpx_gt_u32_e32 16, v3
	s_cbranch_execz .LBB59_86
; %bb.128:                              ;   in Loop: Header=BB59_88 Depth=1
	v_add_co_u32 v1, vcc_lo, v166, v3
	v_add_co_ci_u32_e32 v4, vcc_lo, 0, v167, vcc_lo
	v_mov_b32_e32 v5, 0
	s_delay_alu instid0(VALU_DEP_3) | instskip(NEXT) | instid1(VALU_DEP_3)
	v_add_co_u32 v3, vcc_lo, 0xffffff01, v1
	v_add_co_ci_u32_e32 v4, vcc_lo, -1, v4, vcc_lo
	v_mov_b32_e32 v1, 0
	s_mov_b32 s11, exec_lo
	s_delay_alu instid0(VALU_DEP_2)
	v_cmpx_gt_i64_e64 s[4:5], v[3:4]
	s_cbranch_execz .LBB59_85
; %bb.129:                              ;   in Loop: Header=BB59_88 Depth=1
	v_lshlrev_b64 v[3:4], 2, v[3:4]
	s_delay_alu instid0(VALU_DEP_1) | instskip(NEXT) | instid1(VALU_DEP_2)
	v_add_co_u32 v5, vcc_lo, s36, v3
	v_add_co_ci_u32_e32 v6, vcc_lo, s37, v4, vcc_lo
	v_add_co_u32 v3, vcc_lo, s38, v3
	v_add_co_ci_u32_e32 v4, vcc_lo, s39, v4, vcc_lo
	global_load_b32 v5, v[5:6], off
	global_load_b32 v1, v[3:4], off
	s_branch .LBB59_85
.LBB59_130:
	v_and_b32_e32 v1, 0x3ff, v0
	v_bfe_u32 v0, v0, 10, 10
	s_mov_b32 s15, 0
	s_mov_b32 s2, exec_lo
	s_delay_alu instid0(VALU_DEP_1) | instskip(NEXT) | instid1(VALU_DEP_1)
	v_mad_u32_u24 v2, 0x41, v0, v1
	v_sub_nc_u32_e32 v0, v2, v0
	v_lshl_add_u32 v2, v2, 2, 0
	ds_store_b32 v2, v100
	ds_store_b32 v2, v97 offset:4160
	s_waitcnt lgkmcnt(0)
	s_barrier
	buffer_gl0_inv
	v_cmpx_gt_u32_e32 0x800, v0
	s_cbranch_execz .LBB59_140
; %bb.131:
	v_mbcnt_lo_u32_b32 v2, -1, 0
	v_lshrrev_b32_e32 v4, 5, v0
	s_load_b128 s[8:11], s[0:1], 0x30
	v_cmp_eq_u32_e64 s0, 0, v1
	s_lshl_b64 s[4:5], s[14:15], 6
	v_xor_b32_e32 v0, 8, v2
	v_xor_b32_e32 v5, 2, v2
	;; [unrolled: 1-line block ×3, first 2 shown]
                                        ; implicit-def: $vgpr12
	v_mov_b32_e32 v9, 0
	s_delay_alu instid0(VALU_DEP_4) | instskip(SKIP_3) | instid1(VALU_DEP_3)
	v_cmp_gt_i32_e32 vcc_lo, 32, v0
	v_and_b32_e32 v3, 31, v1
	v_xor_b32_e32 v1, 4, v2
	v_cndmask_b32_e32 v0, v2, v0, vcc_lo
	v_mad_u32_u24 v11, 0x41, v3, v4
	s_delay_alu instid0(VALU_DEP_3)
	v_cmp_gt_i32_e32 vcc_lo, 32, v1
	v_cmp_gt_u32_e64 s1, 16, v3
	v_cndmask_b32_e32 v1, v2, v1, vcc_lo
	v_cmp_gt_i32_e32 vcc_lo, 32, v5
	s_waitcnt lgkmcnt(0)
	s_cmp_lg_u64 s[8:9], 0
	s_cselect_b32 s3, -1, 0
	s_cmp_lg_u64 s[10:11], 0
	v_cndmask_b32_e32 v7, v2, v5, vcc_lo
	v_cmp_gt_i32_e32 vcc_lo, 32, v6
	v_lshlrev_b32_e32 v5, 2, v0
	v_lshlrev_b32_e32 v0, 2, v4
	s_cselect_b32 s12, -1, 0
	s_lshl_b64 s[16:17], s[14:15], 8
	v_cndmask_b32_e32 v2, v2, v6, vcc_lo
	v_lshlrev_b32_e32 v6, 2, v1
	s_delay_alu instid0(VALU_DEP_2) | instskip(SKIP_1) | instid1(VALU_DEP_1)
	v_lshlrev_b32_e32 v8, 2, v2
	v_add_co_u32 v2, s2, s16, v0
	v_add_co_ci_u32_e64 v10, null, s17, 0, s2
	v_lshlrev_b32_e32 v7, 2, v7
	s_delay_alu instid0(VALU_DEP_3) | instskip(NEXT) | instid1(VALU_DEP_3)
	v_add_co_u32 v0, vcc_lo, s10, v2
	v_add_co_ci_u32_e32 v1, vcc_lo, s11, v10, vcc_lo
	v_add_co_u32 v2, vcc_lo, s8, v2
	v_add_co_ci_u32_e32 v3, vcc_lo, s9, v10, vcc_lo
	v_lshl_add_u32 v10, v11, 2, 0
                                        ; implicit-def: $vgpr11
	s_branch .LBB59_133
.LBB59_132:                             ;   in Loop: Header=BB59_133 Depth=1
	s_or_b32 exec_lo, exec_lo, s2
	v_add_co_u32 v4, vcc_lo, v4, 32
	v_add_co_ci_u32_e32 v9, vcc_lo, 0, v9, vcc_lo
	v_add_co_u32 v0, vcc_lo, 0x80, v0
	s_delay_alu instid0(VALU_DEP_3) | instskip(SKIP_2) | instid1(VALU_DEP_3)
	v_subrev_nc_u32_e32 v13, 32, v4
	v_add_co_ci_u32_e32 v1, vcc_lo, 0, v1, vcc_lo
	v_add_co_u32 v2, s2, 0x80, v2
	v_cmp_lt_u32_e32 vcc_lo, 31, v13
	v_add_co_ci_u32_e64 v3, s2, 0, v3, s2
	v_add_nc_u32_e32 v10, 0x80, v10
	s_or_b32 s15, vcc_lo, s15
	s_delay_alu instid0(SALU_CYCLE_1)
	s_and_not1_b32 exec_lo, exec_lo, s15
	s_cbranch_execz .LBB59_140
.LBB59_133:                             ; =>This Inner Loop Header: Depth=1
	s_and_saveexec_b32 s2, s1
	s_cbranch_execz .LBB59_135
; %bb.134:                              ;   in Loop: Header=BB59_133 Depth=1
	ds_load_b32 v11, v10
	ds_load_b32 v12, v10 offset:4160
.LBB59_135:                             ;   in Loop: Header=BB59_133 Depth=1
	s_or_b32 exec_lo, exec_lo, s2
	s_waitcnt lgkmcnt(1)
	ds_bpermute_b32 v13, v5, v11
	s_waitcnt lgkmcnt(1)
	ds_bpermute_b32 v14, v5, v12
	s_waitcnt lgkmcnt(0)
	v_dual_add_f32 v11, v11, v13 :: v_dual_add_f32 v12, v12, v14
	ds_bpermute_b32 v13, v6, v11
	ds_bpermute_b32 v14, v6, v12
	s_waitcnt lgkmcnt(0)
	v_dual_add_f32 v11, v11, v13 :: v_dual_add_f32 v12, v12, v14
	ds_bpermute_b32 v13, v7, v11
	ds_bpermute_b32 v14, v7, v12
	s_waitcnt lgkmcnt(0)
	v_dual_add_f32 v13, v11, v13 :: v_dual_add_f32 v14, v12, v14
	v_add_co_u32 v11, vcc_lo, s4, v4
	v_add_co_ci_u32_e32 v12, vcc_lo, s5, v9, vcc_lo
	ds_bpermute_b32 v15, v8, v13
	ds_bpermute_b32 v16, v8, v14
	v_cmp_gt_i64_e32 vcc_lo, s[6:7], v[11:12]
	s_and_b32 s8, s0, vcc_lo
	s_waitcnt lgkmcnt(0)
	v_dual_add_f32 v11, v13, v15 :: v_dual_add_f32 v12, v14, v16
	s_and_saveexec_b32 s2, s8
	s_cbranch_execz .LBB59_132
; %bb.136:                              ;   in Loop: Header=BB59_133 Depth=1
	s_and_not1_b32 vcc_lo, exec_lo, s3
	s_cbranch_vccnz .LBB59_138
; %bb.137:                              ;   in Loop: Header=BB59_133 Depth=1
	global_store_b32 v[2:3], v11, off
.LBB59_138:                             ;   in Loop: Header=BB59_133 Depth=1
	s_and_not1_b32 vcc_lo, exec_lo, s12
	s_cbranch_vccnz .LBB59_132
; %bb.139:                              ;   in Loop: Header=BB59_133 Depth=1
	global_store_b32 v[0:1], v12, off
	s_branch .LBB59_132
.LBB59_140:
	s_nop 0
	s_sendmsg sendmsg(MSG_DEALLOC_VGPRS)
	s_endpgm
	.section	.rodata,"a",@progbits
	.p2align	6, 0x0
	.amdhsa_kernel _ZN2at6native12_GLOBAL__N_135GammaBetaBackwardCUDAKernelTemplateIffLj64ELj16ELj256ELb0ELb0ELb0EEEvllPKT_S5_PKT0_S8_PS3_S9_
		.amdhsa_group_segment_fixed_size 0
		.amdhsa_private_segment_fixed_size 0
		.amdhsa_kernarg_size 320
		.amdhsa_user_sgpr_count 14
		.amdhsa_user_sgpr_dispatch_ptr 0
		.amdhsa_user_sgpr_queue_ptr 0
		.amdhsa_user_sgpr_kernarg_segment_ptr 1
		.amdhsa_user_sgpr_dispatch_id 0
		.amdhsa_user_sgpr_private_segment_size 0
		.amdhsa_wavefront_size32 1
		.amdhsa_uses_dynamic_stack 0
		.amdhsa_enable_private_segment 0
		.amdhsa_system_sgpr_workgroup_id_x 1
		.amdhsa_system_sgpr_workgroup_id_y 1
		.amdhsa_system_sgpr_workgroup_id_z 0
		.amdhsa_system_sgpr_workgroup_info 0
		.amdhsa_system_vgpr_workitem_id 1
		.amdhsa_next_free_vgpr 188
		.amdhsa_next_free_sgpr 48
		.amdhsa_reserve_vcc 1
		.amdhsa_float_round_mode_32 0
		.amdhsa_float_round_mode_16_64 0
		.amdhsa_float_denorm_mode_32 3
		.amdhsa_float_denorm_mode_16_64 3
		.amdhsa_dx10_clamp 1
		.amdhsa_ieee_mode 1
		.amdhsa_fp16_overflow 0
		.amdhsa_workgroup_processor_mode 1
		.amdhsa_memory_ordered 1
		.amdhsa_forward_progress 0
		.amdhsa_shared_vgpr_count 0
		.amdhsa_exception_fp_ieee_invalid_op 0
		.amdhsa_exception_fp_denorm_src 0
		.amdhsa_exception_fp_ieee_div_zero 0
		.amdhsa_exception_fp_ieee_overflow 0
		.amdhsa_exception_fp_ieee_underflow 0
		.amdhsa_exception_fp_ieee_inexact 0
		.amdhsa_exception_int_div_zero 0
	.end_amdhsa_kernel
	.section	.text._ZN2at6native12_GLOBAL__N_135GammaBetaBackwardCUDAKernelTemplateIffLj64ELj16ELj256ELb0ELb0ELb0EEEvllPKT_S5_PKT0_S8_PS3_S9_,"axG",@progbits,_ZN2at6native12_GLOBAL__N_135GammaBetaBackwardCUDAKernelTemplateIffLj64ELj16ELj256ELb0ELb0ELb0EEEvllPKT_S5_PKT0_S8_PS3_S9_,comdat
.Lfunc_end59:
	.size	_ZN2at6native12_GLOBAL__N_135GammaBetaBackwardCUDAKernelTemplateIffLj64ELj16ELj256ELb0ELb0ELb0EEEvllPKT_S5_PKT0_S8_PS3_S9_, .Lfunc_end59-_ZN2at6native12_GLOBAL__N_135GammaBetaBackwardCUDAKernelTemplateIffLj64ELj16ELj256ELb0ELb0ELb0EEEvllPKT_S5_PKT0_S8_PS3_S9_
                                        ; -- End function
	.section	.AMDGPU.csdata,"",@progbits
; Kernel info:
; codeLenInByte = 14292
; NumSgprs: 50
; NumVgprs: 188
; ScratchSize: 0
; MemoryBound: 0
; FloatMode: 240
; IeeeMode: 1
; LDSByteSize: 0 bytes/workgroup (compile time only)
; SGPRBlocks: 6
; VGPRBlocks: 23
; NumSGPRsForWavesPerEU: 50
; NumVGPRsForWavesPerEU: 188
; Occupancy: 8
; WaveLimiterHint : 0
; COMPUTE_PGM_RSRC2:SCRATCH_EN: 0
; COMPUTE_PGM_RSRC2:USER_SGPR: 14
; COMPUTE_PGM_RSRC2:TRAP_HANDLER: 0
; COMPUTE_PGM_RSRC2:TGID_X_EN: 1
; COMPUTE_PGM_RSRC2:TGID_Y_EN: 1
; COMPUTE_PGM_RSRC2:TGID_Z_EN: 0
; COMPUTE_PGM_RSRC2:TIDIG_COMP_CNT: 1
	.section	.text._ZN2at6native12_GLOBAL__N_135GammaBetaBackwardCUDAKernelTemplateIffLj32ELj1ELj32ELb1ELb1ELb0EEEvllPKT_S5_PKT0_S8_PS3_S9_,"axG",@progbits,_ZN2at6native12_GLOBAL__N_135GammaBetaBackwardCUDAKernelTemplateIffLj32ELj1ELj32ELb1ELb1ELb0EEEvllPKT_S5_PKT0_S8_PS3_S9_,comdat
	.globl	_ZN2at6native12_GLOBAL__N_135GammaBetaBackwardCUDAKernelTemplateIffLj32ELj1ELj32ELb1ELb1ELb0EEEvllPKT_S5_PKT0_S8_PS3_S9_ ; -- Begin function _ZN2at6native12_GLOBAL__N_135GammaBetaBackwardCUDAKernelTemplateIffLj32ELj1ELj32ELb1ELb1ELb0EEEvllPKT_S5_PKT0_S8_PS3_S9_
	.p2align	8
	.type	_ZN2at6native12_GLOBAL__N_135GammaBetaBackwardCUDAKernelTemplateIffLj32ELj1ELj32ELb1ELb1ELb0EEEvllPKT_S5_PKT0_S8_PS3_S9_,@function
_ZN2at6native12_GLOBAL__N_135GammaBetaBackwardCUDAKernelTemplateIffLj32ELj1ELj32ELb1ELb1ELb0EEEvllPKT_S5_PKT0_S8_PS3_S9_: ; @_ZN2at6native12_GLOBAL__N_135GammaBetaBackwardCUDAKernelTemplateIffLj32ELj1ELj32ELb1ELb1ELb0EEEvllPKT_S5_PKT0_S8_PS3_S9_
; %bb.0:
	s_load_b128 s[16:19], s[0:1], 0x0
	s_mov_b32 s13, 0
	s_lshl_b32 s12, s15, 5
	v_bfe_u32 v6, v0, 10, 10
	s_mov_b32 s2, s15
	s_waitcnt lgkmcnt(0)
	v_cmp_lt_i64_e64 s3, s[12:13], s[16:17]
	s_delay_alu instid0(VALU_DEP_1)
	s_and_b32 vcc_lo, exec_lo, s3
	s_cbranch_vccnz .LBB60_2
; %bb.1:
	v_bfe_u32 v1, v0, 10, 10
	s_add_u32 s24, s0, 64
	s_addc_u32 s25, s1, 0
	s_mov_b32 s4, 0
	s_mov_b32 s3, s13
	s_branch .LBB60_3
.LBB60_2:
	s_mov_b32 s3, -1
                                        ; implicit-def: $sgpr4
                                        ; implicit-def: $sgpr24_sgpr25
                                        ; implicit-def: $vgpr1
.LBB60_3:
	s_load_b128 s[20:23], s[0:1], 0x30
	v_dual_mov_b32 v43, s4 :: v_dual_mov_b32 v26, s4
	v_and_b32_e32 v7, 0x3ff, v0
	s_and_not1_b32 vcc_lo, exec_lo, s3
	s_cbranch_vccnz .LBB60_9
; %bb.4:
	s_clause 0x2
	s_load_b32 s3, s[0:1], 0x4c
	s_load_b32 s15, s[0:1], 0x44
	s_load_b256 s[4:11], s[0:1], 0x10
	v_dual_mov_b32 v1, 0 :: v_dual_lshlrev_b32 v2, 5, v6
	s_add_u32 s24, s0, 64
	s_addc_u32 s25, s1, 0
	v_lshl_add_u32 v0, s14, 5, v7
	v_dual_mov_b32 v8, 4 :: v_dual_mov_b32 v9, 8
	v_dual_mov_b32 v10, 12 :: v_dual_mov_b32 v11, 16
	s_delay_alu instid0(VALU_DEP_3)
	v_lshlrev_b64 v[40:41], 2, v[0:1]
	v_dual_mov_b32 v12, 20 :: v_dual_mov_b32 v13, 24
	v_dual_mov_b32 v14, 28 :: v_dual_mov_b32 v15, 32
	;; [unrolled: 1-line block ×4, first 2 shown]
	s_waitcnt lgkmcnt(0)
	s_and_b32 s0, s3, 0xffff
	s_lshl_b32 s26, s15, 5
	v_mad_u32_u24 v3, v6, s0, v7
	v_add_co_u32 v42, s0, v2, s12
	s_delay_alu instid0(VALU_DEP_1) | instskip(NEXT) | instid1(VALU_DEP_3)
	v_add_co_ci_u32_e64 v43, null, 0, 0, s0
	v_dual_mov_b32 v25, 0x48 :: v_dual_and_b32 v26, 31, v3
	s_delay_alu instid0(VALU_DEP_3) | instskip(NEXT) | instid1(VALU_DEP_3)
	v_mul_lo_u32 v4, s19, v42
	v_mul_lo_u32 v5, s18, v43
	v_mad_u64_u32 v[2:3], null, s18, v42, 0
	s_mul_i32 s0, s19, s26
	s_mul_hi_u32 s1, s18, s26
	v_dual_mov_b32 v20, 52 :: v_dual_mov_b32 v21, 56
	v_dual_mov_b32 v22, 60 :: v_dual_mov_b32 v23, 64
	s_delay_alu instid0(VALU_DEP_3)
	v_add3_u32 v3, v3, v5, v4
	v_mov_b32_e32 v24, 0x44
	v_mov_b32_e32 v27, 0x4c
	;; [unrolled: 1-line block ×4, first 2 shown]
	v_lshlrev_b64 v[4:5], 2, v[2:3]
	v_add_co_u32 v2, vcc_lo, v42, v26
	v_mov_b32_e32 v26, 0
	v_add_co_ci_u32_e32 v3, vcc_lo, 0, v43, vcc_lo
	s_delay_alu instid0(VALU_DEP_4) | instskip(SKIP_1) | instid1(VALU_DEP_3)
	v_add_co_u32 v0, vcc_lo, v4, v40
	v_add_co_ci_u32_e32 v40, vcc_lo, v5, v41, vcc_lo
	v_lshlrev_b64 v[4:5], 2, v[2:3]
	v_mov_b32_e32 v30, 0x58
	v_mov_b32_e32 v31, 0x5c
	;; [unrolled: 1-line block ×11, first 2 shown]
	s_mov_b32 s27, 0
	s_add_i32 s1, s1, s0
	s_mul_i32 s0, s18, s26
	s_lshl_b64 s[28:29], s[26:27], 2
	s_lshl_b64 s[0:1], s[0:1], 2
	;; [unrolled: 1-line block ×3, first 2 shown]
	s_branch .LBB60_6
.LBB60_5:                               ;   in Loop: Header=BB60_6 Depth=1
	s_or_b32 exec_lo, exec_lo, s3
	v_add_co_u32 v44, vcc_lo, s6, v0
	v_add_co_ci_u32_e32 v45, vcc_lo, s7, v40, vcc_lo
	v_add_co_u32 v47, vcc_lo, s4, v0
	v_add_co_ci_u32_e32 v48, vcc_lo, s5, v40, vcc_lo
	global_load_b32 v46, v[44:45], off
	v_add_co_u32 v44, vcc_lo, v44, s30
	v_add_co_ci_u32_e32 v45, vcc_lo, s31, v45, vcc_lo
	v_add_co_u32 v50, vcc_lo, v47, s30
	v_add_co_ci_u32_e32 v51, vcc_lo, s31, v48, vcc_lo
	s_delay_alu instid0(VALU_DEP_4) | instskip(NEXT) | instid1(VALU_DEP_4)
	v_add_co_u32 v52, vcc_lo, v44, s30
	v_add_co_ci_u32_e32 v53, vcc_lo, s31, v45, vcc_lo
	s_delay_alu instid0(VALU_DEP_4) | instskip(NEXT) | instid1(VALU_DEP_4)
	v_add_co_u32 v54, vcc_lo, v50, s30
	v_add_co_ci_u32_e32 v55, vcc_lo, s31, v51, vcc_lo
	global_load_b32 v47, v[47:48], off
	global_load_b32 v49, v[44:45], off
	;; [unrolled: 1-line block ×5, first 2 shown]
	v_add_co_u32 v50, vcc_lo, v52, s30
	v_add_co_ci_u32_e32 v51, vcc_lo, s31, v53, vcc_lo
	v_add_co_u32 v52, vcc_lo, v54, s30
	v_add_co_ci_u32_e32 v53, vcc_lo, s31, v55, vcc_lo
	global_load_b32 v54, v[50:51], off
	v_add_co_u32 v55, vcc_lo, v52, s30
	v_add_co_ci_u32_e32 v56, vcc_lo, s31, v53, vcc_lo
	v_add_co_u32 v57, vcc_lo, v50, s30
	v_add_co_ci_u32_e32 v58, vcc_lo, s31, v51, vcc_lo
	s_delay_alu instid0(VALU_DEP_4) | instskip(NEXT) | instid1(VALU_DEP_4)
	v_add_co_u32 v59, vcc_lo, v55, s30
	v_add_co_ci_u32_e32 v60, vcc_lo, s31, v56, vcc_lo
	s_delay_alu instid0(VALU_DEP_4) | instskip(NEXT) | instid1(VALU_DEP_4)
	v_add_co_u32 v61, vcc_lo, v57, s30
	v_add_co_ci_u32_e32 v62, vcc_lo, s31, v58, vcc_lo
	s_clause 0x1
	global_load_b32 v51, v[52:53], off
	global_load_b32 v50, v[55:56], off
	global_load_b32 v55, v[57:58], off
	global_load_b32 v52, v[59:60], off
	global_load_b32 v56, v[61:62], off
	v_add_co_u32 v57, vcc_lo, v59, s30
	v_add_co_ci_u32_e32 v58, vcc_lo, s31, v60, vcc_lo
	v_add_co_u32 v59, vcc_lo, v61, s30
	v_add_co_ci_u32_e32 v60, vcc_lo, s31, v62, vcc_lo
	global_load_b32 v53, v[57:58], off
	v_add_co_u32 v57, vcc_lo, v57, s30
	v_add_co_ci_u32_e32 v58, vcc_lo, s31, v58, vcc_lo
	v_add_co_u32 v62, vcc_lo, v59, s30
	v_add_co_ci_u32_e32 v63, vcc_lo, s31, v60, vcc_lo
	s_delay_alu instid0(VALU_DEP_4) | instskip(NEXT) | instid1(VALU_DEP_4)
	v_add_co_u32 v64, vcc_lo, v57, s30
	v_add_co_ci_u32_e32 v65, vcc_lo, s31, v58, vcc_lo
	s_delay_alu instid0(VALU_DEP_4) | instskip(NEXT) | instid1(VALU_DEP_4)
	v_add_co_u32 v66, vcc_lo, v62, s30
	v_add_co_ci_u32_e32 v67, vcc_lo, s31, v63, vcc_lo
	global_load_b32 v61, v[59:60], off
	global_load_b32 v57, v[57:58], off
	global_load_b32 v60, v[62:63], off
	global_load_b32 v58, v[64:65], off
	global_load_b32 v62, v[66:67], off
	v_add_co_u32 v63, vcc_lo, v64, s30
	v_add_co_ci_u32_e32 v64, vcc_lo, s31, v65, vcc_lo
	v_add_co_u32 v65, vcc_lo, v66, s30
	v_add_co_ci_u32_e32 v66, vcc_lo, s31, v67, vcc_lo
	global_load_b32 v59, v[63:64], off
	v_add_co_u32 v63, vcc_lo, v63, s30
	v_add_co_ci_u32_e32 v64, vcc_lo, s31, v64, vcc_lo
	v_add_co_u32 v67, vcc_lo, v65, s30
	v_add_co_ci_u32_e32 v68, vcc_lo, s31, v66, vcc_lo
	s_delay_alu instid0(VALU_DEP_4) | instskip(NEXT) | instid1(VALU_DEP_4)
	v_add_co_u32 v72, vcc_lo, v63, s30
	v_add_co_ci_u32_e32 v73, vcc_lo, s31, v64, vcc_lo
	s_delay_alu instid0(VALU_DEP_4) | instskip(NEXT) | instid1(VALU_DEP_4)
	v_add_co_u32 v74, vcc_lo, v67, s30
	v_add_co_ci_u32_e32 v75, vcc_lo, s31, v68, vcc_lo
	global_load_b32 v70, v[65:66], off
	global_load_b32 v63, v[63:64], off
	global_load_b32 v68, v[67:68], off
	global_load_b32 v64, v[72:73], off
	global_load_b32 v71, v[74:75], off
	v_add_co_u32 v66, vcc_lo, v72, s30
	v_add_co_ci_u32_e32 v67, vcc_lo, s31, v73, vcc_lo
	v_add_co_u32 v72, vcc_lo, v74, s30
	v_add_co_ci_u32_e32 v73, vcc_lo, s31, v75, vcc_lo
	global_load_b32 v65, v[66:67], off
	v_add_co_u32 v66, vcc_lo, v66, s30
	v_add_co_ci_u32_e32 v67, vcc_lo, s31, v67, vcc_lo
	v_add_co_u32 v74, vcc_lo, v72, s30
	v_add_co_ci_u32_e32 v75, vcc_lo, s31, v73, vcc_lo
	s_delay_alu instid0(VALU_DEP_4) | instskip(NEXT) | instid1(VALU_DEP_4)
	v_add_co_u32 v78, vcc_lo, v66, s30
	v_add_co_ci_u32_e32 v79, vcc_lo, s31, v67, vcc_lo
	s_delay_alu instid0(VALU_DEP_4) | instskip(NEXT) | instid1(VALU_DEP_4)
	v_add_co_u32 v80, vcc_lo, v74, s30
	v_add_co_ci_u32_e32 v81, vcc_lo, s31, v75, vcc_lo
	global_load_b32 v77, v[72:73], off
	global_load_b32 v66, v[66:67], off
	global_load_b32 v75, v[74:75], off
	global_load_b32 v67, v[78:79], off
	global_load_b32 v76, v[80:81], off
	v_add_co_u32 v72, vcc_lo, v78, s30
	v_add_co_ci_u32_e32 v73, vcc_lo, s31, v79, vcc_lo
	v_add_co_u32 v78, vcc_lo, v80, s30
	v_add_co_ci_u32_e32 v79, vcc_lo, s31, v81, vcc_lo
	global_load_b32 v69, v[72:73], off
	v_add_co_u32 v72, vcc_lo, v72, s30
	v_add_co_ci_u32_e32 v73, vcc_lo, s31, v73, vcc_lo
	v_add_co_u32 v81, vcc_lo, v78, s30
	v_add_co_ci_u32_e32 v82, vcc_lo, s31, v79, vcc_lo
	s_delay_alu instid0(VALU_DEP_4) | instskip(NEXT) | instid1(VALU_DEP_4)
	v_add_co_u32 v83, vcc_lo, v72, s30
	v_add_co_ci_u32_e32 v84, vcc_lo, s31, v73, vcc_lo
	s_delay_alu instid0(VALU_DEP_4) | instskip(NEXT) | instid1(VALU_DEP_4)
	v_add_co_u32 v85, vcc_lo, v81, s30
	v_add_co_ci_u32_e32 v86, vcc_lo, s31, v82, vcc_lo
	global_load_b32 v80, v[78:79], off
	global_load_b32 v73, v[72:73], off
	;; [unrolled: 1-line block ×3, first 2 shown]
	v_add_co_u32 v81, vcc_lo, v83, s30
	v_add_co_ci_u32_e32 v82, vcc_lo, s31, v84, vcc_lo
	global_load_b32 v74, v[83:84], off
	global_load_b32 v79, v[85:86], off
	v_add_co_u32 v83, vcc_lo, v85, s30
	v_add_co_ci_u32_e32 v84, vcc_lo, s31, v86, vcc_lo
	v_add_co_u32 v85, vcc_lo, v81, s30
	v_add_co_ci_u32_e32 v86, vcc_lo, s31, v82, vcc_lo
	global_load_b32 v72, v[81:82], off
	v_add_co_u32 v81, vcc_lo, v83, s30
	v_add_co_ci_u32_e32 v82, vcc_lo, s31, v84, vcc_lo
	global_load_b32 v87, v[83:84], off
	v_add_co_u32 v83, vcc_lo, v85, s30
	v_add_co_ci_u32_e32 v84, vcc_lo, s31, v86, vcc_lo
	global_load_b32 v88, v[85:86], off
	v_add_co_u32 v85, vcc_lo, v81, s30
	v_add_co_ci_u32_e32 v86, vcc_lo, s31, v82, vcc_lo
	global_load_b32 v89, v[81:82], off
	v_add_co_u32 v81, vcc_lo, v83, s30
	v_add_co_ci_u32_e32 v82, vcc_lo, s31, v84, vcc_lo
	global_load_b32 v90, v[83:84], off
	v_add_co_u32 v83, vcc_lo, v85, s30
	v_add_co_ci_u32_e32 v84, vcc_lo, s31, v86, vcc_lo
	global_load_b32 v91, v[85:86], off
	v_add_co_u32 v85, vcc_lo, v81, s30
	v_add_co_ci_u32_e32 v86, vcc_lo, s31, v82, vcc_lo
	global_load_b32 v92, v[81:82], off
	v_add_co_u32 v81, vcc_lo, v83, s30
	global_load_b32 v94, v[85:86], off
	v_add_co_ci_u32_e32 v82, vcc_lo, s31, v84, vcc_lo
	global_load_b32 v93, v[83:84], off
	v_add_co_u32 v83, vcc_lo, v85, s30
	v_add_co_ci_u32_e32 v84, vcc_lo, s31, v86, vcc_lo
	v_add_co_u32 v85, vcc_lo, v81, s30
	v_add_co_ci_u32_e32 v86, vcc_lo, s31, v82, vcc_lo
	global_load_b32 v96, v[83:84], off
	global_load_b32 v95, v[81:82], off
	v_add_co_u32 v81, vcc_lo, v83, s30
	v_add_co_ci_u32_e32 v82, vcc_lo, s31, v84, vcc_lo
	v_add_co_u32 v83, vcc_lo, v85, s30
	v_add_co_ci_u32_e32 v84, vcc_lo, s31, v86, vcc_lo
	global_load_b32 v97, v[85:86], off
	v_add_co_u32 v85, vcc_lo, v81, s30
	v_add_co_ci_u32_e32 v86, vcc_lo, s31, v82, vcc_lo
	global_load_b32 v98, v[81:82], off
	v_add_co_u32 v81, vcc_lo, v83, s30
	global_load_b32 v100, v[85:86], off
	v_add_co_ci_u32_e32 v82, vcc_lo, s31, v84, vcc_lo
	global_load_b32 v99, v[83:84], off
	v_add_co_u32 v83, vcc_lo, v85, s30
	v_add_co_ci_u32_e32 v84, vcc_lo, s31, v86, vcc_lo
	v_add_co_u32 v85, vcc_lo, v81, s30
	v_add_co_ci_u32_e32 v86, vcc_lo, s31, v82, vcc_lo
	global_load_b32 v101, v[81:82], off
	v_add_co_u32 v81, vcc_lo, v83, s30
	v_add_co_ci_u32_e32 v82, vcc_lo, s31, v84, vcc_lo
	global_load_b32 v102, v[83:84], off
	;; [unrolled: 3-line block ×11, first 2 shown]
	global_load_b32 v83, v[83:84], off
	global_load_b32 v81, v[81:82], off
	s_waitcnt vmcnt(62)
	ds_bpermute_b32 v82, v1, v42
	ds_bpermute_b32 v84, v8, v42
	;; [unrolled: 1-line block ×8, first 2 shown]
	v_add_co_u32 v0, vcc_lo, v0, s0
	s_add_u32 s12, s12, s26
	v_add_co_ci_u32_e32 v40, vcc_lo, s1, v40, vcc_lo
	s_addc_u32 s13, s13, 0
	v_add_co_u32 v4, vcc_lo, v4, s28
	v_cmp_lt_i64_e64 s3, s[12:13], s[16:17]
	v_add_co_ci_u32_e32 v5, vcc_lo, s29, v5, vcc_lo
	v_add_co_u32 v2, vcc_lo, v2, s26
	v_add_co_ci_u32_e32 v3, vcc_lo, 0, v3, vcc_lo
	s_delay_alu instid0(VALU_DEP_4)
	s_and_b32 vcc_lo, exec_lo, s3
	s_waitcnt lgkmcnt(7)
	v_sub_f32_e32 v46, v46, v82
	ds_bpermute_b32 v82, v9, v41
	v_add_f32_e32 v43, v43, v47
	s_waitcnt vmcnt(61) lgkmcnt(7)
	v_dual_sub_f32 v49, v49, v84 :: v_dual_mul_f32 v46, v47, v46
	ds_bpermute_b32 v84, v10, v41
	s_waitcnt vmcnt(60) lgkmcnt(7)
	v_dual_add_f32 v43, v43, v45 :: v_dual_fmac_f32 v26, v46, v86
	ds_bpermute_b32 v86, v13, v42
	s_waitcnt vmcnt(59) lgkmcnt(7)
	v_sub_f32_e32 v48, v48, v111
	s_waitcnt vmcnt(58)
	v_dual_mul_f32 v46, v45, v49 :: v_dual_add_f32 v43, v43, v44
	ds_bpermute_b32 v49, v11, v41
	ds_bpermute_b32 v111, v14, v42
	s_waitcnt vmcnt(56) lgkmcnt(8)
	v_dual_fmac_f32 v26, v46, v112 :: v_dual_add_f32 v43, v43, v51
	s_waitcnt vmcnt(55)
	s_delay_alu instid0(VALU_DEP_1) | instskip(SKIP_1) | instid1(VALU_DEP_1)
	v_add_f32_e32 v43, v43, v50
	s_waitcnt vmcnt(53)
	v_add_f32_e32 v43, v43, v52
	s_waitcnt vmcnt(51)
	s_delay_alu instid0(VALU_DEP_1)
	v_add_f32_e32 v43, v43, v53
	s_waitcnt vmcnt(50) lgkmcnt(2)
	v_dual_sub_f32 v47, v61, v86 :: v_dual_mul_f32 v46, v44, v48
	v_sub_f32_e32 v48, v54, v113
	ds_bpermute_b32 v54, v12, v41
	s_waitcnt vmcnt(49)
	v_add_f32_e32 v43, v43, v57
	v_mul_f32_e32 v45, v53, v47
	ds_bpermute_b32 v47, v17, v42
	v_fmac_f32_e32 v26, v46, v82
	v_mul_f32_e32 v46, v51, v48
	ds_bpermute_b32 v82, v15, v42
	s_waitcnt vmcnt(47)
	v_add_f32_e32 v43, v43, v58
	s_waitcnt vmcnt(45)
	s_delay_alu instid0(VALU_DEP_1) | instskip(SKIP_1) | instid1(VALU_DEP_1)
	v_add_f32_e32 v43, v43, v59
	s_waitcnt vmcnt(43)
	v_add_f32_e32 v43, v43, v63
	s_waitcnt vmcnt(42) lgkmcnt(1)
	v_dual_sub_f32 v47, v68, v47 :: v_dual_fmac_f32 v26, v46, v84
	ds_bpermute_b32 v84, v16, v42
	v_sub_f32_e32 v48, v55, v114
	ds_bpermute_b32 v55, v13, v41
	s_waitcnt vmcnt(41)
	v_add_f32_e32 v43, v43, v64
	s_waitcnt vmcnt(39)
	s_delay_alu instid0(VALU_DEP_1)
	v_add_f32_e32 v43, v43, v65
	s_waitcnt lgkmcnt(1)
	v_sub_f32_e32 v51, v70, v84
	v_mul_f32_e32 v46, v50, v48
	ds_bpermute_b32 v50, v19, v42
	s_waitcnt vmcnt(37)
	v_dual_add_f32 v43, v43, v66 :: v_dual_fmac_f32 v26, v46, v49
	ds_bpermute_b32 v49, v18, v42
	v_sub_f32_e32 v48, v56, v115
	ds_bpermute_b32 v56, v14, v41
	s_waitcnt vmcnt(35)
	v_dual_add_f32 v43, v43, v67 :: v_dual_mul_f32 v46, v52, v48
	ds_bpermute_b32 v48, v15, v41
	ds_bpermute_b32 v52, v37, v41
	s_waitcnt vmcnt(33)
	v_dual_add_f32 v43, v43, v69 :: v_dual_fmac_f32 v26, v46, v54
	v_sub_f32_e32 v46, v60, v111
	s_waitcnt lgkmcnt(5)
	s_delay_alu instid0(VALU_DEP_2) | instskip(NEXT) | instid1(VALU_DEP_2)
	v_fmac_f32_e32 v26, v45, v55
	v_mul_f32_e32 v44, v57, v46
	ds_bpermute_b32 v45, v16, v41
	v_sub_f32_e32 v46, v62, v82
	s_waitcnt lgkmcnt(3)
	v_fmac_f32_e32 v26, v44, v56
	s_delay_alu instid0(VALU_DEP_2)
	v_mul_f32_e32 v44, v58, v46
	ds_bpermute_b32 v46, v17, v41
	s_waitcnt vmcnt(31) lgkmcnt(3)
	v_dual_add_f32 v43, v43, v73 :: v_dual_fmac_f32 v26, v44, v48
	v_mul_f32_e32 v44, v59, v51
	ds_bpermute_b32 v48, v18, v41
	ds_bpermute_b32 v51, v20, v42
	s_waitcnt vmcnt(29) lgkmcnt(3)
	v_dual_add_f32 v43, v43, v74 :: v_dual_fmac_f32 v26, v44, v45
	v_mul_f32_e32 v44, v63, v47
	ds_bpermute_b32 v45, v19, v41
	v_sub_f32_e32 v47, v71, v49
	ds_bpermute_b32 v49, v21, v42
	s_waitcnt vmcnt(27) lgkmcnt(4)
	v_dual_add_f32 v43, v43, v72 :: v_dual_fmac_f32 v26, v44, v46
	ds_bpermute_b32 v44, v20, v41
	v_dual_mul_f32 v46, v64, v47 :: v_dual_sub_f32 v47, v77, v50
	ds_bpermute_b32 v50, v22, v42
	s_waitcnt vmcnt(25)
	v_add_f32_e32 v43, v43, v88
	s_waitcnt lgkmcnt(5)
	v_fmac_f32_e32 v26, v46, v48
	v_mul_f32_e32 v46, v65, v47
	ds_bpermute_b32 v47, v21, v41
	s_waitcnt lgkmcnt(5)
	v_sub_f32_e32 v48, v75, v51
	ds_bpermute_b32 v51, v23, v42
	s_waitcnt lgkmcnt(5)
	v_fmac_f32_e32 v26, v46, v45
	v_mul_f32_e32 v45, v66, v48
	ds_bpermute_b32 v46, v22, v41
	s_waitcnt lgkmcnt(5)
	v_sub_f32_e32 v48, v76, v49
	ds_bpermute_b32 v49, v24, v42
	s_waitcnt vmcnt(23) lgkmcnt(5)
	v_dual_add_f32 v43, v43, v90 :: v_dual_fmac_f32 v26, v45, v44
	ds_bpermute_b32 v44, v23, v41
	s_waitcnt lgkmcnt(5)
	v_dual_mul_f32 v45, v67, v48 :: v_dual_sub_f32 v48, v80, v50
	s_waitcnt vmcnt(21)
	v_add_f32_e32 v43, v43, v92
	ds_bpermute_b32 v50, v25, v42
	s_waitcnt lgkmcnt(5)
	v_fmac_f32_e32 v26, v45, v47
	ds_bpermute_b32 v45, v24, v41
	s_waitcnt lgkmcnt(5)
	v_dual_mul_f32 v47, v69, v48 :: v_dual_sub_f32 v48, v78, v51
	s_waitcnt vmcnt(20)
	v_add_f32_e32 v43, v43, v94
	ds_bpermute_b32 v51, v27, v42
	s_waitcnt lgkmcnt(5)
	v_fmac_f32_e32 v26, v47, v46
	ds_bpermute_b32 v46, v25, v41
	s_waitcnt lgkmcnt(5)
	v_dual_mul_f32 v47, v73, v48 :: v_dual_sub_f32 v48, v79, v49
	ds_bpermute_b32 v49, v28, v42
	s_waitcnt vmcnt(18)
	v_add_f32_e32 v43, v43, v96
	s_waitcnt lgkmcnt(5)
	v_fmac_f32_e32 v26, v47, v44
	ds_bpermute_b32 v44, v27, v41
	s_waitcnt lgkmcnt(5)
	v_dual_mul_f32 v47, v74, v48 :: v_dual_sub_f32 v48, v87, v50
	ds_bpermute_b32 v50, v29, v42
	s_waitcnt lgkmcnt(5)
	v_fmac_f32_e32 v26, v47, v45
	ds_bpermute_b32 v45, v28, v41
	s_waitcnt lgkmcnt(5)
	v_dual_mul_f32 v47, v72, v48 :: v_dual_sub_f32 v48, v89, v51
	ds_bpermute_b32 v51, v30, v42
	s_waitcnt vmcnt(15)
	v_add_f32_e32 v43, v43, v98
	s_waitcnt lgkmcnt(5)
	v_fmac_f32_e32 v26, v47, v46
	ds_bpermute_b32 v46, v29, v41
	s_waitcnt lgkmcnt(5)
	v_dual_mul_f32 v47, v88, v48 :: v_dual_sub_f32 v48, v91, v49
	ds_bpermute_b32 v49, v31, v42
	s_waitcnt vmcnt(14)
	v_add_f32_e32 v43, v43, v100
	s_waitcnt lgkmcnt(5)
	v_fmac_f32_e32 v26, v47, v44
	ds_bpermute_b32 v44, v30, v41
	s_waitcnt lgkmcnt(5)
	v_dual_mul_f32 v47, v90, v48 :: v_dual_sub_f32 v48, v93, v50
	ds_bpermute_b32 v50, v32, v42
	s_waitcnt lgkmcnt(5)
	v_fmac_f32_e32 v26, v47, v45
	ds_bpermute_b32 v45, v31, v41
	s_waitcnt lgkmcnt(5)
	v_dual_mul_f32 v47, v92, v48 :: v_dual_sub_f32 v48, v95, v51
	ds_bpermute_b32 v51, v33, v42
	s_waitcnt vmcnt(11)
	v_add_f32_e32 v43, v43, v102
	s_waitcnt lgkmcnt(5)
	v_fmac_f32_e32 v26, v47, v46
	ds_bpermute_b32 v46, v32, v41
	s_waitcnt lgkmcnt(5)
	v_dual_mul_f32 v47, v94, v48 :: v_dual_sub_f32 v48, v97, v49
	ds_bpermute_b32 v49, v34, v42
	s_waitcnt vmcnt(9)
	v_add_f32_e32 v43, v43, v104
	s_waitcnt lgkmcnt(5)
	v_fmac_f32_e32 v26, v47, v44
	ds_bpermute_b32 v44, v33, v41
	s_waitcnt lgkmcnt(5)
	v_dual_mul_f32 v47, v96, v48 :: v_dual_sub_f32 v48, v99, v50
	ds_bpermute_b32 v50, v35, v42
	s_waitcnt lgkmcnt(5)
	v_dual_fmac_f32 v26, v47, v45 :: v_dual_mul_f32 v45, v98, v48
	ds_bpermute_b32 v47, v34, v41
	s_waitcnt lgkmcnt(5)
	v_sub_f32_e32 v48, v101, v51
	ds_bpermute_b32 v51, v36, v42
	s_waitcnt vmcnt(7)
	v_add_f32_e32 v43, v43, v106
	s_waitcnt lgkmcnt(5)
	v_dual_fmac_f32 v26, v45, v46 :: v_dual_mul_f32 v45, v100, v48
	ds_bpermute_b32 v46, v35, v41
	s_waitcnt lgkmcnt(5)
	v_sub_f32_e32 v48, v103, v49
	ds_bpermute_b32 v49, v37, v42
	s_waitcnt lgkmcnt(5)
	v_fmac_f32_e32 v26, v45, v44
	ds_bpermute_b32 v44, v36, v41
	v_mul_f32_e32 v45, v102, v48
	ds_bpermute_b32 v48, v38, v42
	s_waitcnt lgkmcnt(6)
	v_sub_f32_e32 v50, v105, v50
	ds_bpermute_b32 v42, v39, v42
	s_waitcnt vmcnt(4) lgkmcnt(6)
	v_dual_add_f32 v43, v43, v109 :: v_dual_fmac_f32 v26, v45, v47
	v_mul_f32_e32 v45, v104, v50
	s_waitcnt lgkmcnt(5)
	v_sub_f32_e32 v47, v107, v51
	ds_bpermute_b32 v50, v38, v41
	ds_bpermute_b32 v41, v39, v41
	s_waitcnt vmcnt(2) lgkmcnt(6)
	v_dual_add_f32 v43, v43, v85 :: v_dual_fmac_f32 v26, v45, v46
	s_waitcnt lgkmcnt(5)
	v_dual_mul_f32 v45, v106, v47 :: v_dual_sub_f32 v46, v108, v49
	s_waitcnt vmcnt(0) lgkmcnt(4)
	s_delay_alu instid0(VALU_DEP_1) | instskip(SKIP_1) | instid1(VALU_DEP_2)
	v_dual_add_f32 v43, v43, v81 :: v_dual_fmac_f32 v26, v45, v44
	s_waitcnt lgkmcnt(3)
	v_dual_mul_f32 v44, v109, v46 :: v_dual_sub_f32 v45, v110, v48
	s_waitcnt lgkmcnt(2)
	v_sub_f32_e32 v42, v83, v42
	s_delay_alu instid0(VALU_DEP_2) | instskip(NEXT) | instid1(VALU_DEP_3)
	v_fmac_f32_e32 v26, v44, v52
	v_mul_f32_e32 v44, v85, v45
	s_delay_alu instid0(VALU_DEP_3) | instskip(SKIP_1) | instid1(VALU_DEP_2)
	v_mul_f32_e32 v42, v81, v42
	s_waitcnt lgkmcnt(1)
	v_fmac_f32_e32 v26, v44, v50
	s_waitcnt lgkmcnt(0)
	s_delay_alu instid0(VALU_DEP_1)
	v_fmac_f32_e32 v26, v42, v41
	s_cbranch_vccz .LBB60_8
.LBB60_6:                               ; =>This Inner Loop Header: Depth=1
	v_dual_mov_b32 v41, 0 :: v_dual_mov_b32 v42, 0
	s_mov_b32 s3, exec_lo
	v_cmpx_gt_i64_e64 s[16:17], v[2:3]
	s_cbranch_execz .LBB60_5
; %bb.7:                                ;   in Loop: Header=BB60_6 Depth=1
	v_add_co_u32 v41, vcc_lo, s8, v4
	v_add_co_ci_u32_e32 v42, vcc_lo, s9, v5, vcc_lo
	v_add_co_u32 v44, vcc_lo, s10, v4
	v_add_co_ci_u32_e32 v45, vcc_lo, s11, v5, vcc_lo
	global_load_b32 v42, v[41:42], off
	global_load_b32 v41, v[44:45], off
	s_branch .LBB60_5
.LBB60_8:
	v_mov_b32_e32 v1, v6
.LBB60_9:
	s_load_b32 s0, s[24:25], 0xc
	v_mov_b32_e32 v2, 0
	s_mov_b32 s15, 0
	s_waitcnt lgkmcnt(0)
	s_lshr_b32 s0, s0, 16
	s_delay_alu instid0(VALU_DEP_1) | instid1(SALU_CYCLE_1)
	v_mad_u64_u32 v[3:4], null, s0, s2, v[1:2]
	s_lshl_b64 s[0:1], s[14:15], 5
	s_cmp_eq_u64 s[20:21], 0
	v_add_co_u32 v0, s0, s0, v7
	s_delay_alu instid0(VALU_DEP_1) | instskip(NEXT) | instid1(VALU_DEP_3)
	v_add_co_ci_u32_e64 v1, null, s1, 0, s0
	v_mul_lo_u32 v2, v4, s18
	s_delay_alu instid0(VALU_DEP_4) | instskip(NEXT) | instid1(VALU_DEP_3)
	v_mul_lo_u32 v4, v3, s19
	v_lshlrev_b64 v[0:1], 2, v[0:1]
	s_cbranch_scc1 .LBB60_11
; %bb.10:
	v_mad_u64_u32 v[5:6], null, v3, s18, 0
	s_delay_alu instid0(VALU_DEP_1) | instskip(NEXT) | instid1(VALU_DEP_1)
	v_add3_u32 v6, v6, v4, v2
	v_lshlrev_b64 v[5:6], 2, v[5:6]
	s_delay_alu instid0(VALU_DEP_1) | instskip(NEXT) | instid1(VALU_DEP_2)
	v_add_co_u32 v5, vcc_lo, s20, v5
	v_add_co_ci_u32_e32 v6, vcc_lo, s21, v6, vcc_lo
	s_delay_alu instid0(VALU_DEP_2) | instskip(NEXT) | instid1(VALU_DEP_2)
	v_add_co_u32 v5, vcc_lo, v5, v0
	v_add_co_ci_u32_e32 v6, vcc_lo, v6, v1, vcc_lo
	global_store_b32 v[5:6], v26, off
.LBB60_11:
	s_cmp_eq_u64 s[22:23], 0
	s_cbranch_scc1 .LBB60_13
; %bb.12:
	v_mad_u64_u32 v[5:6], null, v3, s18, 0
	s_delay_alu instid0(VALU_DEP_1) | instskip(NEXT) | instid1(VALU_DEP_1)
	v_add3_u32 v6, v6, v4, v2
	v_lshlrev_b64 v[2:3], 2, v[5:6]
	s_delay_alu instid0(VALU_DEP_1) | instskip(NEXT) | instid1(VALU_DEP_2)
	v_add_co_u32 v2, vcc_lo, s22, v2
	v_add_co_ci_u32_e32 v3, vcc_lo, s23, v3, vcc_lo
	s_delay_alu instid0(VALU_DEP_2) | instskip(NEXT) | instid1(VALU_DEP_2)
	v_add_co_u32 v0, vcc_lo, v2, v0
	v_add_co_ci_u32_e32 v1, vcc_lo, v3, v1, vcc_lo
	global_store_b32 v[0:1], v43, off
.LBB60_13:
	s_nop 0
	s_sendmsg sendmsg(MSG_DEALLOC_VGPRS)
	s_endpgm
	.section	.rodata,"a",@progbits
	.p2align	6, 0x0
	.amdhsa_kernel _ZN2at6native12_GLOBAL__N_135GammaBetaBackwardCUDAKernelTemplateIffLj32ELj1ELj32ELb1ELb1ELb0EEEvllPKT_S5_PKT0_S8_PS3_S9_
		.amdhsa_group_segment_fixed_size 0
		.amdhsa_private_segment_fixed_size 0
		.amdhsa_kernarg_size 320
		.amdhsa_user_sgpr_count 14
		.amdhsa_user_sgpr_dispatch_ptr 0
		.amdhsa_user_sgpr_queue_ptr 0
		.amdhsa_user_sgpr_kernarg_segment_ptr 1
		.amdhsa_user_sgpr_dispatch_id 0
		.amdhsa_user_sgpr_private_segment_size 0
		.amdhsa_wavefront_size32 1
		.amdhsa_uses_dynamic_stack 0
		.amdhsa_enable_private_segment 0
		.amdhsa_system_sgpr_workgroup_id_x 1
		.amdhsa_system_sgpr_workgroup_id_y 1
		.amdhsa_system_sgpr_workgroup_id_z 0
		.amdhsa_system_sgpr_workgroup_info 0
		.amdhsa_system_vgpr_workitem_id 1
		.amdhsa_next_free_vgpr 116
		.amdhsa_next_free_sgpr 32
		.amdhsa_reserve_vcc 1
		.amdhsa_float_round_mode_32 0
		.amdhsa_float_round_mode_16_64 0
		.amdhsa_float_denorm_mode_32 3
		.amdhsa_float_denorm_mode_16_64 3
		.amdhsa_dx10_clamp 1
		.amdhsa_ieee_mode 1
		.amdhsa_fp16_overflow 0
		.amdhsa_workgroup_processor_mode 1
		.amdhsa_memory_ordered 1
		.amdhsa_forward_progress 0
		.amdhsa_shared_vgpr_count 0
		.amdhsa_exception_fp_ieee_invalid_op 0
		.amdhsa_exception_fp_denorm_src 0
		.amdhsa_exception_fp_ieee_div_zero 0
		.amdhsa_exception_fp_ieee_overflow 0
		.amdhsa_exception_fp_ieee_underflow 0
		.amdhsa_exception_fp_ieee_inexact 0
		.amdhsa_exception_int_div_zero 0
	.end_amdhsa_kernel
	.section	.text._ZN2at6native12_GLOBAL__N_135GammaBetaBackwardCUDAKernelTemplateIffLj32ELj1ELj32ELb1ELb1ELb0EEEvllPKT_S5_PKT0_S8_PS3_S9_,"axG",@progbits,_ZN2at6native12_GLOBAL__N_135GammaBetaBackwardCUDAKernelTemplateIffLj32ELj1ELj32ELb1ELb1ELb0EEEvllPKT_S5_PKT0_S8_PS3_S9_,comdat
.Lfunc_end60:
	.size	_ZN2at6native12_GLOBAL__N_135GammaBetaBackwardCUDAKernelTemplateIffLj32ELj1ELj32ELb1ELb1ELb0EEEvllPKT_S5_PKT0_S8_PS3_S9_, .Lfunc_end60-_ZN2at6native12_GLOBAL__N_135GammaBetaBackwardCUDAKernelTemplateIffLj32ELj1ELj32ELb1ELb1ELb0EEEvllPKT_S5_PKT0_S8_PS3_S9_
                                        ; -- End function
	.section	.AMDGPU.csdata,"",@progbits
; Kernel info:
; codeLenInByte = 3628
; NumSgprs: 34
; NumVgprs: 116
; ScratchSize: 0
; MemoryBound: 0
; FloatMode: 240
; IeeeMode: 1
; LDSByteSize: 0 bytes/workgroup (compile time only)
; SGPRBlocks: 4
; VGPRBlocks: 14
; NumSGPRsForWavesPerEU: 34
; NumVGPRsForWavesPerEU: 116
; Occupancy: 12
; WaveLimiterHint : 0
; COMPUTE_PGM_RSRC2:SCRATCH_EN: 0
; COMPUTE_PGM_RSRC2:USER_SGPR: 14
; COMPUTE_PGM_RSRC2:TRAP_HANDLER: 0
; COMPUTE_PGM_RSRC2:TGID_X_EN: 1
; COMPUTE_PGM_RSRC2:TGID_Y_EN: 1
; COMPUTE_PGM_RSRC2:TGID_Z_EN: 0
; COMPUTE_PGM_RSRC2:TIDIG_COMP_CNT: 1
	.section	.text._ZN2at6native12_GLOBAL__N_135GammaBetaBackwardCUDAKernelTemplateIffLj32ELj1ELj32ELb1ELb0ELb0EEEvllPKT_S5_PKT0_S8_PS3_S9_,"axG",@progbits,_ZN2at6native12_GLOBAL__N_135GammaBetaBackwardCUDAKernelTemplateIffLj32ELj1ELj32ELb1ELb0ELb0EEEvllPKT_S5_PKT0_S8_PS3_S9_,comdat
	.globl	_ZN2at6native12_GLOBAL__N_135GammaBetaBackwardCUDAKernelTemplateIffLj32ELj1ELj32ELb1ELb0ELb0EEEvllPKT_S5_PKT0_S8_PS3_S9_ ; -- Begin function _ZN2at6native12_GLOBAL__N_135GammaBetaBackwardCUDAKernelTemplateIffLj32ELj1ELj32ELb1ELb0ELb0EEEvllPKT_S5_PKT0_S8_PS3_S9_
	.p2align	8
	.type	_ZN2at6native12_GLOBAL__N_135GammaBetaBackwardCUDAKernelTemplateIffLj32ELj1ELj32ELb1ELb0ELb0EEEvllPKT_S5_PKT0_S8_PS3_S9_,@function
_ZN2at6native12_GLOBAL__N_135GammaBetaBackwardCUDAKernelTemplateIffLj32ELj1ELj32ELb1ELb0ELb0EEEvllPKT_S5_PKT0_S8_PS3_S9_: ; @_ZN2at6native12_GLOBAL__N_135GammaBetaBackwardCUDAKernelTemplateIffLj32ELj1ELj32ELb1ELb0ELb0EEEvllPKT_S5_PKT0_S8_PS3_S9_
; %bb.0:
	s_clause 0x1
	s_load_b256 s[16:23], s[0:1], 0x0
	s_load_b128 s[8:11], s[0:1], 0x20
	s_mov_b32 s2, s15
	s_mov_b32 s5, 0
	s_lshl_b32 s6, s2, 5
	s_mov_b32 s7, s5
	s_lshl_b32 s15, s14, 5
	v_mov_b32_e32 v226, v0
	s_or_b32 s4, s15, 31
	s_waitcnt lgkmcnt(0)
	v_cmp_lt_i64_e64 s30, s[6:7], s[16:17]
	v_cmp_ge_i64_e64 s3, s[4:5], s[18:19]
	s_delay_alu instid0(VALU_DEP_2) | instskip(NEXT) | instid1(VALU_DEP_2)
	v_cndmask_b32_e64 v0, 0, 1, s30
	s_and_b32 vcc_lo, exec_lo, s3
	s_delay_alu instid0(VALU_DEP_1)
	v_cmp_ne_u32_e64 s3, 1, v0
	s_cbranch_vccz .LBB61_141
; %bb.1:
	v_mov_b32_e32 v227, 0
	v_mov_b32_e32 v145, 0
	s_delay_alu instid0(VALU_DEP_3)
	s_and_b32 vcc_lo, exec_lo, s3
	s_cbranch_vccnz .LBB61_142
; %bb.2:
	v_bfe_u32 v9, v226, 10, 10
	s_load_b32 s4, s[0:1], 0x44
	v_dual_mov_b32 v2, 0 :: v_dual_and_b32 v11, 0x3ff, v226
	s_add_u32 s12, s0, 64
	s_delay_alu instid0(VALU_DEP_2) | instskip(NEXT) | instid1(VALU_DEP_2)
	v_dual_mov_b32 v139, 0 :: v_dual_lshlrev_b32 v10, 5, v9
	v_dual_mov_b32 v12, v2 :: v_dual_add_nc_u32 v1, s15, v11
	s_addc_u32 s13, s1, 0
	s_delay_alu instid0(VALU_DEP_2) | instskip(NEXT) | instid1(VALU_DEP_1)
	v_add_co_u32 v5, s3, v10, s6
	v_add_co_ci_u32_e64 v6, null, 0, 0, s3
	s_delay_alu instid0(VALU_DEP_3) | instskip(NEXT) | instid1(VALU_DEP_3)
	v_cmp_gt_i64_e64 s3, s[18:19], v[1:2]
	v_add_co_u32 v0, vcc_lo, v5, 31
	s_delay_alu instid0(VALU_DEP_3) | instskip(SKIP_1) | instid1(VALU_DEP_3)
	v_add_co_ci_u32_e32 v3, vcc_lo, 0, v6, vcc_lo
	v_mul_lo_u32 v130, s19, v5
	v_mul_lo_u32 v4, s19, v0
	v_mad_u64_u32 v[7:8], null, s18, v0, 0
	s_delay_alu instid0(VALU_DEP_4) | instskip(SKIP_4) | instid1(VALU_DEP_2)
	v_mul_lo_u32 v3, s18, v3
	v_add_co_u32 v0, vcc_lo, v5, 30
	v_add_co_ci_u32_e32 v13, vcc_lo, 0, v6, vcc_lo
	s_waitcnt lgkmcnt(0)
	s_lshl_b32 s31, s4, 5
	v_mul_lo_u32 v14, s19, v0
	v_mad_u64_u32 v[16:17], null, s18, v0, 0
	v_add3_u32 v8, v8, v3, v4
	v_mul_lo_u32 v15, s18, v13
	v_lshlrev_b64 v[3:4], 2, v[1:2]
	s_mul_i32 s4, s19, s31
	s_mul_hi_u32 s24, s18, s31
	v_lshlrev_b64 v[7:8], 2, v[7:8]
	s_add_i32 s27, s24, s4
	v_mad_u64_u32 v[133:134], null, s18, v5, 0
	s_delay_alu instid0(VALU_DEP_4) | instskip(SKIP_1) | instid1(VALU_DEP_4)
	v_add3_u32 v17, v17, v15, v14
	v_mov_b32_e32 v227, 0
	v_add_co_u32 v1, vcc_lo, s20, v7
	v_add_co_ci_u32_e32 v13, vcc_lo, s21, v8, vcc_lo
	v_add_co_u32 v0, vcc_lo, v5, 29
	v_add_co_u32 v14, s4, s22, v7
	s_delay_alu instid0(VALU_DEP_1)
	v_add_co_ci_u32_e64 v15, s4, s23, v8, s4
	v_lshlrev_b64 v[7:8], 2, v[16:17]
	v_add_co_ci_u32_e32 v16, vcc_lo, 0, v6, vcc_lo
	v_add_co_u32 v17, vcc_lo, v5, 28
	v_add_co_ci_u32_e32 v19, vcc_lo, 0, v6, vcc_lo
	v_mul_lo_u32 v18, s19, v0
	s_delay_alu instid0(VALU_DEP_4)
	v_mul_lo_u32 v24, s18, v16
	v_mad_u64_u32 v[20:21], null, s18, v0, 0
	v_mul_lo_u32 v0, s19, v17
	v_mul_lo_u32 v25, s18, v19
	v_mad_u64_u32 v[22:23], null, s18, v17, 0
	v_add_co_u32 v16, vcc_lo, s20, v7
	v_add_co_ci_u32_e32 v17, vcc_lo, s21, v8, vcc_lo
	v_add3_u32 v21, v21, v24, v18
	v_add_co_u32 v18, vcc_lo, s22, v7
	v_add_co_ci_u32_e32 v19, vcc_lo, s23, v8, vcc_lo
	v_add3_u32 v23, v23, v25, v0
	v_add_co_u32 v0, vcc_lo, v5, 27
	v_add_co_ci_u32_e32 v24, vcc_lo, 0, v6, vcc_lo
	v_lshlrev_b64 v[7:8], 2, v[20:21]
	s_delay_alu instid0(VALU_DEP_3) | instskip(SKIP_1) | instid1(VALU_DEP_4)
	v_mul_lo_u32 v30, s19, v0
	v_mad_u64_u32 v[28:29], null, s18, v0, 0
	v_mul_lo_u32 v31, s18, v24
	v_lshlrev_b64 v[26:27], 2, v[22:23]
	v_add_co_u32 v20, vcc_lo, s20, v7
	v_add_co_ci_u32_e32 v21, vcc_lo, s21, v8, vcc_lo
	v_add_co_u32 v22, vcc_lo, s22, v7
	v_add_co_ci_u32_e32 v23, vcc_lo, s23, v8, vcc_lo
	v_add_co_u32 v24, vcc_lo, s20, v26
	v_add3_u32 v29, v29, v31, v30
	v_add_co_ci_u32_e32 v25, vcc_lo, s21, v27, vcc_lo
	v_add_co_u32 v0, vcc_lo, v5, 26
	s_delay_alu instid0(VALU_DEP_3) | instskip(SKIP_4) | instid1(VALU_DEP_4)
	v_lshlrev_b64 v[7:8], 2, v[28:29]
	v_add_co_ci_u32_e32 v28, vcc_lo, 0, v6, vcc_lo
	v_add_co_u32 v29, vcc_lo, v5, 25
	v_add_co_ci_u32_e32 v31, vcc_lo, 0, v6, vcc_lo
	v_mul_lo_u32 v30, s19, v0
	v_mul_lo_u32 v36, s18, v28
	v_mad_u64_u32 v[32:33], null, s18, v0, 0
	v_mul_lo_u32 v0, s19, v29
	v_mul_lo_u32 v37, s18, v31
	v_mad_u64_u32 v[34:35], null, s18, v29, 0
	v_add_co_u32 v28, vcc_lo, s20, v7
	v_add_co_ci_u32_e32 v29, vcc_lo, s21, v8, vcc_lo
	v_add3_u32 v33, v33, v36, v30
	v_add_co_u32 v30, vcc_lo, s22, v7
	v_add_co_ci_u32_e32 v31, vcc_lo, s23, v8, vcc_lo
	v_add3_u32 v35, v35, v37, v0
	v_add_co_u32 v0, vcc_lo, v5, 24
	v_add_co_ci_u32_e32 v36, vcc_lo, 0, v6, vcc_lo
	v_lshlrev_b64 v[7:8], 2, v[32:33]
	s_delay_alu instid0(VALU_DEP_3) | instskip(SKIP_1) | instid1(VALU_DEP_4)
	v_mul_lo_u32 v42, s19, v0
	v_mad_u64_u32 v[40:41], null, s18, v0, 0
	v_mul_lo_u32 v43, s18, v36
	v_lshlrev_b64 v[38:39], 2, v[34:35]
	v_add_co_u32 v32, vcc_lo, s20, v7
	v_add_co_ci_u32_e32 v33, vcc_lo, s21, v8, vcc_lo
	v_add_co_u32 v34, vcc_lo, s22, v7
	v_add_co_ci_u32_e32 v35, vcc_lo, s23, v8, vcc_lo
	v_add_co_u32 v36, vcc_lo, s20, v38
	v_add3_u32 v41, v41, v43, v42
	v_add_co_ci_u32_e32 v37, vcc_lo, s21, v39, vcc_lo
	v_add_co_u32 v0, vcc_lo, v5, 23
	s_delay_alu instid0(VALU_DEP_3) | instskip(SKIP_4) | instid1(VALU_DEP_4)
	v_lshlrev_b64 v[7:8], 2, v[40:41]
	v_add_co_ci_u32_e32 v40, vcc_lo, 0, v6, vcc_lo
	v_add_co_u32 v41, vcc_lo, v5, 22
	v_add_co_ci_u32_e32 v43, vcc_lo, 0, v6, vcc_lo
	v_mul_lo_u32 v42, s19, v0
	v_mul_lo_u32 v48, s18, v40
	v_mad_u64_u32 v[44:45], null, s18, v0, 0
	v_mul_lo_u32 v0, s19, v41
	v_mul_lo_u32 v49, s18, v43
	v_mad_u64_u32 v[46:47], null, s18, v41, 0
	v_add_co_u32 v40, vcc_lo, s20, v7
	v_add_co_ci_u32_e32 v41, vcc_lo, s21, v8, vcc_lo
	v_add3_u32 v45, v45, v48, v42
	v_add_co_u32 v42, vcc_lo, s22, v7
	v_add_co_ci_u32_e32 v43, vcc_lo, s23, v8, vcc_lo
	v_add3_u32 v47, v47, v49, v0
	v_add_co_u32 v0, vcc_lo, v5, 21
	v_add_co_ci_u32_e32 v48, vcc_lo, 0, v6, vcc_lo
	v_lshlrev_b64 v[7:8], 2, v[44:45]
	s_delay_alu instid0(VALU_DEP_3) | instskip(SKIP_1) | instid1(VALU_DEP_4)
	v_mul_lo_u32 v54, s19, v0
	v_mad_u64_u32 v[52:53], null, s18, v0, 0
	v_mul_lo_u32 v55, s18, v48
	v_lshlrev_b64 v[50:51], 2, v[46:47]
	v_add_co_u32 v44, vcc_lo, s20, v7
	v_add_co_ci_u32_e32 v45, vcc_lo, s21, v8, vcc_lo
	v_add_co_u32 v46, vcc_lo, s22, v7
	v_add_co_ci_u32_e32 v47, vcc_lo, s23, v8, vcc_lo
	v_add_co_u32 v48, vcc_lo, s20, v50
	v_add3_u32 v53, v53, v55, v54
	v_add_co_ci_u32_e32 v49, vcc_lo, s21, v51, vcc_lo
	v_add_co_u32 v0, vcc_lo, v5, 20
	s_delay_alu instid0(VALU_DEP_3) | instskip(SKIP_1) | instid1(VALU_DEP_3)
	v_lshlrev_b64 v[7:8], 2, v[52:53]
	v_add_co_ci_u32_e32 v52, vcc_lo, 0, v6, vcc_lo
	v_mul_lo_u32 v54, s19, v0
	v_mad_u64_u32 v[56:57], null, s18, v0, 0
	s_delay_alu instid0(VALU_DEP_3) | instskip(SKIP_3) | instid1(VALU_DEP_3)
	v_mul_lo_u32 v60, s18, v52
	v_add_co_u32 v53, vcc_lo, v5, 19
	v_add_co_ci_u32_e32 v55, vcc_lo, 0, v6, vcc_lo
	v_add_co_u32 v52, vcc_lo, s20, v7
	v_mul_lo_u32 v0, s19, v53
	v_add3_u32 v57, v57, v60, v54
	s_delay_alu instid0(VALU_DEP_4)
	v_mul_lo_u32 v61, s18, v55
	v_mad_u64_u32 v[58:59], null, s18, v53, 0
	v_add_co_ci_u32_e32 v53, vcc_lo, s21, v8, vcc_lo
	v_add_co_u32 v54, vcc_lo, s22, v7
	v_add_co_ci_u32_e32 v55, vcc_lo, s23, v8, vcc_lo
	v_lshlrev_b64 v[7:8], 2, v[56:57]
	v_add_co_u32 v57, vcc_lo, v5, 18
	v_add_co_ci_u32_e32 v60, vcc_lo, 0, v6, vcc_lo
	v_add3_u32 v59, v59, v61, v0
	s_delay_alu instid0(VALU_DEP_3) | instskip(SKIP_1) | instid1(VALU_DEP_4)
	v_mul_lo_u32 v65, s19, v57
	v_mad_u64_u32 v[63:64], null, s18, v57, 0
	v_mul_lo_u32 v66, s18, v60
	v_add_co_u32 v0, vcc_lo, s20, v7
	v_lshlrev_b64 v[61:62], 2, v[58:59]
	v_add_co_ci_u32_e32 v56, vcc_lo, s21, v8, vcc_lo
	v_add_co_u32 v57, vcc_lo, s22, v7
	v_add_co_ci_u32_e32 v58, vcc_lo, s23, v8, vcc_lo
	s_delay_alu instid0(VALU_DEP_4) | instskip(SKIP_3) | instid1(VALU_DEP_3)
	v_add_co_u32 v59, vcc_lo, s20, v61
	v_add3_u32 v64, v64, v66, v65
	v_add_co_ci_u32_e32 v60, vcc_lo, s21, v62, vcc_lo
	v_add_co_u32 v65, vcc_lo, v5, 17
	v_lshlrev_b64 v[7:8], 2, v[63:64]
	v_add_co_ci_u32_e32 v63, vcc_lo, 0, v6, vcc_lo
	v_add_co_u32 v64, vcc_lo, v5, 16
	v_add_co_ci_u32_e32 v69, vcc_lo, 0, v6, vcc_lo
	v_mul_lo_u32 v66, s19, v65
	s_delay_alu instid0(VALU_DEP_4)
	v_mul_lo_u32 v71, s18, v63
	v_mad_u64_u32 v[67:68], null, s18, v65, 0
	v_mul_lo_u32 v72, s19, v64
	v_mul_lo_u32 v73, s18, v69
	v_mad_u64_u32 v[69:70], null, s18, v64, 0
	v_add_co_u32 v63, vcc_lo, s20, v7
	v_add_co_ci_u32_e32 v64, vcc_lo, s21, v8, vcc_lo
	v_add_co_u32 v65, vcc_lo, s22, v7
	v_add3_u32 v68, v68, v71, v66
	v_add_co_ci_u32_e32 v66, vcc_lo, s23, v8, vcc_lo
	v_add_co_u32 v71, vcc_lo, v5, 15
	v_add3_u32 v70, v70, v73, v72
	v_add_co_ci_u32_e32 v72, vcc_lo, 0, v6, vcc_lo
	v_lshlrev_b64 v[7:8], 2, v[67:68]
	s_delay_alu instid0(VALU_DEP_4) | instskip(SKIP_1) | instid1(VALU_DEP_4)
	v_mul_lo_u32 v77, s19, v71
	v_mad_u64_u32 v[75:76], null, s18, v71, 0
	v_mul_lo_u32 v78, s18, v72
	v_lshlrev_b64 v[73:74], 2, v[69:70]
	v_add_co_u32 v67, vcc_lo, s20, v7
	v_add_co_ci_u32_e32 v68, vcc_lo, s21, v8, vcc_lo
	v_add_co_u32 v69, vcc_lo, s22, v7
	v_add_co_ci_u32_e32 v70, vcc_lo, s23, v8, vcc_lo
	v_add_co_u32 v71, vcc_lo, s20, v73
	v_add3_u32 v76, v76, v78, v77
	v_add_co_ci_u32_e32 v72, vcc_lo, s21, v74, vcc_lo
	v_add_co_u32 v77, vcc_lo, v5, 14
	s_delay_alu instid0(VALU_DEP_3) | instskip(SKIP_4) | instid1(VALU_DEP_4)
	v_lshlrev_b64 v[7:8], 2, v[75:76]
	v_add_co_ci_u32_e32 v75, vcc_lo, 0, v6, vcc_lo
	v_add_co_u32 v76, vcc_lo, v5, 13
	v_add_co_ci_u32_e32 v81, vcc_lo, 0, v6, vcc_lo
	v_mul_lo_u32 v78, s19, v77
	v_mul_lo_u32 v83, s18, v75
	v_mad_u64_u32 v[79:80], null, s18, v77, 0
	v_mul_lo_u32 v84, s19, v76
	v_mul_lo_u32 v85, s18, v81
	v_mad_u64_u32 v[81:82], null, s18, v76, 0
	v_add_co_u32 v75, vcc_lo, s20, v7
	v_add_co_ci_u32_e32 v76, vcc_lo, s21, v8, vcc_lo
	v_add_co_u32 v77, vcc_lo, s22, v7
	v_add3_u32 v80, v80, v83, v78
	v_add_co_ci_u32_e32 v78, vcc_lo, s23, v8, vcc_lo
	v_add_co_u32 v83, vcc_lo, v5, 12
	v_add3_u32 v82, v82, v85, v84
	v_add_co_ci_u32_e32 v84, vcc_lo, 0, v6, vcc_lo
	v_lshlrev_b64 v[7:8], 2, v[79:80]
	s_delay_alu instid0(VALU_DEP_4) | instskip(SKIP_1) | instid1(VALU_DEP_4)
	v_mul_lo_u32 v89, s19, v83
	v_mad_u64_u32 v[87:88], null, s18, v83, 0
	v_mul_lo_u32 v90, s18, v84
	v_lshlrev_b64 v[85:86], 2, v[81:82]
	v_add_co_u32 v79, vcc_lo, s20, v7
	v_add_co_ci_u32_e32 v80, vcc_lo, s21, v8, vcc_lo
	v_add_co_u32 v81, vcc_lo, s22, v7
	v_add_co_ci_u32_e32 v82, vcc_lo, s23, v8, vcc_lo
	v_add_co_u32 v83, vcc_lo, s20, v85
	v_add3_u32 v88, v88, v90, v89
	v_add_co_ci_u32_e32 v84, vcc_lo, s21, v86, vcc_lo
	v_add_co_u32 v89, vcc_lo, v5, 11
	s_delay_alu instid0(VALU_DEP_3) | instskip(SKIP_4) | instid1(VALU_DEP_4)
	v_lshlrev_b64 v[7:8], 2, v[87:88]
	v_add_co_ci_u32_e32 v87, vcc_lo, 0, v6, vcc_lo
	v_add_co_u32 v88, vcc_lo, v5, 10
	v_add_co_ci_u32_e32 v93, vcc_lo, 0, v6, vcc_lo
	v_mul_lo_u32 v90, s19, v89
	;; [unrolled: 33-line block ×3, first 2 shown]
	v_mul_lo_u32 v107, s18, v99
	v_mad_u64_u32 v[103:104], null, s18, v101, 0
	v_mul_lo_u32 v108, s19, v100
	v_mul_lo_u32 v109, s18, v105
	v_mad_u64_u32 v[105:106], null, s18, v100, 0
	v_add_co_u32 v99, vcc_lo, s20, v7
	v_add_co_ci_u32_e32 v100, vcc_lo, s21, v8, vcc_lo
	v_add_co_u32 v101, vcc_lo, s22, v7
	v_add3_u32 v104, v104, v107, v102
	v_add_co_ci_u32_e32 v102, vcc_lo, s23, v8, vcc_lo
	v_add_co_u32 v107, vcc_lo, v5, 6
	v_add3_u32 v106, v106, v109, v108
	v_add_co_ci_u32_e32 v108, vcc_lo, 0, v6, vcc_lo
	v_lshlrev_b64 v[7:8], 2, v[103:104]
	s_delay_alu instid0(VALU_DEP_4) | instskip(SKIP_1) | instid1(VALU_DEP_4)
	v_mul_lo_u32 v113, s19, v107
	v_mad_u64_u32 v[111:112], null, s18, v107, 0
	v_mul_lo_u32 v114, s18, v108
	v_lshlrev_b64 v[109:110], 2, v[105:106]
	v_add_co_u32 v103, vcc_lo, s20, v7
	v_add_co_ci_u32_e32 v104, vcc_lo, s21, v8, vcc_lo
	v_add_co_u32 v105, vcc_lo, s22, v7
	v_add_co_ci_u32_e32 v106, vcc_lo, s23, v8, vcc_lo
	v_add_co_u32 v107, vcc_lo, s20, v109
	v_add3_u32 v112, v112, v114, v113
	v_add_co_ci_u32_e32 v108, vcc_lo, s21, v110, vcc_lo
	v_add_co_u32 v113, vcc_lo, v5, 5
	s_delay_alu instid0(VALU_DEP_3) | instskip(SKIP_2) | instid1(VALU_DEP_4)
	v_lshlrev_b64 v[7:8], 2, v[111:112]
	v_add_co_ci_u32_e32 v111, vcc_lo, 0, v6, vcc_lo
	v_add_co_u32 v112, vcc_lo, v5, 4
	v_mul_lo_u32 v114, s19, v113
	s_delay_alu instid0(VALU_DEP_3) | instskip(SKIP_4) | instid1(VALU_DEP_3)
	v_mul_lo_u32 v119, s18, v111
	v_mad_u64_u32 v[115:116], null, s18, v113, 0
	v_add_co_ci_u32_e32 v117, vcc_lo, 0, v6, vcc_lo
	v_mul_lo_u32 v120, s19, v112
	v_add_co_u32 v111, vcc_lo, s20, v7
	v_mul_lo_u32 v121, s18, v117
	v_mad_u64_u32 v[117:118], null, s18, v112, 0
	v_add3_u32 v116, v116, v119, v114
	v_add_co_ci_u32_e32 v112, vcc_lo, s21, v8, vcc_lo
	v_add_co_u32 v113, vcc_lo, s22, v7
	v_add_co_ci_u32_e32 v114, vcc_lo, s23, v8, vcc_lo
	s_delay_alu instid0(VALU_DEP_4) | instskip(SKIP_3) | instid1(VALU_DEP_4)
	v_lshlrev_b64 v[7:8], 2, v[115:116]
	v_add_co_u32 v119, vcc_lo, v5, 3
	v_add3_u32 v118, v118, v121, v120
	v_add_co_ci_u32_e32 v120, vcc_lo, 0, v6, vcc_lo
	v_add_co_u32 v115, vcc_lo, s20, v7
	s_delay_alu instid0(VALU_DEP_3) | instskip(SKIP_1) | instid1(VALU_DEP_4)
	v_lshlrev_b64 v[121:122], 2, v[117:118]
	v_mul_lo_u32 v125, s19, v119
	v_mul_lo_u32 v126, s18, v120
	v_mad_u64_u32 v[123:124], null, s18, v119, 0
	v_add_co_ci_u32_e32 v116, vcc_lo, s21, v8, vcc_lo
	v_add_co_u32 v117, vcc_lo, s22, v7
	v_add_co_ci_u32_e32 v118, vcc_lo, s23, v8, vcc_lo
	v_add_co_u32 v119, vcc_lo, s20, v121
	v_add_co_ci_u32_e32 v120, vcc_lo, s21, v122, vcc_lo
	v_add3_u32 v124, v124, v126, v125
	v_add_co_u32 v125, vcc_lo, v5, 2
	v_add_co_ci_u32_e32 v126, vcc_lo, 0, v6, vcc_lo
	s_delay_alu instid0(VALU_DEP_3) | instskip(NEXT) | instid1(VALU_DEP_3)
	v_lshlrev_b64 v[7:8], 2, v[123:124]
	v_mul_lo_u32 v129, s19, v125
	v_mad_u64_u32 v[127:128], null, s18, v125, 0
	s_delay_alu instid0(VALU_DEP_4)
	v_mul_lo_u32 v126, s18, v126
	v_mul_lo_u32 v6, s18, v6
	v_add_co_u32 v121, vcc_lo, s22, v121
	v_add_co_ci_u32_e32 v122, vcc_lo, s23, v122, vcc_lo
	v_add_co_u32 v123, vcc_lo, s20, v7
	v_add_co_ci_u32_e32 v124, vcc_lo, s21, v8, vcc_lo
	v_add3_u32 v128, v128, v126, v129
	v_add_co_u32 v125, vcc_lo, s22, v7
	v_add3_u32 v134, v134, v6, v130
	v_add_co_ci_u32_e32 v126, vcc_lo, s23, v8, vcc_lo
	v_add_co_u32 v7, vcc_lo, v133, s18
	v_add_co_u32 v26, s4, s22, v26
	v_lshlrev_b64 v[5:6], 2, v[127:128]
	v_add_co_ci_u32_e32 v8, vcc_lo, s19, v134, vcc_lo
	v_add_co_ci_u32_e64 v27, s4, s23, v27, s4
	v_add_co_u32 v38, s4, s22, v38
	s_delay_alu instid0(VALU_DEP_1)
	v_add_co_ci_u32_e64 v39, s4, s23, v39, s4
	v_add_co_u32 v50, s4, s22, v50
	v_add_co_u32 v127, vcc_lo, s20, v5
	v_lshlrev_b64 v[7:8], 2, v[7:8]
	v_add_co_ci_u32_e64 v51, s4, s23, v51, s4
	v_add_co_ci_u32_e32 v128, vcc_lo, s21, v6, vcc_lo
	v_add_co_u32 v61, s4, s22, v61
	v_add_co_u32 v129, vcc_lo, s22, v5
	v_add_co_ci_u32_e64 v62, s4, s23, v62, s4
	v_add_co_ci_u32_e32 v130, vcc_lo, s23, v6, vcc_lo
	v_add_co_u32 v73, s4, s22, v73
	v_add_co_u32 v131, vcc_lo, s20, v7
	v_lshlrev_b64 v[5:6], 2, v[133:134]
	v_add_co_ci_u32_e64 v74, s4, s23, v74, s4
	v_add_co_ci_u32_e32 v132, vcc_lo, s21, v8, vcc_lo
	v_add_co_u32 v85, s4, s22, v85
	v_add_co_u32 v133, vcc_lo, s22, v7
	v_add_co_ci_u32_e64 v86, s4, s23, v86, s4
	v_add_co_ci_u32_e32 v134, vcc_lo, s23, v8, vcc_lo
	v_add_co_u32 v97, s4, s22, v97
	v_add_co_u32 v135, vcc_lo, s20, v5
	;; [unrolled: 4-line block ×3, first 2 shown]
	v_add_co_ci_u32_e64 v110, s4, s23, v110, s4
	v_add_co_ci_u32_e32 v138, vcc_lo, s23, v6, vcc_lo
	s_mul_i32 s26, s18, s31
	s_mov_b64 s[24:25], 31
	s_lshl_b64 s[26:27], s[26:27], 2
	s_mov_b64 s[28:29], s[6:7]
.LBB61_3:                               ; =>This Inner Loop Header: Depth=1
	s_add_u32 s34, s6, s24
	s_addc_u32 s35, 0, s25
	v_add_co_u32 v5, vcc_lo, s6, v10
	v_cmp_ge_i64_e64 s4, s[34:35], s[16:17]
	v_add_co_ci_u32_e32 v6, vcc_lo, 0, v12, vcc_lo
	s_delay_alu instid0(VALU_DEP_2)
	s_and_b32 vcc_lo, exec_lo, s4
	s_cbranch_vccz .LBB61_71
; %bb.4:                                ;   in Loop: Header=BB61_3 Depth=1
	s_load_b32 s4, s[12:13], 0xc
	v_dual_mov_b32 v141, 0 :: v_dual_mov_b32 v140, 0
	v_mov_b32_e32 v142, 0
	s_waitcnt lgkmcnt(0)
	s_and_b32 s4, s4, 0xffff
	s_delay_alu instid0(SALU_CYCLE_1) | instskip(SKIP_1) | instid1(VALU_DEP_1)
	v_mad_u32_u24 v7, v9, s4, v11
	s_mov_b32 s4, exec_lo
	v_and_b32_e32 v7, 31, v7
	s_delay_alu instid0(VALU_DEP_1) | instskip(SKIP_1) | instid1(VALU_DEP_1)
	v_add_co_u32 v7, vcc_lo, v5, v7
	v_add_co_ci_u32_e32 v8, vcc_lo, 0, v6, vcc_lo
	v_cmpx_gt_i64_e64 s[16:17], v[7:8]
	s_cbranch_execz .LBB61_6
; %bb.5:                                ;   in Loop: Header=BB61_3 Depth=1
	v_lshlrev_b64 v[7:8], 2, v[7:8]
	s_delay_alu instid0(VALU_DEP_1) | instskip(NEXT) | instid1(VALU_DEP_2)
	v_add_co_u32 v140, vcc_lo, s8, v7
	v_add_co_ci_u32_e32 v141, vcc_lo, s9, v8, vcc_lo
	v_add_co_u32 v7, vcc_lo, s10, v7
	v_add_co_ci_u32_e32 v8, vcc_lo, s11, v8, vcc_lo
	global_load_b32 v140, v[140:141], off
	global_load_b32 v141, v[7:8], off
.LBB61_6:                               ;   in Loop: Header=BB61_3 Depth=1
	s_or_b32 exec_lo, exec_lo, s4
	v_cmp_gt_i64_e32 vcc_lo, s[16:17], v[5:6]
	v_mov_b32_e32 v8, 0
	s_and_b32 s33, s3, vcc_lo
	s_delay_alu instid0(SALU_CYCLE_1)
	s_and_saveexec_b32 s4, s33
	s_cbranch_execz .LBB61_8
; %bb.7:                                ;   in Loop: Header=BB61_3 Depth=1
	v_add_co_u32 v7, vcc_lo, v135, v3
	v_add_co_ci_u32_e32 v8, vcc_lo, v136, v4, vcc_lo
	v_add_co_u32 v143, vcc_lo, v137, v3
	v_add_co_ci_u32_e32 v144, vcc_lo, v138, v4, vcc_lo
	global_load_b32 v142, v[7:8], off
	global_load_b32 v8, v[143:144], off
.LBB61_8:                               ;   in Loop: Header=BB61_3 Depth=1
	s_or_b32 exec_lo, exec_lo, s4
	v_add_co_u32 v143, vcc_lo, v5, 1
	v_add_co_ci_u32_e32 v144, vcc_lo, 0, v6, vcc_lo
	v_mov_b32_e32 v7, 0
	s_delay_alu instid0(VALU_DEP_2) | instskip(SKIP_2) | instid1(SALU_CYCLE_1)
	v_cmp_gt_i64_e32 vcc_lo, s[16:17], v[143:144]
	v_dual_mov_b32 v144, 0 :: v_dual_mov_b32 v143, 0
	s_and_b32 s33, s3, vcc_lo
	s_and_saveexec_b32 s4, s33
	s_cbranch_execz .LBB61_10
; %bb.9:                                ;   in Loop: Header=BB61_3 Depth=1
	v_add_co_u32 v143, vcc_lo, v131, v3
	v_add_co_ci_u32_e32 v144, vcc_lo, v132, v4, vcc_lo
	v_add_co_u32 v145, vcc_lo, v133, v3
	v_add_co_ci_u32_e32 v146, vcc_lo, v134, v4, vcc_lo
	global_load_b32 v143, v[143:144], off
	global_load_b32 v144, v[145:146], off
.LBB61_10:                              ;   in Loop: Header=BB61_3 Depth=1
	s_or_b32 exec_lo, exec_lo, s4
	v_add_co_u32 v145, vcc_lo, v5, 2
	v_add_co_ci_u32_e32 v146, vcc_lo, 0, v6, vcc_lo
	s_delay_alu instid0(VALU_DEP_1) | instskip(SKIP_2) | instid1(SALU_CYCLE_1)
	v_cmp_gt_i64_e32 vcc_lo, s[16:17], v[145:146]
	v_mov_b32_e32 v145, 0
	s_and_b32 s33, s3, vcc_lo
	s_and_saveexec_b32 s4, s33
	s_cbranch_execz .LBB61_12
; %bb.11:                               ;   in Loop: Header=BB61_3 Depth=1
	v_add_co_u32 v145, vcc_lo, v127, v3
	v_add_co_ci_u32_e32 v146, vcc_lo, v128, v4, vcc_lo
	v_add_co_u32 v147, vcc_lo, v129, v3
	v_add_co_ci_u32_e32 v148, vcc_lo, v130, v4, vcc_lo
	global_load_b32 v7, v[145:146], off
	global_load_b32 v145, v[147:148], off
.LBB61_12:                              ;   in Loop: Header=BB61_3 Depth=1
	s_or_b32 exec_lo, exec_lo, s4
	v_add_co_u32 v146, vcc_lo, v5, 3
	v_add_co_ci_u32_e32 v147, vcc_lo, 0, v6, vcc_lo
	v_mov_b32_e32 v148, 0
	s_delay_alu instid0(VALU_DEP_2) | instskip(SKIP_2) | instid1(SALU_CYCLE_1)
	v_cmp_gt_i64_e32 vcc_lo, s[16:17], v[146:147]
	v_dual_mov_b32 v146, 0 :: v_dual_mov_b32 v147, 0
	s_and_b32 s33, s3, vcc_lo
	s_and_saveexec_b32 s4, s33
	s_cbranch_execz .LBB61_14
; %bb.13:                               ;   in Loop: Header=BB61_3 Depth=1
	v_add_co_u32 v147, vcc_lo, v123, v3
	v_add_co_ci_u32_e32 v148, vcc_lo, v124, v4, vcc_lo
	v_add_co_u32 v149, vcc_lo, v125, v3
	v_add_co_ci_u32_e32 v150, vcc_lo, v126, v4, vcc_lo
	global_load_b32 v147, v[147:148], off
	global_load_b32 v148, v[149:150], off
.LBB61_14:                              ;   in Loop: Header=BB61_3 Depth=1
	s_or_b32 exec_lo, exec_lo, s4
	v_add_co_u32 v149, vcc_lo, v5, 4
	v_add_co_ci_u32_e32 v150, vcc_lo, 0, v6, vcc_lo
	s_delay_alu instid0(VALU_DEP_1) | instskip(SKIP_2) | instid1(SALU_CYCLE_1)
	v_cmp_gt_i64_e32 vcc_lo, s[16:17], v[149:150]
	v_mov_b32_e32 v150, 0
	s_and_b32 s33, s3, vcc_lo
	s_and_saveexec_b32 s4, s33
	s_cbranch_execz .LBB61_16
; %bb.15:                               ;   in Loop: Header=BB61_3 Depth=1
	v_add_co_u32 v149, vcc_lo, v119, v3
	v_add_co_ci_u32_e32 v150, vcc_lo, v120, v4, vcc_lo
	v_add_co_u32 v151, vcc_lo, v121, v3
	v_add_co_ci_u32_e32 v152, vcc_lo, v122, v4, vcc_lo
	global_load_b32 v146, v[149:150], off
	global_load_b32 v150, v[151:152], off
.LBB61_16:                              ;   in Loop: Header=BB61_3 Depth=1
	s_or_b32 exec_lo, exec_lo, s4
	v_add_co_u32 v151, vcc_lo, v5, 5
	v_add_co_ci_u32_e32 v152, vcc_lo, 0, v6, vcc_lo
	v_mov_b32_e32 v149, 0
	s_delay_alu instid0(VALU_DEP_2) | instskip(SKIP_2) | instid1(SALU_CYCLE_1)
	v_cmp_gt_i64_e32 vcc_lo, s[16:17], v[151:152]
	v_dual_mov_b32 v152, 0 :: v_dual_mov_b32 v151, 0
	s_and_b32 s33, s3, vcc_lo
	s_and_saveexec_b32 s4, s33
	s_cbranch_execz .LBB61_18
; %bb.17:                               ;   in Loop: Header=BB61_3 Depth=1
	v_add_co_u32 v151, vcc_lo, v115, v3
	v_add_co_ci_u32_e32 v152, vcc_lo, v116, v4, vcc_lo
	v_add_co_u32 v153, vcc_lo, v117, v3
	v_add_co_ci_u32_e32 v154, vcc_lo, v118, v4, vcc_lo
	global_load_b32 v151, v[151:152], off
	global_load_b32 v152, v[153:154], off
.LBB61_18:                              ;   in Loop: Header=BB61_3 Depth=1
	s_or_b32 exec_lo, exec_lo, s4
	v_add_co_u32 v153, vcc_lo, v5, 6
	v_add_co_ci_u32_e32 v154, vcc_lo, 0, v6, vcc_lo
	s_delay_alu instid0(VALU_DEP_1) | instskip(SKIP_2) | instid1(SALU_CYCLE_1)
	v_cmp_gt_i64_e32 vcc_lo, s[16:17], v[153:154]
	v_mov_b32_e32 v154, 0
	s_and_b32 s33, s3, vcc_lo
	s_and_saveexec_b32 s4, s33
	s_cbranch_execz .LBB61_20
; %bb.19:                               ;   in Loop: Header=BB61_3 Depth=1
	v_add_co_u32 v153, vcc_lo, v111, v3
	v_add_co_ci_u32_e32 v154, vcc_lo, v112, v4, vcc_lo
	v_add_co_u32 v155, vcc_lo, v113, v3
	v_add_co_ci_u32_e32 v156, vcc_lo, v114, v4, vcc_lo
	global_load_b32 v149, v[153:154], off
	global_load_b32 v154, v[155:156], off
.LBB61_20:                              ;   in Loop: Header=BB61_3 Depth=1
	s_or_b32 exec_lo, exec_lo, s4
	v_add_co_u32 v155, vcc_lo, v5, 7
	v_add_co_ci_u32_e32 v156, vcc_lo, 0, v6, vcc_lo
	v_mov_b32_e32 v153, 0
	s_delay_alu instid0(VALU_DEP_2) | instskip(SKIP_2) | instid1(SALU_CYCLE_1)
	v_cmp_gt_i64_e32 vcc_lo, s[16:17], v[155:156]
	v_dual_mov_b32 v156, 0 :: v_dual_mov_b32 v155, 0
	s_and_b32 s33, s3, vcc_lo
	s_and_saveexec_b32 s4, s33
	s_cbranch_execz .LBB61_22
; %bb.21:                               ;   in Loop: Header=BB61_3 Depth=1
	v_add_co_u32 v155, vcc_lo, v107, v3
	v_add_co_ci_u32_e32 v156, vcc_lo, v108, v4, vcc_lo
	v_add_co_u32 v157, vcc_lo, v109, v3
	v_add_co_ci_u32_e32 v158, vcc_lo, v110, v4, vcc_lo
	global_load_b32 v155, v[155:156], off
	global_load_b32 v156, v[157:158], off
.LBB61_22:                              ;   in Loop: Header=BB61_3 Depth=1
	s_or_b32 exec_lo, exec_lo, s4
	v_add_co_u32 v157, vcc_lo, v5, 8
	v_add_co_ci_u32_e32 v158, vcc_lo, 0, v6, vcc_lo
	s_delay_alu instid0(VALU_DEP_1) | instskip(SKIP_2) | instid1(SALU_CYCLE_1)
	v_cmp_gt_i64_e32 vcc_lo, s[16:17], v[157:158]
	v_mov_b32_e32 v158, 0
	s_and_b32 s33, s3, vcc_lo
	s_and_saveexec_b32 s4, s33
	s_cbranch_execz .LBB61_24
; %bb.23:                               ;   in Loop: Header=BB61_3 Depth=1
	v_add_co_u32 v157, vcc_lo, v103, v3
	v_add_co_ci_u32_e32 v158, vcc_lo, v104, v4, vcc_lo
	v_add_co_u32 v159, vcc_lo, v105, v3
	v_add_co_ci_u32_e32 v160, vcc_lo, v106, v4, vcc_lo
	global_load_b32 v153, v[157:158], off
	global_load_b32 v158, v[159:160], off
.LBB61_24:                              ;   in Loop: Header=BB61_3 Depth=1
	s_or_b32 exec_lo, exec_lo, s4
	v_add_co_u32 v159, vcc_lo, v5, 9
	v_add_co_ci_u32_e32 v160, vcc_lo, 0, v6, vcc_lo
	v_mov_b32_e32 v157, 0
	s_delay_alu instid0(VALU_DEP_2) | instskip(SKIP_2) | instid1(SALU_CYCLE_1)
	v_cmp_gt_i64_e32 vcc_lo, s[16:17], v[159:160]
	v_dual_mov_b32 v160, 0 :: v_dual_mov_b32 v159, 0
	s_and_b32 s33, s3, vcc_lo
	s_and_saveexec_b32 s4, s33
	s_cbranch_execz .LBB61_26
; %bb.25:                               ;   in Loop: Header=BB61_3 Depth=1
	v_add_co_u32 v159, vcc_lo, v99, v3
	v_add_co_ci_u32_e32 v160, vcc_lo, v100, v4, vcc_lo
	v_add_co_u32 v161, vcc_lo, v101, v3
	v_add_co_ci_u32_e32 v162, vcc_lo, v102, v4, vcc_lo
	global_load_b32 v159, v[159:160], off
	global_load_b32 v160, v[161:162], off
.LBB61_26:                              ;   in Loop: Header=BB61_3 Depth=1
	s_or_b32 exec_lo, exec_lo, s4
	v_add_co_u32 v161, vcc_lo, v5, 10
	v_add_co_ci_u32_e32 v162, vcc_lo, 0, v6, vcc_lo
	s_delay_alu instid0(VALU_DEP_1) | instskip(SKIP_2) | instid1(SALU_CYCLE_1)
	v_cmp_gt_i64_e32 vcc_lo, s[16:17], v[161:162]
	v_mov_b32_e32 v162, 0
	s_and_b32 s33, s3, vcc_lo
	s_and_saveexec_b32 s4, s33
	s_cbranch_execz .LBB61_28
; %bb.27:                               ;   in Loop: Header=BB61_3 Depth=1
	v_add_co_u32 v161, vcc_lo, v95, v3
	v_add_co_ci_u32_e32 v162, vcc_lo, v96, v4, vcc_lo
	v_add_co_u32 v163, vcc_lo, v97, v3
	v_add_co_ci_u32_e32 v164, vcc_lo, v98, v4, vcc_lo
	global_load_b32 v157, v[161:162], off
	global_load_b32 v162, v[163:164], off
.LBB61_28:                              ;   in Loop: Header=BB61_3 Depth=1
	s_or_b32 exec_lo, exec_lo, s4
	v_add_co_u32 v163, vcc_lo, v5, 11
	v_add_co_ci_u32_e32 v164, vcc_lo, 0, v6, vcc_lo
	v_mov_b32_e32 v161, 0
	s_delay_alu instid0(VALU_DEP_2) | instskip(SKIP_2) | instid1(SALU_CYCLE_1)
	v_cmp_gt_i64_e32 vcc_lo, s[16:17], v[163:164]
	v_dual_mov_b32 v164, 0 :: v_dual_mov_b32 v163, 0
	s_and_b32 s33, s3, vcc_lo
	s_and_saveexec_b32 s4, s33
	s_cbranch_execz .LBB61_30
; %bb.29:                               ;   in Loop: Header=BB61_3 Depth=1
	v_add_co_u32 v163, vcc_lo, v91, v3
	v_add_co_ci_u32_e32 v164, vcc_lo, v92, v4, vcc_lo
	v_add_co_u32 v165, vcc_lo, v93, v3
	v_add_co_ci_u32_e32 v166, vcc_lo, v94, v4, vcc_lo
	global_load_b32 v163, v[163:164], off
	global_load_b32 v164, v[165:166], off
.LBB61_30:                              ;   in Loop: Header=BB61_3 Depth=1
	s_or_b32 exec_lo, exec_lo, s4
	v_add_co_u32 v165, vcc_lo, v5, 12
	v_add_co_ci_u32_e32 v166, vcc_lo, 0, v6, vcc_lo
	v_mov_b32_e32 v167, 0
	s_delay_alu instid0(VALU_DEP_2) | instskip(SKIP_1) | instid1(SALU_CYCLE_1)
	v_cmp_gt_i64_e32 vcc_lo, s[16:17], v[165:166]
	s_and_b32 s33, s3, vcc_lo
	s_and_saveexec_b32 s4, s33
	s_cbranch_execz .LBB61_32
; %bb.31:                               ;   in Loop: Header=BB61_3 Depth=1
	v_add_co_u32 v165, vcc_lo, v87, v3
	v_add_co_ci_u32_e32 v166, vcc_lo, v88, v4, vcc_lo
	v_add_co_u32 v167, vcc_lo, v89, v3
	v_add_co_ci_u32_e32 v168, vcc_lo, v90, v4, vcc_lo
	global_load_b32 v161, v[165:166], off
	global_load_b32 v167, v[167:168], off
.LBB61_32:                              ;   in Loop: Header=BB61_3 Depth=1
	s_or_b32 exec_lo, exec_lo, s4
	v_add_co_u32 v165, vcc_lo, v5, 13
	v_add_co_ci_u32_e32 v166, vcc_lo, 0, v6, vcc_lo
	v_mov_b32_e32 v168, 0
	v_mov_b32_e32 v170, 0
	s_delay_alu instid0(VALU_DEP_3) | instskip(SKIP_2) | instid1(SALU_CYCLE_1)
	v_cmp_gt_i64_e32 vcc_lo, s[16:17], v[165:166]
	v_mov_b32_e32 v166, 0
	s_and_b32 s33, s3, vcc_lo
	s_and_saveexec_b32 s4, s33
	s_cbranch_execz .LBB61_34
; %bb.33:                               ;   in Loop: Header=BB61_3 Depth=1
	v_add_co_u32 v168, vcc_lo, v83, v3
	v_add_co_ci_u32_e32 v169, vcc_lo, v84, v4, vcc_lo
	v_add_co_u32 v170, vcc_lo, v85, v3
	v_add_co_ci_u32_e32 v171, vcc_lo, v86, v4, vcc_lo
	global_load_b32 v168, v[168:169], off
	global_load_b32 v170, v[170:171], off
.LBB61_34:                              ;   in Loop: Header=BB61_3 Depth=1
	s_or_b32 exec_lo, exec_lo, s4
	v_add_co_u32 v171, vcc_lo, v5, 14
	v_add_co_ci_u32_e32 v172, vcc_lo, 0, v6, vcc_lo
	s_delay_alu instid0(VALU_DEP_1) | instskip(SKIP_2) | instid1(SALU_CYCLE_1)
	v_cmp_gt_i64_e32 vcc_lo, s[16:17], v[171:172]
	v_mov_b32_e32 v172, 0
	s_and_b32 s33, s3, vcc_lo
	s_and_saveexec_b32 s4, s33
	s_cbranch_execz .LBB61_36
; %bb.35:                               ;   in Loop: Header=BB61_3 Depth=1
	v_add_co_u32 v165, vcc_lo, v79, v3
	v_add_co_ci_u32_e32 v166, vcc_lo, v80, v4, vcc_lo
	v_add_co_u32 v171, vcc_lo, v81, v3
	v_add_co_ci_u32_e32 v172, vcc_lo, v82, v4, vcc_lo
	global_load_b32 v166, v[165:166], off
	global_load_b32 v172, v[171:172], off
.LBB61_36:                              ;   in Loop: Header=BB61_3 Depth=1
	s_or_b32 exec_lo, exec_lo, s4
	v_add_co_u32 v173, vcc_lo, v5, 15
	v_add_co_ci_u32_e32 v174, vcc_lo, 0, v6, vcc_lo
	v_mov_b32_e32 v171, 0
	v_mov_b32_e32 v175, 0
	s_delay_alu instid0(VALU_DEP_3) | instskip(SKIP_2) | instid1(SALU_CYCLE_1)
	v_cmp_gt_i64_e32 vcc_lo, s[16:17], v[173:174]
	v_mov_b32_e32 v173, 0
	s_and_b32 s33, s3, vcc_lo
	s_and_saveexec_b32 s4, s33
	s_cbranch_execz .LBB61_38
; %bb.37:                               ;   in Loop: Header=BB61_3 Depth=1
	v_add_co_u32 v173, vcc_lo, v75, v3
	v_add_co_ci_u32_e32 v174, vcc_lo, v76, v4, vcc_lo
	v_add_co_u32 v175, vcc_lo, v77, v3
	v_add_co_ci_u32_e32 v176, vcc_lo, v78, v4, vcc_lo
	global_load_b32 v173, v[173:174], off
	global_load_b32 v175, v[175:176], off
.LBB61_38:                              ;   in Loop: Header=BB61_3 Depth=1
	s_or_b32 exec_lo, exec_lo, s4
	v_add_co_u32 v176, vcc_lo, v5, 16
	v_add_co_ci_u32_e32 v177, vcc_lo, 0, v6, vcc_lo
	s_delay_alu instid0(VALU_DEP_1) | instskip(SKIP_2) | instid1(SALU_CYCLE_1)
	v_cmp_gt_i64_e32 vcc_lo, s[16:17], v[176:177]
	v_mov_b32_e32 v177, 0
	;; [unrolled: 36-line block ×5, first 2 shown]
	s_and_b32 s33, s3, vcc_lo
	s_and_saveexec_b32 s4, s33
	s_cbranch_execz .LBB61_52
; %bb.51:                               ;   in Loop: Header=BB61_3 Depth=1
	v_add_co_u32 v188, vcc_lo, v48, v3
	v_add_co_ci_u32_e32 v189, vcc_lo, v49, v4, vcc_lo
	v_add_co_u32 v190, vcc_lo, v50, v3
	v_add_co_ci_u32_e32 v191, vcc_lo, v51, v4, vcc_lo
	global_load_b32 v182, v[188:189], off
	global_load_b32 v189, v[190:191], off
.LBB61_52:                              ;   in Loop: Header=BB61_3 Depth=1
	s_or_b32 exec_lo, exec_lo, s4
	v_add_co_u32 v190, vcc_lo, v5, 23
	v_add_co_ci_u32_e32 v191, vcc_lo, 0, v6, vcc_lo
	v_mov_b32_e32 v186, 0
	v_mov_b32_e32 v188, 0
	s_delay_alu instid0(VALU_DEP_3) | instskip(SKIP_2) | instid1(SALU_CYCLE_1)
	v_cmp_gt_i64_e32 vcc_lo, s[16:17], v[190:191]
	v_mov_b32_e32 v190, 0
	s_and_b32 s33, s3, vcc_lo
	s_and_saveexec_b32 s4, s33
	s_cbranch_execz .LBB61_54
; %bb.53:                               ;   in Loop: Header=BB61_3 Depth=1
	v_add_co_u32 v190, vcc_lo, v44, v3
	v_add_co_ci_u32_e32 v191, vcc_lo, v45, v4, vcc_lo
	v_add_co_u32 v192, vcc_lo, v46, v3
	v_add_co_ci_u32_e32 v193, vcc_lo, v47, v4, vcc_lo
	global_load_b32 v188, v[190:191], off
	global_load_b32 v190, v[192:193], off
.LBB61_54:                              ;   in Loop: Header=BB61_3 Depth=1
	s_or_b32 exec_lo, exec_lo, s4
	v_add_co_u32 v191, vcc_lo, v5, 24
	v_add_co_ci_u32_e32 v192, vcc_lo, 0, v6, vcc_lo
	v_mov_b32_e32 v193, 0
	s_delay_alu instid0(VALU_DEP_2) | instskip(SKIP_1) | instid1(SALU_CYCLE_1)
	v_cmp_gt_i64_e32 vcc_lo, s[16:17], v[191:192]
	s_and_b32 s33, s3, vcc_lo
	s_and_saveexec_b32 s4, s33
	s_cbranch_execz .LBB61_56
; %bb.55:                               ;   in Loop: Header=BB61_3 Depth=1
	v_add_co_u32 v191, vcc_lo, v40, v3
	v_add_co_ci_u32_e32 v192, vcc_lo, v41, v4, vcc_lo
	v_add_co_u32 v193, vcc_lo, v42, v3
	v_add_co_ci_u32_e32 v194, vcc_lo, v43, v4, vcc_lo
	global_load_b32 v186, v[191:192], off
	global_load_b32 v193, v[193:194], off
.LBB61_56:                              ;   in Loop: Header=BB61_3 Depth=1
	s_or_b32 exec_lo, exec_lo, s4
	v_add_co_u32 v191, vcc_lo, v5, 25
	v_add_co_ci_u32_e32 v192, vcc_lo, 0, v6, vcc_lo
	v_mov_b32_e32 v194, 0
	s_delay_alu instid0(VALU_DEP_2) | instskip(SKIP_2) | instid1(SALU_CYCLE_1)
	v_cmp_gt_i64_e32 vcc_lo, s[16:17], v[191:192]
	v_dual_mov_b32 v191, 0 :: v_dual_mov_b32 v192, 0
	s_and_b32 s33, s3, vcc_lo
	s_and_saveexec_b32 s4, s33
	s_cbranch_execz .LBB61_58
; %bb.57:                               ;   in Loop: Header=BB61_3 Depth=1
	v_add_co_u32 v194, vcc_lo, v36, v3
	v_add_co_ci_u32_e32 v195, vcc_lo, v37, v4, vcc_lo
	v_add_co_u32 v196, vcc_lo, v38, v3
	v_add_co_ci_u32_e32 v197, vcc_lo, v39, v4, vcc_lo
	global_load_b32 v192, v[194:195], off
	global_load_b32 v194, v[196:197], off
.LBB61_58:                              ;   in Loop: Header=BB61_3 Depth=1
	s_or_b32 exec_lo, exec_lo, s4
	v_add_co_u32 v195, vcc_lo, v5, 26
	v_add_co_ci_u32_e32 v196, vcc_lo, 0, v6, vcc_lo
	s_delay_alu instid0(VALU_DEP_1) | instskip(SKIP_2) | instid1(SALU_CYCLE_1)
	v_cmp_gt_i64_e32 vcc_lo, s[16:17], v[195:196]
	v_mov_b32_e32 v196, 0
	s_and_b32 s33, s3, vcc_lo
	s_and_saveexec_b32 s4, s33
	s_cbranch_execz .LBB61_60
; %bb.59:                               ;   in Loop: Header=BB61_3 Depth=1
	v_add_co_u32 v195, vcc_lo, v32, v3
	v_add_co_ci_u32_e32 v196, vcc_lo, v33, v4, vcc_lo
	v_add_co_u32 v197, vcc_lo, v34, v3
	v_add_co_ci_u32_e32 v198, vcc_lo, v35, v4, vcc_lo
	global_load_b32 v191, v[195:196], off
	global_load_b32 v196, v[197:198], off
.LBB61_60:                              ;   in Loop: Header=BB61_3 Depth=1
	s_or_b32 exec_lo, exec_lo, s4
	v_add_co_u32 v197, vcc_lo, v5, 27
	v_add_co_ci_u32_e32 v198, vcc_lo, 0, v6, vcc_lo
	v_mov_b32_e32 v195, 0
	s_delay_alu instid0(VALU_DEP_2) | instskip(SKIP_2) | instid1(SALU_CYCLE_1)
	v_cmp_gt_i64_e32 vcc_lo, s[16:17], v[197:198]
	v_dual_mov_b32 v198, 0 :: v_dual_mov_b32 v197, 0
	s_and_b32 s33, s3, vcc_lo
	s_and_saveexec_b32 s4, s33
	s_cbranch_execz .LBB61_62
; %bb.61:                               ;   in Loop: Header=BB61_3 Depth=1
	v_add_co_u32 v197, vcc_lo, v28, v3
	v_add_co_ci_u32_e32 v198, vcc_lo, v29, v4, vcc_lo
	v_add_co_u32 v199, vcc_lo, v30, v3
	v_add_co_ci_u32_e32 v200, vcc_lo, v31, v4, vcc_lo
	global_load_b32 v197, v[197:198], off
	global_load_b32 v198, v[199:200], off
.LBB61_62:                              ;   in Loop: Header=BB61_3 Depth=1
	s_or_b32 exec_lo, exec_lo, s4
	v_add_co_u32 v199, vcc_lo, v5, 28
	v_add_co_ci_u32_e32 v200, vcc_lo, 0, v6, vcc_lo
	s_delay_alu instid0(VALU_DEP_1) | instskip(SKIP_2) | instid1(SALU_CYCLE_1)
	v_cmp_gt_i64_e32 vcc_lo, s[16:17], v[199:200]
	v_mov_b32_e32 v199, 0
	;; [unrolled: 35-line block ×3, first 2 shown]
	s_and_b32 s33, s3, vcc_lo
	s_and_saveexec_b32 s4, s33
	s_cbranch_execz .LBB61_68
; %bb.67:                               ;   in Loop: Header=BB61_3 Depth=1
	v_add_co_u32 v203, vcc_lo, v16, v3
	v_add_co_ci_u32_e32 v204, vcc_lo, v17, v4, vcc_lo
	v_add_co_u32 v205, vcc_lo, v18, v3
	v_add_co_ci_u32_e32 v206, vcc_lo, v19, v4, vcc_lo
	global_load_b32 v200, v[203:204], off
	global_load_b32 v203, v[205:206], off
.LBB61_68:                              ;   in Loop: Header=BB61_3 Depth=1
	s_or_b32 exec_lo, exec_lo, s4
	v_add_co_u32 v204, vcc_lo, v5, 31
	v_add_co_ci_u32_e32 v205, vcc_lo, 0, v6, vcc_lo
	v_mov_b32_e32 v165, 0
	v_mov_b32_e32 v169, 0
	s_mov_b32 s4, 0
	s_delay_alu instid0(VALU_DEP_3) | instskip(SKIP_1) | instid1(SALU_CYCLE_1)
	v_cmp_gt_i64_e32 vcc_lo, s[16:17], v[204:205]
	s_and_b32 s34, s3, vcc_lo
	s_and_saveexec_b32 s33, s34
	s_cbranch_execz .LBB61_70
; %bb.69:                               ;   in Loop: Header=BB61_3 Depth=1
	v_add_co_u32 v204, vcc_lo, v1, v3
	v_add_co_ci_u32_e32 v205, vcc_lo, v13, v4, vcc_lo
	v_add_co_u32 v206, vcc_lo, v14, v3
	v_add_co_ci_u32_e32 v207, vcc_lo, v15, v4, vcc_lo
	global_load_b32 v165, v[204:205], off
	global_load_b32 v169, v[206:207], off
.LBB61_70:                              ;   in Loop: Header=BB61_3 Depth=1
	s_or_b32 exec_lo, exec_lo, s33
	s_waitcnt vmcnt(1)
	ds_bpermute_b32 v204, v2, v140
	ds_bpermute_b32 v208, v2, v140 offset:4
	ds_bpermute_b32 v210, v2, v140 offset:8
	s_waitcnt vmcnt(0)
	ds_bpermute_b32 v205, v2, v141
	ds_bpermute_b32 v207, v2, v141 offset:4
	ds_bpermute_b32 v212, v2, v140 offset:12
	;; [unrolled: 1-line block ×16, first 2 shown]
	s_waitcnt lgkmcnt(19)
	v_sub_f32_e32 v8, v8, v204
	ds_bpermute_b32 v204, v2, v140 offset:36
	s_waitcnt lgkmcnt(18)
	v_sub_f32_e32 v210, v145, v210
	v_sub_f32_e32 v144, v144, v208
	ds_bpermute_b32 v208, v2, v140 offset:44
	v_mul_f32_e32 v8, v142, v8
	ds_bpermute_b32 v224, v2, v141 offset:40
	s_waitcnt lgkmcnt(19)
	v_fma_f32 v145, v8, v205, v139
	v_mul_f32_e32 v205, v7, v210
	v_mul_f32_e32 v144, v143, v144
	v_add_f32_e32 v206, v227, v142
	ds_bpermute_b32 v142, v2, v141 offset:44
	ds_bpermute_b32 v8, v2, v141 offset:48
	s_waitcnt lgkmcnt(20)
	v_fmac_f32_e32 v145, v144, v207
	s_waitcnt lgkmcnt(19)
	v_dual_add_f32 v143, v206, v143 :: v_dual_sub_f32 v148, v148, v212
	ds_bpermute_b32 v144, v2, v140 offset:48
	s_waitcnt lgkmcnt(19)
	v_fmac_f32_e32 v145, v205, v209
	v_add_f32_e32 v7, v143, v7
	s_waitcnt lgkmcnt(18)
	v_dual_sub_f32 v143, v150, v214 :: v_dual_mul_f32 v148, v147, v148
	ds_bpermute_b32 v150, v2, v141 offset:52
	v_add_f32_e32 v7, v7, v147
	v_mul_f32_e32 v143, v146, v143
	s_waitcnt lgkmcnt(17)
	v_sub_f32_e32 v147, v152, v216
	s_waitcnt lgkmcnt(14)
	v_dual_sub_f32 v152, v156, v220 :: v_dual_add_f32 v7, v7, v146
	v_dual_sub_f32 v146, v154, v218 :: v_dual_fmac_f32 v145, v148, v211
	ds_bpermute_b32 v148, v2, v140 offset:52
	s_waitcnt lgkmcnt(13)
	v_dual_mul_f32 v147, v151, v147 :: v_dual_sub_f32 v154, v162, v225
	v_dual_add_f32 v7, v7, v151 :: v_dual_mul_f32 v146, v149, v146
	v_fmac_f32_e32 v145, v143, v213
	v_dual_sub_f32 v151, v158, v222 :: v_dual_mul_f32 v152, v155, v152
	s_delay_alu instid0(VALU_DEP_4)
	v_mul_f32_e32 v154, v157, v154
	s_waitcnt lgkmcnt(2)
	v_sub_f32_e32 v144, v167, v144
	v_fmac_f32_e32 v145, v147, v215
	v_mul_f32_e32 v151, v153, v151
	ds_bpermute_b32 v147, v2, v140 offset:56
	ds_bpermute_b32 v143, v2, v141 offset:56
	v_dual_mul_f32 v144, v161, v144 :: v_dual_fmac_f32 v145, v146, v217
	ds_bpermute_b32 v146, v2, v141 offset:60
	s_waitcnt lgkmcnt(3)
	v_dual_fmac_f32 v145, v152, v219 :: v_dual_sub_f32 v148, v170, v148
	v_add_f32_e32 v7, v7, v149
	v_sub_f32_e32 v149, v160, v204
	ds_bpermute_b32 v152, v2, v140 offset:60
	v_dual_fmac_f32 v145, v151, v221 :: v_dual_mul_f32 v148, v168, v148
	v_add_f32_e32 v7, v7, v155
	v_mul_f32_e32 v149, v159, v149
	ds_bpermute_b32 v151, v2, v141 offset:64
	v_add_f32_e32 v7, v7, v153
	v_sub_f32_e32 v153, v164, v208
	v_fmac_f32_e32 v145, v149, v223
	ds_bpermute_b32 v149, v2, v140 offset:64
	s_waitcnt lgkmcnt(5)
	v_sub_f32_e32 v147, v172, v147
	v_mul_f32_e32 v153, v163, v153
	v_fmac_f32_e32 v145, v154, v224
	ds_bpermute_b32 v154, v2, v140 offset:68
	v_mul_f32_e32 v147, v166, v147
	v_fmac_f32_e32 v145, v153, v142
	ds_bpermute_b32 v142, v2, v140 offset:72
	v_fmac_f32_e32 v145, v144, v8
	ds_bpermute_b32 v8, v2, v141 offset:68
	s_waitcnt lgkmcnt(5)
	v_dual_sub_f32 v144, v175, v152 :: v_dual_fmac_f32 v145, v148, v150
	ds_bpermute_b32 v150, v2, v140 offset:76
	ds_bpermute_b32 v148, v2, v141 offset:72
	v_dual_mul_f32 v144, v173, v144 :: v_dual_fmac_f32 v145, v147, v143
	s_waitcnt lgkmcnt(5)
	v_sub_f32_e32 v143, v177, v149
	ds_bpermute_b32 v147, v2, v140 offset:80
	s_waitcnt lgkmcnt(5)
	v_sub_f32_e32 v149, v179, v154
	v_fmac_f32_e32 v145, v144, v146
	v_mul_f32_e32 v143, v171, v143
	ds_bpermute_b32 v144, v2, v141 offset:76
	v_mul_f32_e32 v146, v176, v149
	ds_bpermute_b32 v149, v2, v140 offset:84
	s_waitcnt lgkmcnt(6)
	v_dual_sub_f32 v142, v181, v142 :: v_dual_fmac_f32 v145, v143, v151
	ds_bpermute_b32 v143, v2, v141 offset:80
	v_mul_f32_e32 v142, v174, v142
	s_waitcnt lgkmcnt(5)
	v_dual_fmac_f32 v145, v146, v8 :: v_dual_sub_f32 v8, v183, v150
	ds_bpermute_b32 v146, v2, v140 offset:88
	ds_bpermute_b32 v150, v2, v141 offset:84
	s_waitcnt lgkmcnt(6)
	v_fmac_f32_e32 v145, v142, v148
	v_mul_f32_e32 v8, v180, v8
	ds_bpermute_b32 v142, v2, v140 offset:92
	s_waitcnt lgkmcnt(6)
	v_sub_f32_e32 v147, v185, v147
	ds_bpermute_b32 v148, v2, v140 offset:96
	s_waitcnt lgkmcnt(6)
	v_fmac_f32_e32 v145, v8, v144
	ds_bpermute_b32 v8, v2, v141 offset:88
	s_waitcnt lgkmcnt(6)
	v_dual_mul_f32 v144, v178, v147 :: v_dual_sub_f32 v147, v187, v149
	v_add_f32_e32 v7, v7, v159
	ds_bpermute_b32 v149, v2, v140 offset:104
	s_waitcnt lgkmcnt(6)
	v_fmac_f32_e32 v145, v144, v143
	ds_bpermute_b32 v143, v2, v141 offset:92
	v_mul_f32_e32 v144, v184, v147
	ds_bpermute_b32 v147, v2, v140 offset:100
	s_waitcnt lgkmcnt(7)
	v_dual_sub_f32 v146, v189, v146 :: v_dual_add_f32 v7, v7, v157
	s_waitcnt lgkmcnt(6)
	v_fmac_f32_e32 v145, v144, v150
	ds_bpermute_b32 v144, v2, v141 offset:96
	s_waitcnt lgkmcnt(6)
	v_sub_f32_e32 v142, v190, v142
	v_dual_mul_f32 v146, v182, v146 :: v_dual_add_f32 v7, v7, v163
	ds_bpermute_b32 v150, v2, v141 offset:116
	s_waitcnt lgkmcnt(5)
	v_dual_mul_f32 v142, v188, v142 :: v_dual_fmac_f32 v145, v146, v8
	v_sub_f32_e32 v146, v193, v148
	ds_bpermute_b32 v8, v2, v141 offset:100
	ds_bpermute_b32 v148, v2, v140 offset:108
	s_waitcnt lgkmcnt(5)
	v_fmac_f32_e32 v145, v142, v143
	v_mul_f32_e32 v142, v186, v146
	s_waitcnt lgkmcnt(4)
	v_dual_sub_f32 v146, v194, v147 :: v_dual_add_f32 v7, v7, v161
	ds_bpermute_b32 v143, v2, v141 offset:104
	ds_bpermute_b32 v147, v2, v140 offset:112
	s_waitcnt lgkmcnt(5)
	v_dual_fmac_f32 v145, v142, v144 :: v_dual_mul_f32 v144, v192, v146
	v_sub_f32_e32 v146, v196, v149
	ds_bpermute_b32 v149, v2, v140 offset:116
	v_add_f32_e32 v7, v7, v168
	ds_bpermute_b32 v142, v2, v141 offset:108
	s_waitcnt lgkmcnt(5)
	v_dual_fmac_f32 v145, v144, v8 :: v_dual_mul_f32 v8, v191, v146
	s_waitcnt lgkmcnt(4)
	v_sub_f32_e32 v148, v198, v148
	ds_bpermute_b32 v144, v2, v141 offset:112
	ds_bpermute_b32 v146, v2, v140 offset:120
	s_waitcnt lgkmcnt(5)
	v_dual_fmac_f32 v145, v8, v143 :: v_dual_mul_f32 v8, v197, v148
	s_waitcnt lgkmcnt(4)
	v_sub_f32_e32 v143, v199, v147
	ds_bpermute_b32 v147, v2, v141 offset:120
	s_waitcnt lgkmcnt(4)
	v_dual_sub_f32 v148, v202, v149 :: v_dual_add_f32 v7, v7, v166
	s_waitcnt lgkmcnt(3)
	v_fmac_f32_e32 v145, v8, v142
	v_mul_f32_e32 v143, v195, v143
	ds_bpermute_b32 v8, v2, v141 offset:124
	v_add_f32_e32 v7, v7, v173
	s_waitcnt lgkmcnt(3)
	v_fmac_f32_e32 v145, v143, v144
	s_waitcnt lgkmcnt(2)
	v_sub_f32_e32 v141, v203, v146
	v_add_f32_e32 v7, v7, v171
	s_delay_alu instid0(VALU_DEP_1) | instskip(NEXT) | instid1(VALU_DEP_1)
	v_add_f32_e32 v7, v7, v176
	v_add_f32_e32 v7, v7, v174
	s_delay_alu instid0(VALU_DEP_1) | instskip(NEXT) | instid1(VALU_DEP_1)
	v_add_f32_e32 v7, v7, v180
	v_add_f32_e32 v7, v7, v178
	s_delay_alu instid0(VALU_DEP_1) | instskip(NEXT) | instid1(VALU_DEP_1)
	v_add_f32_e32 v7, v7, v184
	v_add_f32_e32 v7, v7, v182
	s_delay_alu instid0(VALU_DEP_1) | instskip(NEXT) | instid1(VALU_DEP_1)
	v_add_f32_e32 v7, v7, v188
	v_add_f32_e32 v7, v7, v186
	s_delay_alu instid0(VALU_DEP_1) | instskip(NEXT) | instid1(VALU_DEP_1)
	v_add_f32_e32 v7, v7, v192
	v_add_f32_e32 v7, v7, v191
	s_delay_alu instid0(VALU_DEP_1) | instskip(SKIP_2) | instid1(VALU_DEP_1)
	v_add_f32_e32 v142, v7, v197
	ds_bpermute_b32 v7, v2, v140 offset:124
	v_mul_f32_e32 v140, v201, v148
	v_dual_add_f32 v142, v142, v195 :: v_dual_fmac_f32 v145, v140, v150
	v_mul_f32_e32 v140, v200, v141
	s_delay_alu instid0(VALU_DEP_2) | instskip(SKIP_1) | instid1(VALU_DEP_1)
	v_add_f32_e32 v141, v142, v201
	s_waitcnt lgkmcnt(2)
	v_dual_fmac_f32 v145, v140, v147 :: v_dual_add_f32 v140, v141, v200
	s_and_b32 vcc_lo, exec_lo, s4
	s_cbranch_vccnz .LBB61_72
	s_branch .LBB61_139
.LBB61_71:                              ;   in Loop: Header=BB61_3 Depth=1
                                        ; implicit-def: $vgpr8
                                        ; implicit-def: $vgpr165
                                        ; implicit-def: $vgpr169
                                        ; implicit-def: $vgpr7
                                        ; implicit-def: $vgpr140
                                        ; implicit-def: $vgpr145
	s_cbranch_execz .LBB61_139
.LBB61_72:                              ;   in Loop: Header=BB61_3 Depth=1
	s_load_b32 s4, s[12:13], 0x0
	s_waitcnt lgkmcnt(0)
	v_mov_b32_e32 v8, 0
	v_mov_b32_e32 v140, 0
	s_cmp_lt_u32 s14, s4
	s_cselect_b32 s4, 12, 18
	s_delay_alu instid0(SALU_CYCLE_1)
	s_add_u32 s34, s12, s4
	s_addc_u32 s35, s13, 0
	s_mov_b32 s4, exec_lo
	global_load_u16 v7, v2, s[34:35]
	s_waitcnt vmcnt(0)
	v_mad_u32_u24 v7, v9, v7, v11
	s_delay_alu instid0(VALU_DEP_1) | instskip(NEXT) | instid1(VALU_DEP_1)
	v_and_b32_e32 v7, 31, v7
	v_add_co_u32 v5, vcc_lo, v5, v7
	v_add_co_ci_u32_e32 v6, vcc_lo, 0, v6, vcc_lo
	v_mov_b32_e32 v7, 0
	s_delay_alu instid0(VALU_DEP_2)
	v_cmpx_gt_i64_e64 s[16:17], v[5:6]
	s_cbranch_execz .LBB61_74
; %bb.73:                               ;   in Loop: Header=BB61_3 Depth=1
	v_lshlrev_b64 v[5:6], 2, v[5:6]
	s_delay_alu instid0(VALU_DEP_1) | instskip(NEXT) | instid1(VALU_DEP_2)
	v_add_co_u32 v7, vcc_lo, s8, v5
	v_add_co_ci_u32_e32 v8, vcc_lo, s9, v6, vcc_lo
	v_add_co_u32 v5, vcc_lo, s10, v5
	v_add_co_ci_u32_e32 v6, vcc_lo, s11, v6, vcc_lo
	global_load_b32 v7, v[7:8], off
	global_load_b32 v8, v[5:6], off
.LBB61_74:                              ;   in Loop: Header=BB61_3 Depth=1
	s_or_b32 exec_lo, exec_lo, s4
	v_mov_b32_e32 v141, 0
	s_and_saveexec_b32 s4, s3
	s_cbranch_execz .LBB61_76
; %bb.75:                               ;   in Loop: Header=BB61_3 Depth=1
	v_add_co_u32 v5, vcc_lo, v135, v3
	v_add_co_ci_u32_e32 v6, vcc_lo, v136, v4, vcc_lo
	v_add_co_u32 v141, vcc_lo, v137, v3
	v_add_co_ci_u32_e32 v142, vcc_lo, v138, v4, vcc_lo
	global_load_b32 v140, v[5:6], off
	global_load_b32 v141, v[141:142], off
.LBB61_76:                              ;   in Loop: Header=BB61_3 Depth=1
	s_or_b32 exec_lo, exec_lo, s4
	v_dual_mov_b32 v5, 0 :: v_dual_mov_b32 v6, 0
	v_mov_b32_e32 v142, 0
	s_and_saveexec_b32 s4, s3
	s_cbranch_execz .LBB61_78
; %bb.77:                               ;   in Loop: Header=BB61_3 Depth=1
	v_add_co_u32 v142, vcc_lo, v131, v3
	v_add_co_ci_u32_e32 v143, vcc_lo, v132, v4, vcc_lo
	v_add_co_u32 v144, vcc_lo, v133, v3
	v_add_co_ci_u32_e32 v145, vcc_lo, v134, v4, vcc_lo
	global_load_b32 v6, v[142:143], off
	global_load_b32 v142, v[144:145], off
.LBB61_78:                              ;   in Loop: Header=BB61_3 Depth=1
	s_or_b32 exec_lo, exec_lo, s4
	v_mov_b32_e32 v145, 0
	s_and_saveexec_b32 s4, s3
	s_cbranch_execz .LBB61_80
; %bb.79:                               ;   in Loop: Header=BB61_3 Depth=1
	v_add_co_u32 v143, vcc_lo, v127, v3
	v_add_co_ci_u32_e32 v144, vcc_lo, v128, v4, vcc_lo
	v_add_co_u32 v145, vcc_lo, v129, v3
	v_add_co_ci_u32_e32 v146, vcc_lo, v130, v4, vcc_lo
	global_load_b32 v5, v[143:144], off
	global_load_b32 v145, v[145:146], off
.LBB61_80:                              ;   in Loop: Header=BB61_3 Depth=1
	s_or_b32 exec_lo, exec_lo, s4
	v_dual_mov_b32 v143, 0 :: v_dual_mov_b32 v144, 0
	v_mov_b32_e32 v146, 0
	s_and_saveexec_b32 s4, s3
	s_cbranch_execz .LBB61_82
; %bb.81:                               ;   in Loop: Header=BB61_3 Depth=1
	v_add_co_u32 v146, vcc_lo, v123, v3
	v_add_co_ci_u32_e32 v147, vcc_lo, v124, v4, vcc_lo
	v_add_co_u32 v148, vcc_lo, v125, v3
	v_add_co_ci_u32_e32 v149, vcc_lo, v126, v4, vcc_lo
	global_load_b32 v144, v[146:147], off
	global_load_b32 v146, v[148:149], off
.LBB61_82:                              ;   in Loop: Header=BB61_3 Depth=1
	;; [unrolled: 25-line block ×6, first 2 shown]
	s_or_b32 exec_lo, exec_lo, s4
	v_mov_b32_e32 v166, 0
	s_and_saveexec_b32 s4, s3
	s_cbranch_execz .LBB61_100
; %bb.99:                               ;   in Loop: Header=BB61_3 Depth=1
	v_add_co_u32 v163, vcc_lo, v87, v3
	v_add_co_ci_u32_e32 v164, vcc_lo, v88, v4, vcc_lo
	v_add_co_u32 v165, vcc_lo, v89, v3
	v_add_co_ci_u32_e32 v166, vcc_lo, v90, v4, vcc_lo
	global_load_b32 v159, v[163:164], off
	global_load_b32 v166, v[165:166], off
.LBB61_100:                             ;   in Loop: Header=BB61_3 Depth=1
	s_or_b32 exec_lo, exec_lo, s4
	v_dual_mov_b32 v163, 0 :: v_dual_mov_b32 v164, 0
	v_mov_b32_e32 v168, 0
	s_and_saveexec_b32 s4, s3
	s_cbranch_execz .LBB61_102
; %bb.101:                              ;   in Loop: Header=BB61_3 Depth=1
	v_add_co_u32 v164, vcc_lo, v83, v3
	v_add_co_ci_u32_e32 v165, vcc_lo, v84, v4, vcc_lo
	v_add_co_u32 v167, vcc_lo, v85, v3
	v_add_co_ci_u32_e32 v168, vcc_lo, v86, v4, vcc_lo
	global_load_b32 v164, v[164:165], off
	global_load_b32 v168, v[167:168], off
.LBB61_102:                             ;   in Loop: Header=BB61_3 Depth=1
	s_or_b32 exec_lo, exec_lo, s4
	v_mov_b32_e32 v171, 0
	s_and_saveexec_b32 s4, s3
	s_cbranch_execz .LBB61_104
; %bb.103:                              ;   in Loop: Header=BB61_3 Depth=1
	v_add_co_u32 v169, vcc_lo, v79, v3
	v_add_co_ci_u32_e32 v170, vcc_lo, v80, v4, vcc_lo
	v_add_co_u32 v171, vcc_lo, v81, v3
	v_add_co_ci_u32_e32 v172, vcc_lo, v82, v4, vcc_lo
	global_load_b32 v163, v[169:170], off
	global_load_b32 v171, v[171:172], off
.LBB61_104:                             ;   in Loop: Header=BB61_3 Depth=1
	s_or_b32 exec_lo, exec_lo, s4
	v_dual_mov_b32 v167, 0 :: v_dual_mov_b32 v170, 0
	v_mov_b32_e32 v174, 0
	s_and_saveexec_b32 s4, s3
	s_cbranch_execz .LBB61_106
; %bb.105:                              ;   in Loop: Header=BB61_3 Depth=1
	v_add_co_u32 v169, vcc_lo, v75, v3
	v_add_co_ci_u32_e32 v170, vcc_lo, v76, v4, vcc_lo
	v_add_co_u32 v172, vcc_lo, v77, v3
	v_add_co_ci_u32_e32 v173, vcc_lo, v78, v4, vcc_lo
	global_load_b32 v170, v[169:170], off
	global_load_b32 v174, v[172:173], off
.LBB61_106:                             ;   in Loop: Header=BB61_3 Depth=1
	s_or_b32 exec_lo, exec_lo, s4
	v_mov_b32_e32 v175, 0
	s_and_saveexec_b32 s4, s3
	s_cbranch_execz .LBB61_108
; %bb.107:                              ;   in Loop: Header=BB61_3 Depth=1
	v_add_co_u32 v172, vcc_lo, v71, v3
	v_add_co_ci_u32_e32 v173, vcc_lo, v72, v4, vcc_lo
	v_add_co_u32 v175, vcc_lo, v73, v3
	v_add_co_ci_u32_e32 v176, vcc_lo, v74, v4, vcc_lo
	global_load_b32 v167, v[172:173], off
	global_load_b32 v175, v[175:176], off
.LBB61_108:                             ;   in Loop: Header=BB61_3 Depth=1
	;; [unrolled: 25-line block ×6, first 2 shown]
	s_or_b32 exec_lo, exec_lo, s4
	v_mov_b32_e32 v187, 0
	v_mov_b32_e32 v189, 0
	;; [unrolled: 1-line block ×3, first 2 shown]
	s_and_saveexec_b32 s4, s3
	s_cbranch_execz .LBB61_126
; %bb.125:                              ;   in Loop: Header=BB61_3 Depth=1
	v_add_co_u32 v192, vcc_lo, v36, v3
	v_add_co_ci_u32_e32 v193, vcc_lo, v37, v4, vcc_lo
	v_add_co_u32 v194, vcc_lo, v38, v3
	v_add_co_ci_u32_e32 v195, vcc_lo, v39, v4, vcc_lo
	global_load_b32 v189, v[192:193], off
	global_load_b32 v193, v[194:195], off
.LBB61_126:                             ;   in Loop: Header=BB61_3 Depth=1
	s_or_b32 exec_lo, exec_lo, s4
	v_mov_b32_e32 v195, 0
	s_and_saveexec_b32 s4, s3
	s_cbranch_execz .LBB61_128
; %bb.127:                              ;   in Loop: Header=BB61_3 Depth=1
	v_add_co_u32 v194, vcc_lo, v32, v3
	v_add_co_ci_u32_e32 v195, vcc_lo, v33, v4, vcc_lo
	v_add_co_u32 v196, vcc_lo, v34, v3
	v_add_co_ci_u32_e32 v197, vcc_lo, v35, v4, vcc_lo
	global_load_b32 v187, v[194:195], off
	global_load_b32 v195, v[196:197], off
.LBB61_128:                             ;   in Loop: Header=BB61_3 Depth=1
	s_or_b32 exec_lo, exec_lo, s4
	v_mov_b32_e32 v192, 0
	v_mov_b32_e32 v194, 0
	;; [unrolled: 1-line block ×3, first 2 shown]
	s_and_saveexec_b32 s4, s3
	s_cbranch_execz .LBB61_130
; %bb.129:                              ;   in Loop: Header=BB61_3 Depth=1
	v_add_co_u32 v196, vcc_lo, v28, v3
	v_add_co_ci_u32_e32 v197, vcc_lo, v29, v4, vcc_lo
	v_add_co_u32 v198, vcc_lo, v30, v3
	v_add_co_ci_u32_e32 v199, vcc_lo, v31, v4, vcc_lo
	global_load_b32 v194, v[196:197], off
	global_load_b32 v196, v[198:199], off
.LBB61_130:                             ;   in Loop: Header=BB61_3 Depth=1
	s_or_b32 exec_lo, exec_lo, s4
	v_mov_b32_e32 v197, 0
	s_and_saveexec_b32 s4, s3
	s_cbranch_execz .LBB61_132
; %bb.131:                              ;   in Loop: Header=BB61_3 Depth=1
	v_add_co_u32 v197, vcc_lo, v24, v3
	v_add_co_ci_u32_e32 v198, vcc_lo, v25, v4, vcc_lo
	v_add_co_u32 v199, vcc_lo, v26, v3
	v_add_co_ci_u32_e32 v200, vcc_lo, v27, v4, vcc_lo
	global_load_b32 v192, v[197:198], off
	global_load_b32 v197, v[199:200], off
.LBB61_132:                             ;   in Loop: Header=BB61_3 Depth=1
	s_or_b32 exec_lo, exec_lo, s4
	v_dual_mov_b32 v198, 0 :: v_dual_mov_b32 v199, 0
	v_mov_b32_e32 v200, 0
	s_and_saveexec_b32 s4, s3
	s_cbranch_execz .LBB61_134
; %bb.133:                              ;   in Loop: Header=BB61_3 Depth=1
	v_add_co_u32 v199, vcc_lo, v20, v3
	v_add_co_ci_u32_e32 v200, vcc_lo, v21, v4, vcc_lo
	v_add_co_u32 v201, vcc_lo, v22, v3
	v_add_co_ci_u32_e32 v202, vcc_lo, v23, v4, vcc_lo
	global_load_b32 v199, v[199:200], off
	global_load_b32 v200, v[201:202], off
.LBB61_134:                             ;   in Loop: Header=BB61_3 Depth=1
	s_or_b32 exec_lo, exec_lo, s4
	v_mov_b32_e32 v201, 0
	s_and_saveexec_b32 s4, s3
	s_cbranch_execz .LBB61_136
; %bb.135:                              ;   in Loop: Header=BB61_3 Depth=1
	v_add_co_u32 v201, vcc_lo, v16, v3
	v_add_co_ci_u32_e32 v202, vcc_lo, v17, v4, vcc_lo
	v_add_co_u32 v203, vcc_lo, v18, v3
	v_add_co_ci_u32_e32 v204, vcc_lo, v19, v4, vcc_lo
	global_load_b32 v198, v[201:202], off
	global_load_b32 v201, v[203:204], off
.LBB61_136:                             ;   in Loop: Header=BB61_3 Depth=1
	s_or_b32 exec_lo, exec_lo, s4
	v_mov_b32_e32 v165, 0
	v_mov_b32_e32 v169, 0
	s_and_saveexec_b32 s4, s3
	s_cbranch_execz .LBB61_138
; %bb.137:                              ;   in Loop: Header=BB61_3 Depth=1
	v_add_co_u32 v202, vcc_lo, v1, v3
	v_add_co_ci_u32_e32 v203, vcc_lo, v13, v4, vcc_lo
	v_add_co_u32 v204, vcc_lo, v14, v3
	v_add_co_ci_u32_e32 v205, vcc_lo, v15, v4, vcc_lo
	global_load_b32 v165, v[202:203], off
	global_load_b32 v169, v[204:205], off
.LBB61_138:                             ;   in Loop: Header=BB61_3 Depth=1
	s_or_b32 exec_lo, exec_lo, s4
	s_waitcnt vmcnt(1)
	ds_bpermute_b32 v202, v2, v7
	ds_bpermute_b32 v206, v2, v7 offset:4
	ds_bpermute_b32 v208, v2, v7 offset:8
	;; [unrolled: 1-line block ×3, first 2 shown]
	s_waitcnt vmcnt(0)
	ds_bpermute_b32 v203, v2, v8
	ds_bpermute_b32 v205, v2, v8 offset:4
	v_add_f32_e32 v204, v227, v140
	ds_bpermute_b32 v207, v2, v8 offset:8
	ds_bpermute_b32 v212, v2, v7 offset:16
	;; [unrolled: 1-line block ×13, first 2 shown]
	s_waitcnt lgkmcnt(18)
	v_sub_f32_e32 v141, v141, v202
	s_waitcnt lgkmcnt(16)
	v_dual_sub_f32 v142, v142, v206 :: v_dual_sub_f32 v145, v145, v208
	s_waitcnt lgkmcnt(15)
	v_sub_f32_e32 v146, v146, v210
	ds_bpermute_b32 v202, v2, v7 offset:36
	ds_bpermute_b32 v221, v2, v8 offset:36
	;; [unrolled: 1-line block ×3, first 2 shown]
	v_mul_f32_e32 v145, v5, v145
	v_mul_f32_e32 v140, v140, v141
	;; [unrolled: 1-line block ×3, first 2 shown]
	ds_bpermute_b32 v206, v2, v7 offset:44
	ds_bpermute_b32 v141, v2, v8 offset:44
	s_waitcnt lgkmcnt(19)
	v_fmac_f32_e32 v139, v140, v203
	v_add_f32_e32 v6, v204, v6
	ds_bpermute_b32 v140, v2, v8 offset:48
	s_waitcnt lgkmcnt(19)
	v_fmac_f32_e32 v139, v142, v205
	s_waitcnt lgkmcnt(17)
	v_dual_add_f32 v5, v6, v5 :: v_dual_sub_f32 v6, v149, v212
	v_mul_f32_e32 v146, v144, v146
	ds_bpermute_b32 v142, v2, v7 offset:48
	v_fmac_f32_e32 v139, v145, v207
	s_waitcnt lgkmcnt(16)
	v_dual_add_f32 v5, v5, v144 :: v_dual_sub_f32 v144, v150, v214
	v_mul_f32_e32 v6, v143, v6
	s_waitcnt lgkmcnt(13)
	v_sub_f32_e32 v149, v154, v218
	v_fmac_f32_e32 v139, v146, v209
	ds_bpermute_b32 v146, v2, v7 offset:52
	v_dual_add_f32 v5, v5, v143 :: v_dual_mul_f32 v144, v148, v144
	s_waitcnt lgkmcnt(11)
	v_sub_f32_e32 v150, v161, v223
	v_fmac_f32_e32 v139, v6, v211
	v_sub_f32_e32 v143, v153, v216
	v_add_f32_e32 v5, v5, v148
	v_dual_sub_f32 v148, v157, v220 :: v_dual_mul_f32 v149, v152, v149
	s_delay_alu instid0(VALU_DEP_4)
	v_fmac_f32_e32 v139, v144, v213
	ds_bpermute_b32 v144, v2, v7 offset:56
	v_mul_f32_e32 v150, v155, v150
	v_mul_f32_e32 v148, v151, v148
	s_waitcnt lgkmcnt(2)
	v_dual_mul_f32 v143, v147, v143 :: v_dual_sub_f32 v142, v166, v142
	v_add_f32_e32 v5, v5, v147
	v_sub_f32_e32 v147, v158, v202
	ds_bpermute_b32 v145, v2, v8 offset:52
	ds_bpermute_b32 v6, v2, v8 offset:56
	v_mul_f32_e32 v142, v159, v142
	s_waitcnt lgkmcnt(3)
	v_dual_sub_f32 v146, v168, v146 :: v_dual_fmac_f32 v139, v143, v215
	ds_bpermute_b32 v143, v2, v8 offset:60
	v_mul_f32_e32 v146, v164, v146
	s_waitcnt lgkmcnt(3)
	v_dual_sub_f32 v144, v171, v144 :: v_dual_fmac_f32 v139, v149, v217
	v_mul_f32_e32 v147, v156, v147
	ds_bpermute_b32 v149, v2, v7 offset:60
	v_add_f32_e32 v5, v5, v152
	v_dual_mul_f32 v144, v163, v144 :: v_dual_fmac_f32 v139, v148, v219
	ds_bpermute_b32 v148, v2, v8 offset:64
	v_fmac_f32_e32 v139, v147, v221
	ds_bpermute_b32 v147, v2, v7 offset:64
	v_fmac_f32_e32 v139, v150, v222
	ds_bpermute_b32 v150, v2, v7 offset:68
	v_add_f32_e32 v5, v5, v151
	v_sub_f32_e32 v151, v162, v206
	s_delay_alu instid0(VALU_DEP_1) | instskip(NEXT) | instid1(VALU_DEP_1)
	v_mul_f32_e32 v151, v160, v151
	v_fmac_f32_e32 v139, v151, v141
	ds_bpermute_b32 v141, v2, v7 offset:72
	v_fmac_f32_e32 v139, v142, v140
	ds_bpermute_b32 v140, v2, v8 offset:68
	s_waitcnt lgkmcnt(5)
	v_sub_f32_e32 v142, v174, v149
	v_fmac_f32_e32 v139, v146, v145
	ds_bpermute_b32 v146, v2, v7 offset:76
	ds_bpermute_b32 v145, v2, v8 offset:72
	v_mul_f32_e32 v142, v170, v142
	s_waitcnt lgkmcnt(5)
	v_dual_fmac_f32 v139, v144, v6 :: v_dual_sub_f32 v6, v175, v147
	ds_bpermute_b32 v147, v2, v7 offset:80
	s_waitcnt lgkmcnt(5)
	v_dual_sub_f32 v144, v178, v150 :: v_dual_add_f32 v5, v5, v156
	v_dual_fmac_f32 v139, v142, v143 :: v_dual_mul_f32 v6, v167, v6
	ds_bpermute_b32 v143, v2, v8 offset:76
	s_waitcnt lgkmcnt(5)
	v_dual_mul_f32 v142, v173, v144 :: v_dual_sub_f32 v141, v180, v141
	ds_bpermute_b32 v144, v2, v7 offset:84
	v_fmac_f32_e32 v139, v6, v148
	ds_bpermute_b32 v6, v2, v8 offset:80
	v_mul_f32_e32 v141, v172, v141
	s_waitcnt lgkmcnt(6)
	v_fmac_f32_e32 v139, v142, v140
	ds_bpermute_b32 v140, v2, v7 offset:88
	s_waitcnt lgkmcnt(6)
	v_sub_f32_e32 v142, v182, v146
	ds_bpermute_b32 v146, v2, v8 offset:84
	v_add_f32_e32 v5, v5, v155
	s_waitcnt lgkmcnt(6)
	v_fmac_f32_e32 v139, v141, v145
	s_waitcnt lgkmcnt(5)
	v_sub_f32_e32 v145, v184, v147
	v_mul_f32_e32 v141, v177, v142
	ds_bpermute_b32 v142, v2, v7 offset:92
	s_waitcnt lgkmcnt(5)
	v_fmac_f32_e32 v139, v141, v143
	ds_bpermute_b32 v141, v2, v8 offset:88
	v_mul_f32_e32 v143, v176, v145
	ds_bpermute_b32 v145, v2, v7 offset:96
	s_waitcnt lgkmcnt(5)
	v_dual_sub_f32 v144, v186, v144 :: v_dual_fmac_f32 v139, v143, v6
	ds_bpermute_b32 v6, v2, v8 offset:92
	s_waitcnt lgkmcnt(5)
	v_sub_f32_e32 v140, v188, v140
	v_mul_f32_e32 v143, v181, v144
	ds_bpermute_b32 v144, v2, v7 offset:100
	v_add_f32_e32 v5, v5, v160
	v_mul_f32_e32 v140, v179, v140
	s_waitcnt lgkmcnt(5)
	v_fmac_f32_e32 v139, v143, v146
	s_waitcnt lgkmcnt(4)
	v_sub_f32_e32 v142, v190, v142
	ds_bpermute_b32 v143, v2, v8 offset:96
	ds_bpermute_b32 v146, v2, v7 offset:104
	v_add_f32_e32 v5, v5, v159
	s_waitcnt lgkmcnt(5)
	v_fmac_f32_e32 v139, v140, v141
	ds_bpermute_b32 v140, v2, v8 offset:100
	s_waitcnt lgkmcnt(5)
	v_dual_mul_f32 v141, v185, v142 :: v_dual_sub_f32 v142, v191, v145
	ds_bpermute_b32 v145, v2, v7 offset:108
	s_waitcnt lgkmcnt(5)
	v_fmac_f32_e32 v139, v141, v6
	ds_bpermute_b32 v141, v2, v8 offset:104
	v_mul_f32_e32 v6, v183, v142
	s_waitcnt lgkmcnt(5)
	v_sub_f32_e32 v142, v193, v144
	ds_bpermute_b32 v144, v2, v7 offset:112
	s_waitcnt lgkmcnt(5)
	v_dual_fmac_f32 v139, v6, v143 :: v_dual_mul_f32 v6, v189, v142
	ds_bpermute_b32 v142, v2, v8 offset:108
	s_waitcnt lgkmcnt(5)
	v_sub_f32_e32 v143, v195, v146
	ds_bpermute_b32 v146, v2, v7 offset:116
	v_add_f32_e32 v5, v5, v164
	s_waitcnt lgkmcnt(5)
	v_fmac_f32_e32 v139, v6, v140
	ds_bpermute_b32 v140, v2, v8 offset:112
	s_waitcnt lgkmcnt(5)
	v_dual_mul_f32 v6, v187, v143 :: v_dual_sub_f32 v143, v196, v145
	ds_bpermute_b32 v145, v2, v7 offset:120
	ds_bpermute_b32 v7, v2, v7 offset:124
	s_waitcnt lgkmcnt(6)
	v_fmac_f32_e32 v139, v6, v141
	ds_bpermute_b32 v141, v2, v8 offset:116
	s_waitcnt lgkmcnt(6)
	v_dual_mul_f32 v6, v194, v143 :: v_dual_sub_f32 v143, v197, v144
	s_waitcnt lgkmcnt(5)
	s_delay_alu instid0(VALU_DEP_1)
	v_dual_fmac_f32 v139, v6, v142 :: v_dual_mul_f32 v142, v192, v143
	s_waitcnt lgkmcnt(4)
	v_sub_f32_e32 v143, v200, v146
	ds_bpermute_b32 v6, v2, v8 offset:120
	ds_bpermute_b32 v8, v2, v8 offset:124
	s_waitcnt lgkmcnt(5)
	v_dual_fmac_f32 v139, v142, v140 :: v_dual_mul_f32 v140, v199, v143
	s_waitcnt lgkmcnt(4)
	v_sub_f32_e32 v142, v201, v145
	v_add_f32_e32 v5, v5, v163
	s_waitcnt lgkmcnt(2)
	s_delay_alu instid0(VALU_DEP_2) | instskip(NEXT) | instid1(VALU_DEP_2)
	v_dual_fmac_f32 v139, v140, v141 :: v_dual_mul_f32 v140, v198, v142
	v_add_f32_e32 v5, v5, v170
	s_delay_alu instid0(VALU_DEP_1) | instskip(SKIP_1) | instid1(VALU_DEP_3)
	v_add_f32_e32 v5, v5, v167
	s_waitcnt lgkmcnt(1)
	v_fmac_f32_e32 v139, v140, v6
	s_delay_alu instid0(VALU_DEP_2) | instskip(NEXT) | instid1(VALU_DEP_2)
	v_add_f32_e32 v5, v5, v173
	v_mov_b32_e32 v145, v139
	s_delay_alu instid0(VALU_DEP_2) | instskip(NEXT) | instid1(VALU_DEP_1)
	v_add_f32_e32 v5, v5, v172
	v_add_f32_e32 v5, v5, v177
	s_delay_alu instid0(VALU_DEP_1) | instskip(NEXT) | instid1(VALU_DEP_1)
	v_add_f32_e32 v5, v5, v176
	v_add_f32_e32 v5, v5, v181
	s_delay_alu instid0(VALU_DEP_1) | instskip(NEXT) | instid1(VALU_DEP_1)
	;; [unrolled: 3-line block ×5, first 2 shown]
	v_add_f32_e32 v5, v5, v192
	v_add_f32_e32 v5, v5, v199
	s_delay_alu instid0(VALU_DEP_1)
	v_add_f32_e32 v140, v5, v198
.LBB61_139:                             ;   in Loop: Header=BB61_3 Depth=1
	v_add_co_u32 v1, vcc_lo, v1, s26
	v_add_co_ci_u32_e32 v13, vcc_lo, s27, v13, vcc_lo
	v_add_co_u32 v14, vcc_lo, v14, s26
	v_add_co_ci_u32_e32 v15, vcc_lo, s27, v15, vcc_lo
	;; [unrolled: 2-line block ×61, first 2 shown]
	v_add_co_u32 v133, vcc_lo, v133, s26
	s_waitcnt lgkmcnt(0)
	v_sub_f32_e32 v5, v169, v7
	v_add_co_ci_u32_e32 v134, vcc_lo, s27, v134, vcc_lo
	v_add_co_u32 v135, vcc_lo, v135, s26
	s_add_u32 s28, s28, s31
	v_add_co_ci_u32_e32 v136, vcc_lo, s27, v136, vcc_lo
	v_mul_f32_e32 v5, v165, v5
	s_addc_u32 s29, s29, 0
	v_add_co_u32 v137, vcc_lo, v137, s26
	v_add_co_ci_u32_e32 v138, vcc_lo, s27, v138, vcc_lo
	v_cmp_lt_i64_e64 s4, s[28:29], s[16:17]
	v_add_co_u32 v10, vcc_lo, v10, s31
	v_add_f32_e32 v227, v140, v165
	v_fmac_f32_e32 v145, v5, v8
	v_add_co_ci_u32_e32 v12, vcc_lo, 0, v12, vcc_lo
	s_add_u32 s24, s24, s31
	s_addc_u32 s25, s25, 0
	s_and_b32 vcc_lo, exec_lo, s4
	s_cbranch_vccz .LBB61_142
; %bb.140:                              ;   in Loop: Header=BB61_3 Depth=1
	v_mov_b32_e32 v139, v145
	s_branch .LBB61_3
.LBB61_141:
	s_mov_b32 s5, -1
                                        ; implicit-def: $vgpr227
                                        ; implicit-def: $vgpr145
.LBB61_142:
	s_delay_alu instid0(SALU_CYCLE_1)
	s_and_not1_b32 vcc_lo, exec_lo, s5
	s_cbranch_vccnz .LBB61_220
; %bb.143:
	v_mov_b32_e32 v227, 0
	v_mov_b32_e32 v145, 0
	s_and_not1_b32 vcc_lo, exec_lo, s30
	s_cbranch_vccnz .LBB61_220
; %bb.144:
	v_bfe_u32 v7, v226, 10, 10
	s_add_u32 s4, s0, 64
	s_addc_u32 s5, s1, 0
	s_lshl_b64 s[12:13], s[6:7], 2
	s_delay_alu instid0(VALU_DEP_1) | instskip(SKIP_3) | instid1(VALU_DEP_1)
	v_lshlrev_b32_e32 v0, 7, v7
	v_lshlrev_b32_e32 v180, 5, v7
	scratch_store_b32 off, v7, off offset:304 ; 4-byte Folded Spill
	v_add_co_u32 v121, s3, v0, s12
	v_add_co_ci_u32_e64 v122, null, 0, s13, s3
	s_delay_alu instid0(VALU_DEP_2) | instskip(NEXT) | instid1(VALU_DEP_2)
	v_add_co_u32 v11, vcc_lo, v121, 4
	v_add_co_ci_u32_e32 v0, vcc_lo, 0, v122, vcc_lo
	v_add_co_u32 v15, vcc_lo, v121, 8
	v_add_co_ci_u32_e32 v5, vcc_lo, 0, v122, vcc_lo
	v_add_co_u32 v19, vcc_lo, v121, 12
	s_delay_alu instid0(VALU_DEP_4) | instskip(SKIP_3) | instid1(VALU_DEP_3)
	v_mul_lo_u32 v18, s18, v0
	v_add_co_ci_u32_e32 v0, vcc_lo, 0, v122, vcc_lo
	v_add_co_u32 v24, vcc_lo, v121, 16
	v_add_co_ci_u32_e32 v9, vcc_lo, 0, v122, vcc_lo
	v_mul_lo_u32 v22, s18, v0
	v_add_co_u32 v0, s3, v180, s6
	s_delay_alu instid0(VALU_DEP_1) | instskip(SKIP_1) | instid1(VALU_DEP_3)
	v_add_co_ci_u32_e64 v133, null, 0, 0, s3
	v_add_co_u32 v25, vcc_lo, v121, 20
	v_mul_lo_u32 v14, s19, v0
	s_delay_alu instid0(VALU_DEP_3)
	v_mul_lo_u32 v16, s18, v133
	v_mad_u64_u32 v[136:137], null, s18, v0, 0
	v_mad_u64_u32 v[1:2], null, s18, v11, s[20:21]
	v_mul_lo_u32 v17, s19, v11
	v_add_co_ci_u32_e32 v13, vcc_lo, 0, v122, vcc_lo
	v_mul_lo_u32 v26, s18, v9
	v_mad_u64_u32 v[9:10], null, s18, v11, s[22:23]
	v_mad_u64_u32 v[3:4], null, s18, v15, s[20:21]
	v_mul_lo_u32 v20, s18, v5
	v_mul_lo_u32 v21, s19, v15
	v_mad_u64_u32 v[5:6], null, s18, v19, s[20:21]
	v_mul_lo_u32 v23, s19, v19
	v_mul_lo_u32 v28, s18, v13
	v_add3_u32 v137, v137, v16, v14
	v_mad_u64_u32 v[13:14], null, s18, v15, s[22:23]
	v_mad_u64_u32 v[15:16], null, s18, v19, s[22:23]
	v_add3_u32 v2, v17, v2, v18
	v_mad_u64_u32 v[7:8], null, s18, v24, s[20:21]
	v_mul_lo_u32 v27, s19, v24
	v_add3_u32 v10, v17, v10, v18
	v_mad_u64_u32 v[17:18], null, s18, v24, s[22:23]
	v_add_co_u32 v30, vcc_lo, v121, 24
	v_add3_u32 v4, v21, v4, v20
	v_add3_u32 v6, v23, v6, v22
	v_mad_u64_u32 v[11:12], null, s18, v25, s[20:21]
	v_mul_lo_u32 v29, s19, v25
	v_add_co_ci_u32_e32 v31, vcc_lo, 0, v122, vcc_lo
	v_add3_u32 v14, v21, v14, v20
	v_add3_u32 v16, v23, v16, v22
	v_mad_u64_u32 v[21:22], null, s18, v25, s[22:23]
	v_mad_u64_u32 v[19:20], null, s18, v30, s[20:21]
	v_mul_lo_u32 v32, s19, v30
	v_mad_u64_u32 v[23:24], null, s18, v30, s[22:23]
	v_add_co_u32 v30, vcc_lo, v121, 28
	v_add3_u32 v8, v27, v8, v26
	v_add3_u32 v18, v27, v18, v26
	v_add_co_ci_u32_e32 v27, vcc_lo, 0, v122, vcc_lo
	v_mul_lo_u32 v31, s18, v31
	v_add3_u32 v12, v29, v12, v28
	v_add3_u32 v22, v29, v22, v28
	v_mad_u64_u32 v[25:26], null, s18, v30, s[20:21]
	v_mul_lo_u32 v29, s18, v27
	v_mul_lo_u32 v33, s19, v30
	v_mad_u64_u32 v[27:28], null, s18, v30, s[22:23]
	v_add_co_u32 v34, vcc_lo, v121, 32
	v_add_co_ci_u32_e32 v30, vcc_lo, 0, v122, vcc_lo
	v_add3_u32 v20, v32, v20, v31
	v_add3_u32 v24, v32, v24, v31
	;; [unrolled: 1-line block ×4, first 2 shown]
	v_mul_lo_u32 v33, s18, v30
	v_mul_lo_u32 v35, s19, v34
	v_mad_u64_u32 v[29:30], null, s18, v34, s[20:21]
	v_mad_u64_u32 v[31:32], null, s18, v34, s[22:23]
	v_add_co_u32 v37, vcc_lo, v121, 36
	v_lshlrev_b64 v[138:139], 2, v[136:137]
	s_load_b32 s3, s[0:1], 0x44
	s_delay_alu instid0(VALU_DEP_4) | instskip(NEXT) | instid1(VALU_DEP_3)
	v_add3_u32 v30, v35, v30, v33
	v_mul_lo_u32 v39, s19, v37
	v_add3_u32 v32, v35, v32, v33
	v_add_co_ci_u32_e32 v33, vcc_lo, 0, v122, vcc_lo
	v_mad_u64_u32 v[35:36], null, s18, v37, s[22:23]
	v_add_co_u32 v41, vcc_lo, v121, 40
	s_delay_alu instid0(VALU_DEP_3) | instskip(SKIP_2) | instid1(VALU_DEP_4)
	v_mul_lo_u32 v38, s18, v33
	v_mad_u64_u32 v[33:34], null, s18, v37, s[20:21]
	v_add_co_ci_u32_e32 v37, vcc_lo, 0, v122, vcc_lo
	v_mul_lo_u32 v43, s19, v41
	v_add_co_u32 v45, vcc_lo, v121, 44
	v_add3_u32 v36, v39, v36, v38
	v_add3_u32 v34, v39, v34, v38
	v_mul_lo_u32 v42, s18, v37
	v_mad_u64_u32 v[37:38], null, s18, v41, s[20:21]
	v_mad_u64_u32 v[39:40], null, s18, v41, s[22:23]
	v_add_co_ci_u32_e32 v41, vcc_lo, 0, v122, vcc_lo
	v_mul_lo_u32 v47, s19, v45
	v_add_co_u32 v49, vcc_lo, v121, 48
	v_add3_u32 v38, v43, v38, v42
	v_add3_u32 v40, v43, v40, v42
	v_mul_lo_u32 v46, s18, v41
	v_mad_u64_u32 v[41:42], null, s18, v45, s[20:21]
	;; [unrolled: 8-line block ×20, first 2 shown]
	v_mad_u64_u32 v[115:116], null, s18, v117, s[22:23]
	v_add_co_ci_u32_e32 v117, vcc_lo, 0, v122, vcc_lo
	v_mul_lo_u32 v125, s19, v123
	s_waitcnt lgkmcnt(0)
	s_lshl_b32 s3, s3, 5
	s_delay_alu instid0(VALU_DEP_4)
	v_add3_u32 v114, v119, v114, v118
	v_mul_lo_u32 v124, s18, v117
	v_add3_u32 v116, v119, v116, v118
	v_mad_u64_u32 v[117:118], null, s18, v123, s[20:21]
	v_mad_u64_u32 v[119:120], null, s18, v123, s[22:23]
	s_mul_i32 s12, s19, s3
	s_mul_hi_u32 s13, s18, s3
	s_delay_alu instid0(SALU_CYCLE_1) | instskip(NEXT) | instid1(VALU_DEP_2)
	s_add_i32 s13, s13, s12
	v_add3_u32 v118, v125, v118, v124
	s_mul_i32 s12, s18, s3
	s_delay_alu instid0(VALU_DEP_2) | instskip(SKIP_3) | instid1(VALU_DEP_2)
	v_add3_u32 v120, v125, v120, v124
	v_add_co_u32 v125, vcc_lo, 0x7c, v121
	v_add_co_ci_u32_e32 v121, vcc_lo, 0, v122, vcc_lo
	s_lshl_b64 s[12:13], s[12:13], 2
	v_mul_lo_u32 v127, s19, v125
	v_mad_u64_u32 v[123:124], null, s18, v125, s[22:23]
	s_delay_alu instid0(VALU_DEP_3) | instskip(SKIP_2) | instid1(VALU_DEP_3)
	v_mul_lo_u32 v126, s18, v121
	v_mad_u64_u32 v[121:122], null, s18, v125, s[20:21]
	v_add_co_u32 v125, vcc_lo, v0, 31
	v_add3_u32 v124, v127, v124, v126
	s_delay_alu instid0(VALU_DEP_3) | instskip(SKIP_1) | instid1(VALU_DEP_4)
	v_add3_u32 v122, v127, v122, v126
	v_add_co_ci_u32_e32 v126, vcc_lo, 0, v133, vcc_lo
	v_mul_lo_u32 v127, s19, v125
	v_mad_u64_u32 v[178:179], null, s18, v125, 0
	s_delay_alu instid0(VALU_DEP_3) | instskip(SKIP_1) | instid1(VALU_DEP_1)
	v_mul_lo_u32 v126, s18, v126
	v_add_co_u32 v125, vcc_lo, v0, 30
	v_mad_u64_u32 v[129:130], null, s18, v125, 0
	s_delay_alu instid0(VALU_DEP_3) | instskip(SKIP_3) | instid1(VALU_DEP_3)
	v_add3_u32 v179, v179, v126, v127
	v_add_co_ci_u32_e32 v126, vcc_lo, 0, v133, vcc_lo
	v_mul_lo_u32 v127, s19, v125
	v_add_co_u32 v125, vcc_lo, v0, 29
	v_mul_lo_u32 v126, s18, v126
	v_lshlrev_b64 v[178:179], 2, v[178:179]
	s_delay_alu instid0(VALU_DEP_3) | instskip(NEXT) | instid1(VALU_DEP_3)
	v_mad_u64_u32 v[131:132], null, s18, v125, 0
	v_add3_u32 v130, v130, v126, v127
	v_add_co_ci_u32_e32 v126, vcc_lo, 0, v133, vcc_lo
	v_mul_lo_u32 v127, s19, v125
	v_add_co_u32 v125, vcc_lo, v0, 28
	s_delay_alu instid0(VALU_DEP_3) | instskip(SKIP_1) | instid1(VALU_DEP_3)
	v_mul_lo_u32 v126, s18, v126
	v_lshlrev_b64 v[129:130], 2, v[129:130]
	v_mad_u64_u32 v[134:135], null, s18, v125, 0
	s_delay_alu instid0(VALU_DEP_3) | instskip(SKIP_3) | instid1(VALU_DEP_3)
	v_add3_u32 v132, v132, v126, v127
	v_add_co_ci_u32_e32 v126, vcc_lo, 0, v133, vcc_lo
	v_mul_lo_u32 v127, s19, v125
	v_add_co_u32 v125, vcc_lo, v0, 27
	v_mul_lo_u32 v126, s18, v126
	s_delay_alu instid0(VALU_DEP_2) | instskip(NEXT) | instid1(VALU_DEP_2)
	v_mad_u64_u32 v[140:141], null, s18, v125, 0
	v_add3_u32 v135, v135, v126, v127
	v_add_co_ci_u32_e32 v126, vcc_lo, 0, v133, vcc_lo
	v_mul_lo_u32 v127, s19, v125
	v_add_co_u32 v125, vcc_lo, v0, 26
	s_delay_alu instid0(VALU_DEP_3) | instskip(NEXT) | instid1(VALU_DEP_2)
	v_mul_lo_u32 v126, s18, v126
	v_mad_u64_u32 v[142:143], null, s18, v125, 0
	s_delay_alu instid0(VALU_DEP_2) | instskip(SKIP_3) | instid1(VALU_DEP_3)
	v_add3_u32 v141, v141, v126, v127
	v_add_co_ci_u32_e32 v126, vcc_lo, 0, v133, vcc_lo
	v_mul_lo_u32 v127, s19, v125
	v_add_co_u32 v125, vcc_lo, v0, 25
	v_mul_lo_u32 v126, s18, v126
	s_delay_alu instid0(VALU_DEP_2) | instskip(NEXT) | instid1(VALU_DEP_2)
	v_mad_u64_u32 v[144:145], null, s18, v125, 0
	v_add3_u32 v143, v143, v126, v127
	v_add_co_ci_u32_e32 v126, vcc_lo, 0, v133, vcc_lo
	v_mul_lo_u32 v127, s19, v125
	v_add_co_u32 v125, vcc_lo, v0, 24
	s_delay_alu instid0(VALU_DEP_3) | instskip(NEXT) | instid1(VALU_DEP_2)
	v_mul_lo_u32 v126, s18, v126
	v_mad_u64_u32 v[146:147], null, s18, v125, 0
	s_delay_alu instid0(VALU_DEP_2) | instskip(SKIP_3) | instid1(VALU_DEP_3)
	;; [unrolled: 15-line block ×12, first 2 shown]
	v_add3_u32 v245, v245, v126, v127
	v_add_co_ci_u32_e32 v126, vcc_lo, 0, v133, vcc_lo
	v_mul_lo_u32 v127, s19, v125
	v_add_co_u32 v125, vcc_lo, v0, 3
	v_mul_lo_u32 v126, s18, v126
	s_delay_alu instid0(VALU_DEP_2) | instskip(NEXT) | instid1(VALU_DEP_2)
	v_mad_u64_u32 v[252:253], null, s18, v125, 0
	v_add3_u32 v249, v249, v126, v127
	v_add_co_ci_u32_e32 v126, vcc_lo, 0, v133, vcc_lo
	v_mul_lo_u32 v127, s19, v125
	v_add_co_u32 v0, vcc_lo, v0, 2
	s_delay_alu instid0(VALU_DEP_3) | instskip(SKIP_1) | instid1(VALU_DEP_3)
	v_mul_lo_u32 v126, s18, v126
	v_add_co_ci_u32_e32 v125, vcc_lo, 0, v133, vcc_lo
	v_mul_lo_u32 v128, s19, v0
	s_delay_alu instid0(VALU_DEP_3) | instskip(NEXT) | instid1(VALU_DEP_3)
	v_add3_u32 v253, v253, v126, v127
	v_mul_lo_u32 v127, s18, v125
	v_mad_u64_u32 v[125:126], null, s18, v0, 0
	s_delay_alu instid0(VALU_DEP_1)
	v_add3_u32 v126, v126, v127, v128
	v_add_co_u32 v127, vcc_lo, v136, s18
	v_add_co_ci_u32_e32 v128, vcc_lo, s19, v137, vcc_lo
	v_add_co_u32 v136, vcc_lo, s20, v138
	v_add_co_ci_u32_e32 v137, vcc_lo, s21, v139, vcc_lo
	;; [unrolled: 2-line block ×3, first 2 shown]
	v_add_co_u32 v0, vcc_lo, s20, v178
	v_lshlrev_b64 v[125:126], 2, v[125:126]
	scratch_store_b32 off, v0, off          ; 4-byte Folded Spill
	v_add_co_ci_u32_e32 v0, vcc_lo, s21, v179, vcc_lo
	scratch_store_b32 off, v0, off offset:4 ; 4-byte Folded Spill
	v_add_co_u32 v0, vcc_lo, s22, v178
	scratch_store_b32 off, v0, off offset:8 ; 4-byte Folded Spill
	v_add_co_ci_u32_e32 v0, vcc_lo, s23, v179, vcc_lo
	scratch_store_b32 off, v0, off offset:12 ; 4-byte Folded Spill
	v_add_co_u32 v0, vcc_lo, s20, v129
	scratch_store_b32 off, v0, off offset:16 ; 4-byte Folded Spill
	;; [unrolled: 4-line block ×3, first 2 shown]
	v_add_co_ci_u32_e32 v0, vcc_lo, s23, v130, vcc_lo
	v_lshlrev_b64 v[129:130], 2, v[131:132]
	v_mov_b32_e32 v131, v226
	s_clause 0x1
	scratch_store_b32 off, v0, off offset:28
	scratch_store_b32 off, v131, off offset:312
	v_add_co_u32 v0, vcc_lo, s20, v129
	scratch_store_b32 off, v0, off offset:32 ; 4-byte Folded Spill
	v_add_co_ci_u32_e32 v0, vcc_lo, s21, v130, vcc_lo
	scratch_store_b32 off, v0, off offset:36 ; 4-byte Folded Spill
	v_add_co_u32 v0, vcc_lo, s22, v129
	scratch_store_b32 off, v0, off offset:40 ; 4-byte Folded Spill
	v_add_co_ci_u32_e32 v0, vcc_lo, s23, v130, vcc_lo
	v_lshlrev_b64 v[129:130], 2, v[134:135]
	scratch_store_b32 off, v0, off offset:44 ; 4-byte Folded Spill
	v_add_co_u32 v0, vcc_lo, s20, v129
	scratch_store_b32 off, v0, off offset:48 ; 4-byte Folded Spill
	v_add_co_ci_u32_e32 v0, vcc_lo, s21, v130, vcc_lo
	scratch_store_b32 off, v0, off offset:52 ; 4-byte Folded Spill
	v_add_co_u32 v0, vcc_lo, s22, v129
	scratch_store_b32 off, v0, off offset:56 ; 4-byte Folded Spill
	v_add_co_ci_u32_e32 v0, vcc_lo, s23, v130, vcc_lo
	v_lshlrev_b64 v[129:130], 2, v[140:141]
	scratch_store_b32 off, v0, off offset:60 ; 4-byte Folded Spill
	;; [unrolled: 9-line block ×4, first 2 shown]
	v_add_co_u32 v0, vcc_lo, s20, v129
	scratch_store_b32 off, v0, off offset:96 ; 4-byte Folded Spill
	v_add_co_ci_u32_e32 v0, vcc_lo, s21, v130, vcc_lo
	scratch_store_b32 off, v0, off offset:100 ; 4-byte Folded Spill
	v_add_co_u32 v0, vcc_lo, s22, v129
	scratch_store_b32 off, v0, off offset:104 ; 4-byte Folded Spill
	v_add_co_ci_u32_e32 v0, vcc_lo, s23, v130, vcc_lo
	v_lshlrev_b64 v[129:130], 2, v[146:147]
	v_mov_b32_e32 v146, 0
	scratch_store_b32 off, v0, off offset:108 ; 4-byte Folded Spill
	v_add_co_u32 v0, vcc_lo, s20, v129
	scratch_store_b32 off, v0, off offset:112 ; 4-byte Folded Spill
	v_add_co_ci_u32_e32 v0, vcc_lo, s21, v130, vcc_lo
	scratch_store_b32 off, v0, off offset:116 ; 4-byte Folded Spill
	v_add_co_u32 v0, vcc_lo, s22, v129
	scratch_store_b32 off, v0, off offset:120 ; 4-byte Folded Spill
	v_add_co_ci_u32_e32 v0, vcc_lo, s23, v130, vcc_lo
	v_lshlrev_b64 v[129:130], 2, v[148:149]
	scratch_store_b32 off, v0, off offset:124 ; 4-byte Folded Spill
	v_add_co_u32 v0, vcc_lo, s20, v129
	scratch_store_b32 off, v0, off offset:128 ; 4-byte Folded Spill
	v_add_co_ci_u32_e32 v0, vcc_lo, s21, v130, vcc_lo
	scratch_store_b32 off, v0, off offset:132 ; 4-byte Folded Spill
	v_add_co_u32 v0, vcc_lo, s22, v129
	scratch_store_b32 off, v0, off offset:136 ; 4-byte Folded Spill
	v_add_co_ci_u32_e32 v0, vcc_lo, s23, v130, vcc_lo
	v_lshlrev_b64 v[129:130], 2, v[150:151]
	;; [unrolled: 9-line block ×6, first 2 shown]
	scratch_store_b32 off, v0, off offset:204 ; 4-byte Folded Spill
	v_add_co_u32 v192, vcc_lo, s20, v129
	v_add_co_ci_u32_e32 v193, vcc_lo, s21, v130, vcc_lo
	v_add_co_u32 v194, vcc_lo, s22, v129
	v_add_co_ci_u32_e32 v195, vcc_lo, s23, v130, vcc_lo
	v_lshlrev_b64 v[129:130], 2, v[160:161]
	s_delay_alu instid0(VALU_DEP_1) | instskip(NEXT) | instid1(VALU_DEP_2)
	v_add_co_u32 v196, vcc_lo, s20, v129
	v_add_co_ci_u32_e32 v197, vcc_lo, s21, v130, vcc_lo
	v_add_co_u32 v198, vcc_lo, s22, v129
	v_add_co_ci_u32_e32 v199, vcc_lo, s23, v130, vcc_lo
	v_lshlrev_b64 v[129:130], 2, v[162:163]
	s_delay_alu instid0(VALU_DEP_1) | instskip(NEXT) | instid1(VALU_DEP_2)
	;; [unrolled: 6-line block ×15, first 2 shown]
	v_add_co_u32 v252, vcc_lo, s20, v129
	v_add_co_ci_u32_e32 v253, vcc_lo, s21, v130, vcc_lo
	v_add_co_u32 v254, vcc_lo, s22, v129
	v_add_co_ci_u32_e32 v255, vcc_lo, s23, v130, vcc_lo
	;; [unrolled: 2-line block ×4, first 2 shown]
	v_lshlrev_b64 v[125:126], 2, v[127:128]
	v_mov_b32_e32 v127, 0
	s_delay_alu instid0(VALU_DEP_2) | instskip(NEXT) | instid1(VALU_DEP_3)
	v_add_co_u32 v140, vcc_lo, s20, v125
	v_add_co_ci_u32_e32 v141, vcc_lo, s21, v126, vcc_lo
	v_add_co_u32 v142, vcc_lo, s22, v125
	v_and_b32_e32 v125, 0x3ff, v131
	v_add_co_ci_u32_e32 v143, vcc_lo, s23, v126, vcc_lo
	v_mov_b32_e32 v126, 0
	s_clause 0x1
	scratch_store_b32 off, v127, off offset:208
	scratch_store_b32 off, v125, off offset:308
	v_add_nc_u32_e32 v125, s15, v125
	s_mov_b64 s[20:21], 31
	v_mov_b32_e32 v144, v126
	s_mov_b64 s[22:23], s[6:7]
	s_delay_alu instid0(VALU_DEP_2)
	v_lshlrev_b64 v[127:128], 2, v[125:126]
.LBB61_145:                             ; =>This Inner Loop Header: Depth=1
	s_add_u32 s24, s6, s20
	s_addc_u32 s25, 0, s21
	v_add_co_u32 v129, vcc_lo, s6, v180
	v_cmp_ge_i64_e64 s7, s[24:25], s[16:17]
	v_add_co_ci_u32_e32 v130, vcc_lo, 0, v144, vcc_lo
	scratch_store_b32 off, v180, off offset:212 ; 4-byte Folded Spill
	s_and_b32 vcc_lo, exec_lo, s7
	s_cbranch_vccz .LBB61_213
; %bb.146:                              ;   in Loop: Header=BB61_145 Depth=1
	s_load_b32 s7, s[4:5], 0xc
	s_clause 0x1
	scratch_load_b32 v125, off, off offset:304
	scratch_load_b32 v131, off, off offset:308
	v_dual_mov_b32 v147, 0 :: v_dual_mov_b32 v180, 0
	s_waitcnt lgkmcnt(0)
	s_and_b32 s7, s7, 0xffff
	s_waitcnt vmcnt(0)
	v_mad_u32_u24 v125, v125, s7, v131
	s_mov_b32 s7, exec_lo
	s_delay_alu instid0(VALU_DEP_1) | instskip(NEXT) | instid1(VALU_DEP_1)
	v_and_b32_e32 v125, 31, v125
	v_add_co_u32 v131, vcc_lo, v129, v125
	v_add_co_ci_u32_e32 v132, vcc_lo, 0, v130, vcc_lo
	v_mov_b32_e32 v125, 0
	s_delay_alu instid0(VALU_DEP_2)
	v_cmpx_gt_i64_e64 s[16:17], v[131:132]
	s_cbranch_execz .LBB61_148
; %bb.147:                              ;   in Loop: Header=BB61_145 Depth=1
	v_lshlrev_b64 v[131:132], 2, v[131:132]
	s_delay_alu instid0(VALU_DEP_1) | instskip(NEXT) | instid1(VALU_DEP_2)
	v_add_co_u32 v147, vcc_lo, s8, v131
	v_add_co_ci_u32_e32 v148, vcc_lo, s9, v132, vcc_lo
	v_add_co_u32 v131, vcc_lo, s10, v131
	v_add_co_ci_u32_e32 v132, vcc_lo, s11, v132, vcc_lo
	global_load_b32 v125, v[147:148], off
	global_load_b32 v147, v[131:132], off
.LBB61_148:                             ;   in Loop: Header=BB61_145 Depth=1
	s_or_b32 exec_lo, exec_lo, s7
	v_mov_b32_e32 v189, 0
	s_mov_b32 s7, exec_lo
	v_cmpx_gt_i64_e64 s[16:17], v[129:130]
	s_cbranch_execz .LBB61_150
; %bb.149:                              ;   in Loop: Header=BB61_145 Depth=1
	v_add_co_u32 v131, vcc_lo, v136, v127
	v_add_co_ci_u32_e32 v132, vcc_lo, v137, v128, vcc_lo
	v_add_co_u32 v148, vcc_lo, v138, v127
	v_add_co_ci_u32_e32 v149, vcc_lo, v139, v128, vcc_lo
	global_load_b32 v180, v[131:132], off
	global_load_b32 v189, v[148:149], off
.LBB61_150:                             ;   in Loop: Header=BB61_145 Depth=1
	s_or_b32 exec_lo, exec_lo, s7
	v_add_co_u32 v131, vcc_lo, v129, 1
	v_add_co_ci_u32_e32 v132, vcc_lo, 0, v130, vcc_lo
	v_mov_b32_e32 v145, 0
	v_mov_b32_e32 v181, 0
	;; [unrolled: 1-line block ×3, first 2 shown]
	s_mov_b32 s7, exec_lo
	v_cmpx_gt_i64_e64 s[16:17], v[131:132]
	s_cbranch_execz .LBB61_152
; %bb.151:                              ;   in Loop: Header=BB61_145 Depth=1
	v_add_co_u32 v131, vcc_lo, v140, v127
	v_add_co_ci_u32_e32 v132, vcc_lo, v141, v128, vcc_lo
	v_add_co_u32 v148, vcc_lo, v142, v127
	v_add_co_ci_u32_e32 v149, vcc_lo, v143, v128, vcc_lo
	global_load_b32 v181, v[131:132], off
	global_load_b32 v191, v[148:149], off
.LBB61_152:                             ;   in Loop: Header=BB61_145 Depth=1
	s_or_b32 exec_lo, exec_lo, s7
	v_add_co_u32 v131, vcc_lo, v129, 2
	v_add_co_ci_u32_e32 v132, vcc_lo, 0, v130, vcc_lo
	s_delay_alu instid0(VALU_DEP_1)
	v_cmp_gt_i64_e32 vcc_lo, s[16:17], v[131:132]
	v_mov_b32_e32 v131, 0
	scratch_store_b32 off, v131, off offset:228 ; 4-byte Folded Spill
	s_and_saveexec_b32 s7, vcc_lo
	s_cbranch_execz .LBB61_154
; %bb.153:                              ;   in Loop: Header=BB61_145 Depth=1
	v_add_co_u32 v131, vcc_lo, v134, v127
	v_add_co_ci_u32_e32 v132, vcc_lo, v0, v128, vcc_lo
	v_add_co_u32 v148, vcc_lo, v133, v127
	v_add_co_ci_u32_e32 v149, vcc_lo, v135, v128, vcc_lo
	global_load_b32 v145, v[131:132], off
	global_load_b32 v131, v[148:149], off
	s_waitcnt vmcnt(0)
	scratch_store_b32 off, v131, off offset:228 ; 4-byte Folded Spill
.LBB61_154:                             ;   in Loop: Header=BB61_145 Depth=1
	s_or_b32 exec_lo, exec_lo, s7
	v_add_co_u32 v131, vcc_lo, v129, 3
	v_add_co_ci_u32_e32 v132, vcc_lo, 0, v130, vcc_lo
	v_mov_b32_e32 v182, 0
	s_delay_alu instid0(VALU_DEP_2)
	v_cmp_gt_i64_e32 vcc_lo, s[16:17], v[131:132]
	v_mov_b32_e32 v131, 0
	scratch_store_b32 off, v131, off offset:216 ; 4-byte Folded Spill
	v_mov_b32_e32 v131, 0
	scratch_store_b32 off, v131, off offset:232 ; 4-byte Folded Spill
	s_and_saveexec_b32 s7, vcc_lo
	s_cbranch_execz .LBB61_156
; %bb.155:                              ;   in Loop: Header=BB61_145 Depth=1
	v_add_co_u32 v131, vcc_lo, v252, v127
	v_add_co_ci_u32_e32 v132, vcc_lo, v253, v128, vcc_lo
	v_add_co_u32 v148, vcc_lo, v254, v127
	v_add_co_ci_u32_e32 v149, vcc_lo, v255, v128, vcc_lo
	global_load_b32 v131, v[131:132], off
	s_waitcnt vmcnt(0)
	scratch_store_b32 off, v131, off offset:216 ; 4-byte Folded Spill
	global_load_b32 v131, v[148:149], off
	s_waitcnt vmcnt(0)
	scratch_store_b32 off, v131, off offset:232 ; 4-byte Folded Spill
.LBB61_156:                             ;   in Loop: Header=BB61_145 Depth=1
	s_or_b32 exec_lo, exec_lo, s7
	v_add_co_u32 v131, vcc_lo, v129, 4
	v_add_co_ci_u32_e32 v132, vcc_lo, 0, v130, vcc_lo
	s_delay_alu instid0(VALU_DEP_1)
	v_cmp_gt_i64_e32 vcc_lo, s[16:17], v[131:132]
	v_mov_b32_e32 v131, 0
	scratch_store_b32 off, v131, off offset:236 ; 4-byte Folded Spill
	s_and_saveexec_b32 s7, vcc_lo
	s_cbranch_execz .LBB61_158
; %bb.157:                              ;   in Loop: Header=BB61_145 Depth=1
	v_add_co_u32 v131, vcc_lo, v248, v127
	v_add_co_ci_u32_e32 v132, vcc_lo, v249, v128, vcc_lo
	v_add_co_u32 v148, vcc_lo, v250, v127
	v_add_co_ci_u32_e32 v149, vcc_lo, v251, v128, vcc_lo
	global_load_b32 v182, v[131:132], off
	global_load_b32 v131, v[148:149], off
	s_waitcnt vmcnt(0)
	scratch_store_b32 off, v131, off offset:236 ; 4-byte Folded Spill
.LBB61_158:                             ;   in Loop: Header=BB61_145 Depth=1
	s_or_b32 exec_lo, exec_lo, s7
	v_add_co_u32 v131, vcc_lo, v129, 5
	v_add_co_ci_u32_e32 v132, vcc_lo, 0, v130, vcc_lo
	v_dual_mov_b32 v186, 0 :: v_dual_mov_b32 v187, 0
	s_delay_alu instid0(VALU_DEP_2)
	v_cmp_gt_i64_e32 vcc_lo, s[16:17], v[131:132]
	v_mov_b32_e32 v131, 0
	scratch_store_b32 off, v131, off offset:240 ; 4-byte Folded Spill
	s_and_saveexec_b32 s7, vcc_lo
	s_cbranch_execz .LBB61_160
; %bb.159:                              ;   in Loop: Header=BB61_145 Depth=1
	v_add_co_u32 v131, vcc_lo, v244, v127
	v_add_co_ci_u32_e32 v132, vcc_lo, v245, v128, vcc_lo
	v_add_co_u32 v148, vcc_lo, v246, v127
	v_add_co_ci_u32_e32 v149, vcc_lo, v247, v128, vcc_lo
	global_load_b32 v187, v[131:132], off
	global_load_b32 v131, v[148:149], off
	s_waitcnt vmcnt(0)
	scratch_store_b32 off, v131, off offset:240 ; 4-byte Folded Spill
.LBB61_160:                             ;   in Loop: Header=BB61_145 Depth=1
	s_or_b32 exec_lo, exec_lo, s7
	v_add_co_u32 v131, vcc_lo, v129, 6
	v_add_co_ci_u32_e32 v132, vcc_lo, 0, v130, vcc_lo
	s_delay_alu instid0(VALU_DEP_1)
	v_cmp_gt_i64_e32 vcc_lo, s[16:17], v[131:132]
	v_mov_b32_e32 v131, 0
	scratch_store_b32 off, v131, off offset:244 ; 4-byte Folded Spill
	s_and_saveexec_b32 s7, vcc_lo
	s_cbranch_execz .LBB61_162
; %bb.161:                              ;   in Loop: Header=BB61_145 Depth=1
	v_add_co_u32 v131, vcc_lo, v240, v127
	v_add_co_ci_u32_e32 v132, vcc_lo, v241, v128, vcc_lo
	v_add_co_u32 v148, vcc_lo, v242, v127
	v_add_co_ci_u32_e32 v149, vcc_lo, v243, v128, vcc_lo
	global_load_b32 v186, v[131:132], off
	global_load_b32 v131, v[148:149], off
	s_waitcnt vmcnt(0)
	scratch_store_b32 off, v131, off offset:244 ; 4-byte Folded Spill
.LBB61_162:                             ;   in Loop: Header=BB61_145 Depth=1
	s_or_b32 exec_lo, exec_lo, s7
	v_add_co_u32 v131, vcc_lo, v129, 7
	v_add_co_ci_u32_e32 v132, vcc_lo, 0, v130, vcc_lo
	v_mov_b32_e32 v188, 0
	s_delay_alu instid0(VALU_DEP_2)
	v_cmp_gt_i64_e32 vcc_lo, s[16:17], v[131:132]
	v_mov_b32_e32 v131, 0
	scratch_store_b32 off, v131, off offset:220 ; 4-byte Folded Spill
	v_mov_b32_e32 v131, 0
	scratch_store_b32 off, v131, off offset:248 ; 4-byte Folded Spill
	s_and_saveexec_b32 s7, vcc_lo
	s_cbranch_execz .LBB61_164
; %bb.163:                              ;   in Loop: Header=BB61_145 Depth=1
	v_add_co_u32 v131, vcc_lo, v236, v127
	v_add_co_ci_u32_e32 v132, vcc_lo, v237, v128, vcc_lo
	v_add_co_u32 v148, vcc_lo, v238, v127
	v_add_co_ci_u32_e32 v149, vcc_lo, v239, v128, vcc_lo
	global_load_b32 v131, v[131:132], off
	s_waitcnt vmcnt(0)
	scratch_store_b32 off, v131, off offset:220 ; 4-byte Folded Spill
	global_load_b32 v131, v[148:149], off
	s_waitcnt vmcnt(0)
	scratch_store_b32 off, v131, off offset:248 ; 4-byte Folded Spill
.LBB61_164:                             ;   in Loop: Header=BB61_145 Depth=1
	s_or_b32 exec_lo, exec_lo, s7
	v_add_co_u32 v131, vcc_lo, v129, 8
	v_add_co_ci_u32_e32 v132, vcc_lo, 0, v130, vcc_lo
	s_delay_alu instid0(VALU_DEP_1)
	v_cmp_gt_i64_e32 vcc_lo, s[16:17], v[131:132]
	v_mov_b32_e32 v131, 0
	scratch_store_b32 off, v131, off offset:252 ; 4-byte Folded Spill
	s_and_saveexec_b32 s7, vcc_lo
	s_cbranch_execz .LBB61_166
; %bb.165:                              ;   in Loop: Header=BB61_145 Depth=1
	v_add_co_u32 v131, vcc_lo, v232, v127
	v_add_co_ci_u32_e32 v132, vcc_lo, v233, v128, vcc_lo
	v_add_co_u32 v148, vcc_lo, v234, v127
	v_add_co_ci_u32_e32 v149, vcc_lo, v235, v128, vcc_lo
	global_load_b32 v188, v[131:132], off
	global_load_b32 v131, v[148:149], off
	s_waitcnt vmcnt(0)
	scratch_store_b32 off, v131, off offset:252 ; 4-byte Folded Spill
.LBB61_166:                             ;   in Loop: Header=BB61_145 Depth=1
	s_or_b32 exec_lo, exec_lo, s7
	v_add_co_u32 v131, vcc_lo, v129, 9
	v_add_co_ci_u32_e32 v132, vcc_lo, 0, v130, vcc_lo
	v_mov_b32_e32 v148, 0
	v_mov_b32_e32 v190, 0
	s_delay_alu instid0(VALU_DEP_3)
	v_cmp_gt_i64_e32 vcc_lo, s[16:17], v[131:132]
	v_mov_b32_e32 v131, 0
	s_clause 0x1
	scratch_store_b32 off, v148, off offset:224
	scratch_store_b32 off, v131, off offset:256
	s_and_saveexec_b32 s7, vcc_lo
	s_cbranch_execz .LBB61_168
; %bb.167:                              ;   in Loop: Header=BB61_145 Depth=1
	v_add_co_u32 v131, vcc_lo, v228, v127
	v_add_co_ci_u32_e32 v132, vcc_lo, v229, v128, vcc_lo
	v_add_co_u32 v148, vcc_lo, v230, v127
	v_add_co_ci_u32_e32 v149, vcc_lo, v231, v128, vcc_lo
	global_load_b32 v190, v[131:132], off
	global_load_b32 v131, v[148:149], off
	s_waitcnt vmcnt(0)
	scratch_store_b32 off, v131, off offset:256 ; 4-byte Folded Spill
.LBB61_168:                             ;   in Loop: Header=BB61_145 Depth=1
	s_or_b32 exec_lo, exec_lo, s7
	v_add_co_u32 v131, vcc_lo, v129, 10
	v_add_co_ci_u32_e32 v132, vcc_lo, 0, v130, vcc_lo
	s_delay_alu instid0(VALU_DEP_1)
	v_cmp_gt_i64_e32 vcc_lo, s[16:17], v[131:132]
	v_mov_b32_e32 v131, 0
	scratch_store_b32 off, v131, off offset:260 ; 4-byte Folded Spill
	s_and_saveexec_b32 s7, vcc_lo
	s_cbranch_execz .LBB61_170
; %bb.169:                              ;   in Loop: Header=BB61_145 Depth=1
	v_add_co_u32 v131, vcc_lo, v224, v127
	v_add_co_ci_u32_e32 v132, vcc_lo, v225, v128, vcc_lo
	v_add_co_u32 v148, vcc_lo, v226, v127
	v_add_co_ci_u32_e32 v149, vcc_lo, v227, v128, vcc_lo
	global_load_b32 v131, v[131:132], off
	s_waitcnt vmcnt(0)
	scratch_store_b32 off, v131, off offset:224 ; 4-byte Folded Spill
	global_load_b32 v131, v[148:149], off
	s_waitcnt vmcnt(0)
	scratch_store_b32 off, v131, off offset:260 ; 4-byte Folded Spill
.LBB61_170:                             ;   in Loop: Header=BB61_145 Depth=1
	s_or_b32 exec_lo, exec_lo, s7
	v_add_co_u32 v131, vcc_lo, v129, 11
	v_add_co_ci_u32_e32 v132, vcc_lo, 0, v130, vcc_lo
	v_dual_mov_b32 v148, 0 :: v_dual_mov_b32 v149, 0
	s_delay_alu instid0(VALU_DEP_2)
	v_cmp_gt_i64_e32 vcc_lo, s[16:17], v[131:132]
	v_mov_b32_e32 v131, 0
	scratch_store_b32 off, v131, off offset:264 ; 4-byte Folded Spill
	s_and_saveexec_b32 s7, vcc_lo
	s_cbranch_execz .LBB61_172
; %bb.171:                              ;   in Loop: Header=BB61_145 Depth=1
	v_add_co_u32 v131, vcc_lo, v220, v127
	v_add_co_ci_u32_e32 v132, vcc_lo, v221, v128, vcc_lo
	v_add_co_u32 v150, vcc_lo, v222, v127
	v_add_co_ci_u32_e32 v151, vcc_lo, v223, v128, vcc_lo
	global_load_b32 v149, v[131:132], off
	global_load_b32 v131, v[150:151], off
	s_waitcnt vmcnt(0)
	scratch_store_b32 off, v131, off offset:264 ; 4-byte Folded Spill
.LBB61_172:                             ;   in Loop: Header=BB61_145 Depth=1
	s_or_b32 exec_lo, exec_lo, s7
	v_add_co_u32 v131, vcc_lo, v129, 12
	v_add_co_ci_u32_e32 v132, vcc_lo, 0, v130, vcc_lo
	s_delay_alu instid0(VALU_DEP_1)
	v_cmp_gt_i64_e32 vcc_lo, s[16:17], v[131:132]
	v_mov_b32_e32 v131, 0
	scratch_store_b32 off, v131, off offset:268 ; 4-byte Folded Spill
	s_and_saveexec_b32 s7, vcc_lo
	s_cbranch_execz .LBB61_174
; %bb.173:                              ;   in Loop: Header=BB61_145 Depth=1
	v_add_co_u32 v131, vcc_lo, v216, v127
	v_add_co_ci_u32_e32 v132, vcc_lo, v217, v128, vcc_lo
	v_add_co_u32 v150, vcc_lo, v218, v127
	v_add_co_ci_u32_e32 v151, vcc_lo, v219, v128, vcc_lo
	global_load_b32 v148, v[131:132], off
	global_load_b32 v131, v[150:151], off
	s_waitcnt vmcnt(0)
	scratch_store_b32 off, v131, off offset:268 ; 4-byte Folded Spill
.LBB61_174:                             ;   in Loop: Header=BB61_145 Depth=1
	s_or_b32 exec_lo, exec_lo, s7
	v_add_co_u32 v131, vcc_lo, v129, 13
	v_add_co_ci_u32_e32 v132, vcc_lo, 0, v130, vcc_lo
	v_mov_b32_e32 v150, 0
	s_delay_alu instid0(VALU_DEP_2)
	v_cmp_gt_i64_e32 vcc_lo, s[16:17], v[131:132]
	v_dual_mov_b32 v131, 0 :: v_dual_mov_b32 v132, 0
	scratch_store_b32 off, v132, off offset:276 ; 4-byte Folded Spill
	s_and_saveexec_b32 s7, vcc_lo
	s_cbranch_execz .LBB61_176
; %bb.175:                              ;   in Loop: Header=BB61_145 Depth=1
	v_add_co_u32 v131, vcc_lo, v212, v127
	v_add_co_ci_u32_e32 v132, vcc_lo, v213, v128, vcc_lo
	v_add_co_u32 v151, vcc_lo, v214, v127
	v_add_co_ci_u32_e32 v152, vcc_lo, v215, v128, vcc_lo
	global_load_b32 v131, v[131:132], off
	global_load_b32 v132, v[151:152], off
	s_waitcnt vmcnt(0)
	scratch_store_b32 off, v132, off offset:276 ; 4-byte Folded Spill
.LBB61_176:                             ;   in Loop: Header=BB61_145 Depth=1
	s_or_b32 exec_lo, exec_lo, s7
	v_add_co_u32 v151, vcc_lo, v129, 14
	v_add_co_ci_u32_e32 v152, vcc_lo, 0, v130, vcc_lo
	v_mov_b32_e32 v132, 0
	s_mov_b32 s7, exec_lo
	scratch_store_b32 off, v132, off offset:284 ; 4-byte Folded Spill
	v_cmpx_gt_i64_e64 s[16:17], v[151:152]
	s_cbranch_execz .LBB61_178
; %bb.177:                              ;   in Loop: Header=BB61_145 Depth=1
	v_add_co_u32 v150, vcc_lo, v208, v127
	v_add_co_ci_u32_e32 v151, vcc_lo, v209, v128, vcc_lo
	v_add_co_u32 v152, vcc_lo, v210, v127
	v_add_co_ci_u32_e32 v153, vcc_lo, v211, v128, vcc_lo
	global_load_b32 v150, v[150:151], off
	global_load_b32 v132, v[152:153], off
	s_waitcnt vmcnt(0)
	scratch_store_b32 off, v132, off offset:284 ; 4-byte Folded Spill
.LBB61_178:                             ;   in Loop: Header=BB61_145 Depth=1
	s_or_b32 exec_lo, exec_lo, s7
	v_add_co_u32 v152, vcc_lo, v129, 15
	v_add_co_ci_u32_e32 v153, vcc_lo, 0, v130, vcc_lo
	v_dual_mov_b32 v151, 0 :: v_dual_mov_b32 v132, 0
	s_delay_alu instid0(VALU_DEP_2)
	v_cmp_gt_i64_e32 vcc_lo, s[16:17], v[152:153]
	v_mov_b32_e32 v152, 0
	scratch_store_b32 off, v132, off offset:292 ; 4-byte Folded Spill
	s_and_saveexec_b32 s7, vcc_lo
	s_cbranch_execz .LBB61_180
; %bb.179:                              ;   in Loop: Header=BB61_145 Depth=1
	v_add_co_u32 v152, vcc_lo, v204, v127
	v_add_co_ci_u32_e32 v153, vcc_lo, v205, v128, vcc_lo
	v_add_co_u32 v154, vcc_lo, v206, v127
	v_add_co_ci_u32_e32 v155, vcc_lo, v207, v128, vcc_lo
	global_load_b32 v152, v[152:153], off
	global_load_b32 v132, v[154:155], off
	s_waitcnt vmcnt(0)
	scratch_store_b32 off, v132, off offset:292 ; 4-byte Folded Spill
.LBB61_180:                             ;   in Loop: Header=BB61_145 Depth=1
	s_or_b32 exec_lo, exec_lo, s7
	v_add_co_u32 v153, vcc_lo, v129, 16
	v_add_co_ci_u32_e32 v154, vcc_lo, 0, v130, vcc_lo
	v_mov_b32_e32 v132, 0
	s_mov_b32 s7, exec_lo
	scratch_store_b32 off, v132, off offset:272 ; 4-byte Folded Spill
	v_cmpx_gt_i64_e64 s[16:17], v[153:154]
	s_cbranch_execz .LBB61_182
; %bb.181:                              ;   in Loop: Header=BB61_145 Depth=1
	v_add_co_u32 v153, vcc_lo, v200, v127
	v_add_co_ci_u32_e32 v154, vcc_lo, v201, v128, vcc_lo
	v_add_co_u32 v155, vcc_lo, v202, v127
	v_add_co_ci_u32_e32 v156, vcc_lo, v203, v128, vcc_lo
	global_load_b32 v151, v[153:154], off
	global_load_b32 v132, v[155:156], off
	s_waitcnt vmcnt(0)
	scratch_store_b32 off, v132, off offset:272 ; 4-byte Folded Spill
.LBB61_182:                             ;   in Loop: Header=BB61_145 Depth=1
	s_or_b32 exec_lo, exec_lo, s7
	v_add_co_u32 v154, vcc_lo, v129, 17
	v_add_co_ci_u32_e32 v155, vcc_lo, 0, v130, vcc_lo
	v_dual_mov_b32 v153, 0 :: v_dual_mov_b32 v132, 0
	s_delay_alu instid0(VALU_DEP_2)
	v_cmp_gt_i64_e32 vcc_lo, s[16:17], v[154:155]
	v_mov_b32_e32 v154, 0
	;; [unrolled: 38-line block ×3, first 2 shown]
	scratch_store_b32 off, v132, off offset:296 ; 4-byte Folded Spill
	s_and_saveexec_b32 s7, vcc_lo
	s_cbranch_execz .LBB61_188
; %bb.187:                              ;   in Loop: Header=BB61_145 Depth=1
	scratch_load_b32 v132, off, off offset:192 ; 4-byte Folded Reload
	s_waitcnt vmcnt(0)
	v_add_co_u32 v156, vcc_lo, v132, v127
	scratch_load_b32 v132, off, off offset:196 ; 4-byte Folded Reload
	s_waitcnt vmcnt(0)
	v_add_co_ci_u32_e32 v157, vcc_lo, v132, v128, vcc_lo
	scratch_load_b32 v132, off, off offset:200 ; 4-byte Folded Reload
	s_waitcnt vmcnt(0)
	v_add_co_u32 v158, vcc_lo, v132, v127
	scratch_load_b32 v132, off, off offset:204 ; 4-byte Folded Reload
	s_waitcnt vmcnt(0)
	v_add_co_ci_u32_e32 v159, vcc_lo, v132, v128, vcc_lo
	global_load_b32 v156, v[156:157], off
	global_load_b32 v132, v[158:159], off
	s_waitcnt vmcnt(0)
	scratch_store_b32 off, v132, off offset:296 ; 4-byte Folded Spill
.LBB61_188:                             ;   in Loop: Header=BB61_145 Depth=1
	s_or_b32 exec_lo, exec_lo, s7
	v_add_co_u32 v157, vcc_lo, v129, 20
	v_add_co_ci_u32_e32 v158, vcc_lo, 0, v130, vcc_lo
	v_mov_b32_e32 v132, 0
	s_mov_b32 s7, exec_lo
	scratch_store_b32 off, v132, off offset:300 ; 4-byte Folded Spill
	v_cmpx_gt_i64_e64 s[16:17], v[157:158]
	s_cbranch_execz .LBB61_190
; %bb.189:                              ;   in Loop: Header=BB61_145 Depth=1
	scratch_load_b32 v132, off, off offset:176 ; 4-byte Folded Reload
	s_waitcnt vmcnt(0)
	v_add_co_u32 v157, vcc_lo, v132, v127
	scratch_load_b32 v132, off, off offset:180 ; 4-byte Folded Reload
	s_waitcnt vmcnt(0)
	v_add_co_ci_u32_e32 v158, vcc_lo, v132, v128, vcc_lo
	scratch_load_b32 v132, off, off offset:184 ; 4-byte Folded Reload
	s_waitcnt vmcnt(0)
	v_add_co_u32 v159, vcc_lo, v132, v127
	scratch_load_b32 v132, off, off offset:188 ; 4-byte Folded Reload
	s_waitcnt vmcnt(0)
	v_add_co_ci_u32_e32 v160, vcc_lo, v132, v128, vcc_lo
	global_load_b32 v155, v[157:158], off
	global_load_b32 v132, v[159:160], off
	s_waitcnt vmcnt(0)
	scratch_store_b32 off, v132, off offset:300 ; 4-byte Folded Spill
.LBB61_190:                             ;   in Loop: Header=BB61_145 Depth=1
	s_or_b32 exec_lo, exec_lo, s7
	v_add_co_u32 v160, vcc_lo, v129, 21
	v_add_co_ci_u32_e32 v161, vcc_lo, 0, v130, vcc_lo
	v_dual_mov_b32 v157, 0 :: v_dual_mov_b32 v158, 0
	s_delay_alu instid0(VALU_DEP_2)
	v_cmp_gt_i64_e32 vcc_lo, s[16:17], v[160:161]
	v_mov_b32_e32 v160, 0
	s_and_saveexec_b32 s7, vcc_lo
	s_cbranch_execz .LBB61_192
; %bb.191:                              ;   in Loop: Header=BB61_145 Depth=1
	scratch_load_b32 v132, off, off offset:160 ; 4-byte Folded Reload
	s_waitcnt vmcnt(0)
	v_add_co_u32 v160, vcc_lo, v132, v127
	scratch_load_b32 v132, off, off offset:164 ; 4-byte Folded Reload
	s_waitcnt vmcnt(0)
	v_add_co_ci_u32_e32 v161, vcc_lo, v132, v128, vcc_lo
	scratch_load_b32 v132, off, off offset:168 ; 4-byte Folded Reload
	s_waitcnt vmcnt(0)
	v_add_co_u32 v162, vcc_lo, v132, v127
	scratch_load_b32 v132, off, off offset:172 ; 4-byte Folded Reload
	s_waitcnt vmcnt(0)
	v_add_co_ci_u32_e32 v163, vcc_lo, v132, v128, vcc_lo
	global_load_b32 v158, v[160:161], off
	global_load_b32 v160, v[162:163], off
.LBB61_192:                             ;   in Loop: Header=BB61_145 Depth=1
	s_or_b32 exec_lo, exec_lo, s7
	v_add_co_u32 v161, vcc_lo, v129, 22
	v_add_co_ci_u32_e32 v162, vcc_lo, 0, v130, vcc_lo
	s_delay_alu instid0(VALU_DEP_1)
	v_cmp_gt_i64_e32 vcc_lo, s[16:17], v[161:162]
	v_mov_b32_e32 v162, 0
	s_and_saveexec_b32 s7, vcc_lo
	s_cbranch_execz .LBB61_194
; %bb.193:                              ;   in Loop: Header=BB61_145 Depth=1
	scratch_load_b32 v132, off, off offset:144 ; 4-byte Folded Reload
	s_waitcnt vmcnt(0)
	v_add_co_u32 v161, vcc_lo, v132, v127
	scratch_load_b32 v132, off, off offset:148 ; 4-byte Folded Reload
	s_waitcnt vmcnt(0)
	v_add_co_ci_u32_e32 v162, vcc_lo, v132, v128, vcc_lo
	scratch_load_b32 v132, off, off offset:152 ; 4-byte Folded Reload
	s_waitcnt vmcnt(0)
	v_add_co_u32 v163, vcc_lo, v132, v127
	scratch_load_b32 v132, off, off offset:156 ; 4-byte Folded Reload
	s_waitcnt vmcnt(0)
	v_add_co_ci_u32_e32 v164, vcc_lo, v132, v128, vcc_lo
	global_load_b32 v157, v[161:162], off
	global_load_b32 v162, v[163:164], off
.LBB61_194:                             ;   in Loop: Header=BB61_145 Depth=1
	s_or_b32 exec_lo, exec_lo, s7
	v_add_co_u32 v163, vcc_lo, v129, 23
	v_add_co_ci_u32_e32 v164, vcc_lo, 0, v130, vcc_lo
	v_dual_mov_b32 v132, 0 :: v_dual_mov_b32 v161, 0
	s_delay_alu instid0(VALU_DEP_2)
	v_cmp_gt_i64_e32 vcc_lo, s[16:17], v[163:164]
	v_mov_b32_e32 v164, 0
	s_and_saveexec_b32 s7, vcc_lo
	s_cbranch_execz .LBB61_196
; %bb.195:                              ;   in Loop: Header=BB61_145 Depth=1
	scratch_load_b32 v159, off, off offset:128 ; 4-byte Folded Reload
	s_waitcnt vmcnt(0)
	v_add_co_u32 v163, vcc_lo, v159, v127
	scratch_load_b32 v159, off, off offset:132 ; 4-byte Folded Reload
	s_waitcnt vmcnt(0)
	v_add_co_ci_u32_e32 v164, vcc_lo, v159, v128, vcc_lo
	scratch_load_b32 v159, off, off offset:136 ; 4-byte Folded Reload
	s_waitcnt vmcnt(0)
	v_add_co_u32 v165, vcc_lo, v159, v127
	scratch_load_b32 v159, off, off offset:140 ; 4-byte Folded Reload
	s_waitcnt vmcnt(0)
	v_add_co_ci_u32_e32 v166, vcc_lo, v159, v128, vcc_lo
	global_load_b32 v161, v[163:164], off
	global_load_b32 v164, v[165:166], off
.LBB61_196:                             ;   in Loop: Header=BB61_145 Depth=1
	s_or_b32 exec_lo, exec_lo, s7
	v_add_co_u32 v165, vcc_lo, v129, 24
	v_add_co_ci_u32_e32 v166, vcc_lo, 0, v130, vcc_lo
	s_delay_alu instid0(VALU_DEP_1)
	v_cmp_gt_i64_e32 vcc_lo, s[16:17], v[165:166]
	v_mov_b32_e32 v166, 0
	s_and_saveexec_b32 s7, vcc_lo
	s_cbranch_execz .LBB61_198
; %bb.197:                              ;   in Loop: Header=BB61_145 Depth=1
	scratch_load_b32 v132, off, off offset:112 ; 4-byte Folded Reload
	s_waitcnt vmcnt(0)
	v_add_co_u32 v165, vcc_lo, v132, v127
	scratch_load_b32 v132, off, off offset:116 ; 4-byte Folded Reload
	s_waitcnt vmcnt(0)
	v_add_co_ci_u32_e32 v166, vcc_lo, v132, v128, vcc_lo
	scratch_load_b32 v132, off, off offset:120 ; 4-byte Folded Reload
	s_waitcnt vmcnt(0)
	v_add_co_u32 v167, vcc_lo, v132, v127
	scratch_load_b32 v132, off, off offset:124 ; 4-byte Folded Reload
	s_waitcnt vmcnt(0)
	v_add_co_ci_u32_e32 v168, vcc_lo, v132, v128, vcc_lo
	global_load_b32 v132, v[165:166], off
	global_load_b32 v166, v[167:168], off
.LBB61_198:                             ;   in Loop: Header=BB61_145 Depth=1
	s_or_b32 exec_lo, exec_lo, s7
	v_add_co_u32 v167, vcc_lo, v129, 25
	v_add_co_ci_u32_e32 v168, vcc_lo, 0, v130, vcc_lo
	v_mov_b32_e32 v163, 0
	v_mov_b32_e32 v165, 0
	s_delay_alu instid0(VALU_DEP_3)
	v_cmp_gt_i64_e32 vcc_lo, s[16:17], v[167:168]
	v_mov_b32_e32 v167, 0
	s_and_saveexec_b32 s7, vcc_lo
	s_cbranch_execz .LBB61_200
; %bb.199:                              ;   in Loop: Header=BB61_145 Depth=1
	scratch_load_b32 v159, off, off offset:96 ; 4-byte Folded Reload
	s_waitcnt vmcnt(0)
	v_add_co_u32 v167, vcc_lo, v159, v127
	scratch_load_b32 v159, off, off offset:100 ; 4-byte Folded Reload
	s_waitcnt vmcnt(0)
	v_add_co_ci_u32_e32 v168, vcc_lo, v159, v128, vcc_lo
	scratch_load_b32 v159, off, off offset:104 ; 4-byte Folded Reload
	s_waitcnt vmcnt(0)
	v_add_co_u32 v169, vcc_lo, v159, v127
	scratch_load_b32 v159, off, off offset:108 ; 4-byte Folded Reload
	s_waitcnt vmcnt(0)
	v_add_co_ci_u32_e32 v170, vcc_lo, v159, v128, vcc_lo
	global_load_b32 v165, v[167:168], off
	global_load_b32 v167, v[169:170], off
.LBB61_200:                             ;   in Loop: Header=BB61_145 Depth=1
	s_or_b32 exec_lo, exec_lo, s7
	v_add_co_u32 v168, vcc_lo, v129, 26
	v_add_co_ci_u32_e32 v169, vcc_lo, 0, v130, vcc_lo
	s_delay_alu instid0(VALU_DEP_1)
	v_cmp_gt_i64_e32 vcc_lo, s[16:17], v[168:169]
	v_mov_b32_e32 v169, 0
	s_and_saveexec_b32 s7, vcc_lo
	s_cbranch_execz .LBB61_202
; %bb.201:                              ;   in Loop: Header=BB61_145 Depth=1
	scratch_load_b32 v159, off, off offset:80 ; 4-byte Folded Reload
	s_waitcnt vmcnt(0)
	v_add_co_u32 v168, vcc_lo, v159, v127
	scratch_load_b32 v159, off, off offset:84 ; 4-byte Folded Reload
	s_waitcnt vmcnt(0)
	v_add_co_ci_u32_e32 v169, vcc_lo, v159, v128, vcc_lo
	scratch_load_b32 v159, off, off offset:88 ; 4-byte Folded Reload
	s_waitcnt vmcnt(0)
	v_add_co_u32 v170, vcc_lo, v159, v127
	scratch_load_b32 v159, off, off offset:92 ; 4-byte Folded Reload
	s_waitcnt vmcnt(0)
	v_add_co_ci_u32_e32 v171, vcc_lo, v159, v128, vcc_lo
	global_load_b32 v163, v[168:169], off
	global_load_b32 v169, v[170:171], off
.LBB61_202:                             ;   in Loop: Header=BB61_145 Depth=1
	s_or_b32 exec_lo, exec_lo, s7
	v_add_co_u32 v170, vcc_lo, v129, 27
	v_add_co_ci_u32_e32 v171, vcc_lo, 0, v130, vcc_lo
	v_mov_b32_e32 v168, 0
	s_delay_alu instid0(VALU_DEP_2)
	v_cmp_gt_i64_e32 vcc_lo, s[16:17], v[170:171]
	v_dual_mov_b32 v171, 0 :: v_dual_mov_b32 v170, 0
	s_and_saveexec_b32 s7, vcc_lo
	s_cbranch_execz .LBB61_204
; %bb.203:                              ;   in Loop: Header=BB61_145 Depth=1
	scratch_load_b32 v159, off, off offset:64 ; 4-byte Folded Reload
	s_waitcnt vmcnt(0)
	v_add_co_u32 v170, vcc_lo, v159, v127
	scratch_load_b32 v159, off, off offset:68 ; 4-byte Folded Reload
	s_waitcnt vmcnt(0)
	v_add_co_ci_u32_e32 v171, vcc_lo, v159, v128, vcc_lo
	scratch_load_b32 v159, off, off offset:72 ; 4-byte Folded Reload
	s_waitcnt vmcnt(0)
	v_add_co_u32 v172, vcc_lo, v159, v127
	scratch_load_b32 v159, off, off offset:76 ; 4-byte Folded Reload
	s_waitcnt vmcnt(0)
	v_add_co_ci_u32_e32 v173, vcc_lo, v159, v128, vcc_lo
	global_load_b32 v170, v[170:171], off
	global_load_b32 v171, v[172:173], off
.LBB61_204:                             ;   in Loop: Header=BB61_145 Depth=1
	s_or_b32 exec_lo, exec_lo, s7
	v_add_co_u32 v172, vcc_lo, v129, 28
	v_add_co_ci_u32_e32 v173, vcc_lo, 0, v130, vcc_lo
	v_mov_b32_e32 v174, 0
	s_mov_b32 s7, exec_lo
	s_delay_alu instid0(VALU_DEP_2)
	v_cmpx_gt_i64_e64 s[16:17], v[172:173]
	s_cbranch_execz .LBB61_206
; %bb.205:                              ;   in Loop: Header=BB61_145 Depth=1
	scratch_load_b32 v159, off, off offset:48 ; 4-byte Folded Reload
	s_waitcnt vmcnt(0)
	v_add_co_u32 v172, vcc_lo, v159, v127
	scratch_load_b32 v159, off, off offset:52 ; 4-byte Folded Reload
	s_waitcnt vmcnt(0)
	v_add_co_ci_u32_e32 v173, vcc_lo, v159, v128, vcc_lo
	scratch_load_b32 v159, off, off offset:56 ; 4-byte Folded Reload
	s_waitcnt vmcnt(0)
	v_add_co_u32 v174, vcc_lo, v159, v127
	scratch_load_b32 v159, off, off offset:60 ; 4-byte Folded Reload
	s_waitcnt vmcnt(0)
	v_add_co_ci_u32_e32 v175, vcc_lo, v159, v128, vcc_lo
	global_load_b32 v168, v[172:173], off
	global_load_b32 v174, v[174:175], off
.LBB61_206:                             ;   in Loop: Header=BB61_145 Depth=1
	s_or_b32 exec_lo, exec_lo, s7
	v_add_co_u32 v172, vcc_lo, v129, 29
	v_add_co_ci_u32_e32 v173, vcc_lo, 0, v130, vcc_lo
	v_dual_mov_b32 v175, 0 :: v_dual_mov_b32 v176, 0
	v_mov_b32_e32 v177, 0
	s_mov_b32 s7, exec_lo
	s_delay_alu instid0(VALU_DEP_3)
	v_cmpx_gt_i64_e64 s[16:17], v[172:173]
	s_cbranch_execz .LBB61_208
; %bb.207:                              ;   in Loop: Header=BB61_145 Depth=1
	scratch_load_b32 v159, off, off offset:32 ; 4-byte Folded Reload
	s_waitcnt vmcnt(0)
	v_add_co_u32 v172, vcc_lo, v159, v127
	scratch_load_b32 v159, off, off offset:36 ; 4-byte Folded Reload
	s_waitcnt vmcnt(0)
	v_add_co_ci_u32_e32 v173, vcc_lo, v159, v128, vcc_lo
	scratch_load_b32 v159, off, off offset:40 ; 4-byte Folded Reload
	s_waitcnt vmcnt(0)
	v_add_co_u32 v177, vcc_lo, v159, v127
	scratch_load_b32 v159, off, off offset:44 ; 4-byte Folded Reload
	s_waitcnt vmcnt(0)
	v_add_co_ci_u32_e32 v178, vcc_lo, v159, v128, vcc_lo
	global_load_b32 v176, v[172:173], off
	global_load_b32 v177, v[177:178], off
.LBB61_208:                             ;   in Loop: Header=BB61_145 Depth=1
	s_or_b32 exec_lo, exec_lo, s7
	v_add_co_u32 v172, vcc_lo, v129, 30
	v_add_co_ci_u32_e32 v173, vcc_lo, 0, v130, vcc_lo
	v_mov_b32_e32 v178, 0
	s_mov_b32 s7, exec_lo
	s_delay_alu instid0(VALU_DEP_2)
	v_cmpx_gt_i64_e64 s[16:17], v[172:173]
	s_cbranch_execz .LBB61_210
; %bb.209:                              ;   in Loop: Header=BB61_145 Depth=1
	scratch_load_b32 v159, off, off offset:16 ; 4-byte Folded Reload
	s_waitcnt vmcnt(0)
	v_add_co_u32 v172, vcc_lo, v159, v127
	scratch_load_b32 v159, off, off offset:20 ; 4-byte Folded Reload
	s_waitcnt vmcnt(0)
	v_add_co_ci_u32_e32 v173, vcc_lo, v159, v128, vcc_lo
	scratch_load_b32 v159, off, off offset:24 ; 4-byte Folded Reload
	s_waitcnt vmcnt(0)
	v_add_co_u32 v178, vcc_lo, v159, v127
	scratch_load_b32 v159, off, off offset:28 ; 4-byte Folded Reload
	s_waitcnt vmcnt(0)
	v_add_co_ci_u32_e32 v179, vcc_lo, v159, v128, vcc_lo
	global_load_b32 v175, v[172:173], off
	global_load_b32 v178, v[178:179], off
.LBB61_210:                             ;   in Loop: Header=BB61_145 Depth=1
	s_or_b32 exec_lo, exec_lo, s7
	v_add_co_u32 v172, vcc_lo, v129, 31
	v_add_co_ci_u32_e32 v173, vcc_lo, 0, v130, vcc_lo
	v_dual_mov_b32 v184, v182 :: v_dual_mov_b32 v183, v145
	s_waitcnt vmcnt(1)
	v_mov_b32_e32 v182, v180
	s_delay_alu instid0(VALU_DEP_3)
	v_cmp_gt_i64_e32 vcc_lo, s[16:17], v[172:173]
	v_dual_mov_b32 v173, 0 :: v_dual_mov_b32 v172, 0
	s_mov_b32 s7, 0
	s_and_saveexec_b32 s15, vcc_lo
	s_cbranch_execz .LBB61_212
; %bb.211:                              ;   in Loop: Header=BB61_145 Depth=1
	scratch_load_b32 v159, off, off         ; 4-byte Folded Reload
	s_waitcnt vmcnt(0)
	v_add_co_u32 v172, vcc_lo, v159, v127
	scratch_load_b32 v159, off, off offset:4 ; 4-byte Folded Reload
	s_waitcnt vmcnt(0)
	v_add_co_ci_u32_e32 v173, vcc_lo, v159, v128, vcc_lo
	scratch_load_b32 v159, off, off offset:8 ; 4-byte Folded Reload
	s_waitcnt vmcnt(0)
	v_add_co_u32 v179, vcc_lo, v159, v127
	scratch_load_b32 v159, off, off offset:12 ; 4-byte Folded Reload
	s_waitcnt vmcnt(0)
	v_add_co_ci_u32_e32 v180, vcc_lo, v159, v128, vcc_lo
	global_load_b32 v172, v[172:173], off
	global_load_b32 v173, v[179:180], off
.LBB61_212:                             ;   in Loop: Header=BB61_145 Depth=1
	s_or_b32 exec_lo, exec_lo, s15
	scratch_load_b32 v159, off, off offset:228 ; 4-byte Folded Reload
	ds_bpermute_b32 v179, v126, v125
	ds_bpermute_b32 v180, v126, v125 offset:4
	scratch_load_b32 v185, off, off offset:216 ; 4-byte Folded Reload
	s_waitcnt vmcnt(2) lgkmcnt(0)
	v_dual_sub_f32 v179, v189, v179 :: v_dual_sub_f32 v180, v191, v180
	scratch_load_b32 v189, off, off offset:220 ; 4-byte Folded Reload
	v_mov_b32_e32 v191, v190
	v_mul_f32_e32 v145, v182, v179
	ds_bpermute_b32 v179, v126, v147
	s_waitcnt lgkmcnt(0)
	v_fma_f32 v145, v145, v179, v146
	v_mul_f32_e32 v179, v181, v180
	ds_bpermute_b32 v180, v126, v147 offset:4
	s_waitcnt lgkmcnt(0)
	v_fmac_f32_e32 v145, v179, v180
	ds_bpermute_b32 v179, v126, v125 offset:8
	ds_bpermute_b32 v180, v126, v147 offset:8
	s_waitcnt vmcnt(2) lgkmcnt(1)
	v_sub_f32_e32 v179, v159, v179
	scratch_load_b32 v159, off, off offset:232 ; 4-byte Folded Reload
	v_mul_f32_e32 v179, v183, v179
	s_waitcnt lgkmcnt(0)
	s_delay_alu instid0(VALU_DEP_1)
	v_fmac_f32_e32 v145, v179, v180
	ds_bpermute_b32 v179, v126, v125 offset:12
	ds_bpermute_b32 v180, v126, v147 offset:12
	s_waitcnt vmcnt(0) lgkmcnt(1)
	v_sub_f32_e32 v179, v159, v179
	scratch_load_b32 v159, off, off offset:236 ; 4-byte Folded Reload
	v_mul_f32_e32 v179, v185, v179
	s_waitcnt lgkmcnt(0)
	s_delay_alu instid0(VALU_DEP_1)
	;; [unrolled: 9-line block ×7, first 2 shown]
	v_fmac_f32_e32 v145, v179, v180
	ds_bpermute_b32 v179, v126, v125 offset:36
	ds_bpermute_b32 v180, v126, v147 offset:36
	s_waitcnt vmcnt(0) lgkmcnt(1)
	v_sub_f32_e32 v179, v159, v179
	scratch_load_b32 v159, off, off offset:260 ; 4-byte Folded Reload
	v_mul_f32_e32 v179, v190, v179
	scratch_load_b32 v190, off, off offset:224 ; 4-byte Folded Reload
	s_waitcnt lgkmcnt(0)
	v_fmac_f32_e32 v145, v179, v180
	ds_bpermute_b32 v179, v126, v125 offset:40
	ds_bpermute_b32 v180, v126, v147 offset:40
	s_waitcnt vmcnt(1) lgkmcnt(1)
	v_sub_f32_e32 v179, v159, v179
	scratch_load_b32 v159, off, off offset:264 ; 4-byte Folded Reload
	s_waitcnt vmcnt(1)
	v_mul_f32_e32 v179, v190, v179
	s_waitcnt lgkmcnt(0)
	s_delay_alu instid0(VALU_DEP_1)
	v_fmac_f32_e32 v145, v179, v180
	ds_bpermute_b32 v179, v126, v125 offset:44
	ds_bpermute_b32 v180, v126, v147 offset:44
	s_waitcnt vmcnt(0) lgkmcnt(1)
	v_sub_f32_e32 v179, v159, v179
	scratch_load_b32 v159, off, off offset:268 ; 4-byte Folded Reload
	v_mul_f32_e32 v179, v149, v179
	s_waitcnt lgkmcnt(0)
	s_delay_alu instid0(VALU_DEP_1)
	v_fmac_f32_e32 v145, v179, v180
	ds_bpermute_b32 v179, v126, v125 offset:48
	ds_bpermute_b32 v180, v126, v147 offset:48
	s_waitcnt vmcnt(0) lgkmcnt(1)
	v_sub_f32_e32 v179, v159, v179
	scratch_load_b32 v159, off, off offset:276 ; 4-byte Folded Reload
	;; [unrolled: 9-line block ×5, first 2 shown]
	v_mul_f32_e32 v179, v152, v179
	s_waitcnt lgkmcnt(0)
	s_delay_alu instid0(VALU_DEP_1)
	v_fmac_f32_e32 v145, v179, v180
	ds_bpermute_b32 v180, v126, v125 offset:64
	s_waitcnt vmcnt(0)
	v_add_f32_e32 v179, v159, v182
	s_clause 0x1
	scratch_load_b32 v159, off, off offset:272
	scratch_load_b32 v182, off, off offset:288
	v_add_f32_e32 v179, v179, v181
	ds_bpermute_b32 v181, v126, v125 offset:68
	v_add_f32_e32 v179, v179, v183
	s_delay_alu instid0(VALU_DEP_1) | instskip(NEXT) | instid1(VALU_DEP_1)
	v_add_f32_e32 v179, v179, v185
	v_add_f32_e32 v179, v179, v184
	s_delay_alu instid0(VALU_DEP_1) | instskip(NEXT) | instid1(VALU_DEP_1)
	v_add_f32_e32 v179, v179, v187
	;; [unrolled: 3-line block ×4, first 2 shown]
	v_add_f32_e32 v179, v179, v190
	s_delay_alu instid0(VALU_DEP_1)
	v_add_f32_e32 v149, v179, v149
	ds_bpermute_b32 v179, v126, v147 offset:64
	v_add_f32_e32 v148, v149, v148
	ds_bpermute_b32 v149, v126, v125 offset:72
	;; [unrolled: 2-line block ×4, first 2 shown]
	v_add_f32_e32 v131, v131, v152
	s_delay_alu instid0(VALU_DEP_1) | instskip(NEXT) | instid1(VALU_DEP_1)
	v_add_f32_e32 v131, v131, v151
	v_add_f32_e32 v131, v131, v154
	s_delay_alu instid0(VALU_DEP_1) | instskip(NEXT) | instid1(VALU_DEP_1)
	v_add_f32_e32 v131, v131, v153
	;; [unrolled: 3-line block ×7, first 2 shown]
	v_add_f32_e32 v131, v131, v176
	s_waitcnt vmcnt(1) lgkmcnt(5)
	v_sub_f32_e32 v180, v159, v180
	scratch_load_b32 v159, off, off offset:280 ; 4-byte Folded Reload
	s_waitcnt vmcnt(1) lgkmcnt(2)
	v_sub_f32_e32 v149, v182, v149
	ds_bpermute_b32 v182, v126, v125 offset:84
	v_mul_f32_e32 v180, v151, v180
	scratch_load_b32 v151, off, off offset:296 ; 4-byte Folded Reload
	v_mul_f32_e32 v149, v153, v149
	ds_bpermute_b32 v153, v126, v125 offset:96
	v_fmac_f32_e32 v145, v180, v179
	ds_bpermute_b32 v179, v126, v147 offset:68
	ds_bpermute_b32 v180, v126, v125 offset:76
	s_waitcnt vmcnt(1)
	v_sub_f32_e32 v181, v159, v181
	ds_bpermute_b32 v159, v126, v147 offset:76
	s_waitcnt vmcnt(0) lgkmcnt(1)
	v_dual_mul_f32 v152, v154, v181 :: v_dual_sub_f32 v151, v151, v180
	ds_bpermute_b32 v181, v126, v147 offset:80
	ds_bpermute_b32 v154, v126, v125 offset:100
	v_fmac_f32_e32 v145, v152, v179
	ds_bpermute_b32 v152, v126, v125 offset:88
	ds_bpermute_b32 v179, v126, v147 offset:84
	v_dual_fmac_f32 v145, v149, v148 :: v_dual_mul_f32 v148, v156, v151
	scratch_load_b32 v151, off, off offset:300 ; 4-byte Folded Reload
	ds_bpermute_b32 v149, v126, v125 offset:92
	s_waitcnt lgkmcnt(5)
	v_fmac_f32_e32 v145, v148, v159
	ds_bpermute_b32 v148, v126, v147 offset:88
	s_waitcnt lgkmcnt(3)
	v_sub_f32_e32 v152, v162, v152
	s_waitcnt lgkmcnt(1)
	s_delay_alu instid0(VALU_DEP_1) | instskip(SKIP_1) | instid1(VALU_DEP_1)
	v_dual_mul_f32 v152, v157, v152 :: v_dual_sub_f32 v149, v164, v149
	s_waitcnt vmcnt(0)
	v_dual_mul_f32 v149, v161, v149 :: v_dual_sub_f32 v150, v151, v150
	v_sub_f32_e32 v151, v160, v182
	s_delay_alu instid0(VALU_DEP_1)
	v_dual_mul_f32 v150, v155, v150 :: v_dual_mul_f32 v151, v158, v151
	ds_bpermute_b32 v155, v126, v125 offset:104
	v_fmac_f32_e32 v145, v150, v181
	ds_bpermute_b32 v150, v126, v147 offset:92
	v_fmac_f32_e32 v145, v151, v179
	ds_bpermute_b32 v151, v126, v147 offset:96
	s_waitcnt lgkmcnt(3)
	v_fmac_f32_e32 v145, v152, v148
	ds_bpermute_b32 v148, v126, v147 offset:100
	v_sub_f32_e32 v152, v166, v153
	ds_bpermute_b32 v153, v126, v125 offset:108
	s_waitcnt lgkmcnt(3)
	v_fmac_f32_e32 v145, v149, v150
	v_mul_f32_e32 v149, v132, v152
	ds_bpermute_b32 v150, v126, v147 offset:104
	v_sub_f32_e32 v152, v167, v154
	ds_bpermute_b32 v154, v126, v125 offset:112
	s_waitcnt lgkmcnt(4)
	v_fmac_f32_e32 v145, v149, v151
	ds_bpermute_b32 v149, v126, v147 offset:108
	v_mul_f32_e32 v151, v165, v152
	v_sub_f32_e32 v152, v169, v155
	ds_bpermute_b32 v155, v126, v125 offset:116
	s_waitcnt lgkmcnt(5)
	v_fmac_f32_e32 v145, v151, v148
	ds_bpermute_b32 v148, v126, v147 offset:112
	ds_bpermute_b32 v151, v126, v125 offset:120
	v_mul_f32_e32 v132, v163, v152
	s_waitcnt lgkmcnt(6)
	v_sub_f32_e32 v152, v171, v153
	ds_bpermute_b32 v153, v126, v147 offset:116
	ds_bpermute_b32 v125, v126, v125 offset:124
	s_waitcnt lgkmcnt(7)
	v_dual_fmac_f32 v145, v132, v150 :: v_dual_mul_f32 v132, v170, v152
	s_waitcnt lgkmcnt(6)
	v_sub_f32_e32 v150, v174, v154
	ds_bpermute_b32 v152, v126, v147 offset:120
	s_waitcnt lgkmcnt(6)
	v_fmac_f32_e32 v145, v132, v149
	s_waitcnt lgkmcnt(5)
	v_dual_mul_f32 v149, v168, v150 :: v_dual_sub_f32 v150, v177, v155
	ds_bpermute_b32 v132, v126, v147 offset:124
	s_waitcnt lgkmcnt(5)
	v_fmac_f32_e32 v145, v149, v148
	s_waitcnt lgkmcnt(4)
	v_dual_mul_f32 v147, v176, v150 :: v_dual_sub_f32 v148, v178, v151
	s_waitcnt lgkmcnt(3)
	s_delay_alu instid0(VALU_DEP_1) | instskip(NEXT) | instid1(VALU_DEP_2)
	v_fmac_f32_e32 v145, v147, v153
	v_mul_f32_e32 v147, v175, v148
	s_waitcnt lgkmcnt(1)
	s_delay_alu instid0(VALU_DEP_1)
	v_fmac_f32_e32 v145, v147, v152
	v_add_f32_e32 v147, v131, v175
	s_and_b32 vcc_lo, exec_lo, s7
	s_cbranch_vccnz .LBB61_214
	s_branch .LBB61_217
.LBB61_213:                             ;   in Loop: Header=BB61_145 Depth=1
                                        ; implicit-def: $vgpr132
                                        ; implicit-def: $vgpr172
                                        ; implicit-def: $vgpr173
                                        ; implicit-def: $vgpr125
                                        ; implicit-def: $vgpr147
                                        ; implicit-def: $vgpr145
	s_cbranch_execz .LBB61_217
.LBB61_214:                             ;   in Loop: Header=BB61_145 Depth=1
	s_load_b32 s7, s[4:5], 0x0
	s_waitcnt lgkmcnt(0)
	s_cmp_lt_u32 s14, s7
	s_cselect_b32 s7, 12, 18
	s_delay_alu instid0(SALU_CYCLE_1)
	s_add_u32 s24, s4, s7
	s_addc_u32 s25, s5, 0
	s_mov_b32 s7, exec_lo
	global_load_u16 v125, v126, s[24:25]
	s_clause 0x1
	scratch_load_b32 v131, off, off offset:304
	scratch_load_b32 v132, off, off offset:308
	s_waitcnt vmcnt(0)
	v_mad_u32_u24 v125, v131, v125, v132
	v_mov_b32_e32 v131, 0
	s_delay_alu instid0(VALU_DEP_2) | instskip(NEXT) | instid1(VALU_DEP_1)
	v_and_b32_e32 v125, 31, v125
	v_add_co_u32 v129, vcc_lo, v129, v125
	v_add_co_ci_u32_e32 v130, vcc_lo, 0, v130, vcc_lo
	v_mov_b32_e32 v125, 0
	s_delay_alu instid0(VALU_DEP_2)
	v_cmpx_gt_i64_e64 s[16:17], v[129:130]
	s_cbranch_execz .LBB61_216
; %bb.215:                              ;   in Loop: Header=BB61_145 Depth=1
	v_lshlrev_b64 v[129:130], 2, v[129:130]
	s_delay_alu instid0(VALU_DEP_1) | instskip(NEXT) | instid1(VALU_DEP_2)
	v_add_co_u32 v131, vcc_lo, s8, v129
	v_add_co_ci_u32_e32 v132, vcc_lo, s9, v130, vcc_lo
	v_add_co_u32 v129, vcc_lo, s10, v129
	v_add_co_ci_u32_e32 v130, vcc_lo, s11, v130, vcc_lo
	global_load_b32 v131, v[131:132], off
	global_load_b32 v125, v[129:130], off
.LBB61_216:                             ;   in Loop: Header=BB61_145 Depth=1
	s_or_b32 exec_lo, exec_lo, s7
	v_add_co_u32 v129, vcc_lo, v138, v127
	v_add_co_ci_u32_e32 v130, vcc_lo, v139, v128, vcc_lo
	s_waitcnt vmcnt(1)
	ds_bpermute_b32 v145, v126, v131 offset:4
	global_load_b32 v132, v[129:130], off
	v_add_co_u32 v129, vcc_lo, v136, v127
	v_add_co_ci_u32_e32 v130, vcc_lo, v137, v128, vcc_lo
	v_add_co_u32 v147, vcc_lo, v9, v127
	v_add_co_ci_u32_e32 v148, vcc_lo, v10, v128, vcc_lo
	global_load_b32 v129, v[129:130], off
	ds_bpermute_b32 v130, v126, v131
	s_waitcnt vmcnt(1) lgkmcnt(0)
	v_sub_f32_e32 v130, v132, v130
	ds_bpermute_b32 v132, v126, v125
	s_waitcnt vmcnt(0)
	v_mul_f32_e32 v130, v129, v130
	s_waitcnt lgkmcnt(0)
	s_delay_alu instid0(VALU_DEP_1)
	v_fmac_f32_e32 v146, v130, v132
	global_load_b32 v132, v[147:148], off
	v_add_co_u32 v147, vcc_lo, v1, v127
	v_add_co_ci_u32_e32 v148, vcc_lo, v2, v128, vcc_lo
	global_load_b32 v130, v[147:148], off
	v_add_co_u32 v147, vcc_lo, v13, v127
	v_add_co_ci_u32_e32 v148, vcc_lo, v14, v128, vcc_lo
	s_waitcnt vmcnt(1)
	v_sub_f32_e32 v132, v132, v145
	ds_bpermute_b32 v145, v126, v125 offset:4
	s_waitcnt vmcnt(0)
	v_mul_f32_e32 v132, v130, v132
	s_waitcnt lgkmcnt(0)
	s_delay_alu instid0(VALU_DEP_1)
	v_fmac_f32_e32 v146, v132, v145
	global_load_b32 v145, v[147:148], off
	v_add_co_u32 v147, vcc_lo, v3, v127
	v_add_co_ci_u32_e32 v148, vcc_lo, v4, v128, vcc_lo
	global_load_b32 v132, v[147:148], off
	ds_bpermute_b32 v147, v126, v131 offset:8
	s_waitcnt vmcnt(1) lgkmcnt(0)
	v_sub_f32_e32 v145, v145, v147
	ds_bpermute_b32 v147, v126, v125 offset:8
	s_waitcnt vmcnt(0)
	v_mul_f32_e32 v145, v132, v145
	s_waitcnt lgkmcnt(0)
	s_delay_alu instid0(VALU_DEP_1)
	v_fmac_f32_e32 v146, v145, v147
	v_add_co_u32 v147, vcc_lo, v15, v127
	v_add_co_ci_u32_e32 v148, vcc_lo, v16, v128, vcc_lo
	global_load_b32 v149, v[147:148], off
	v_add_co_u32 v147, vcc_lo, v5, v127
	v_add_co_ci_u32_e32 v148, vcc_lo, v6, v128, vcc_lo
	global_load_b32 v145, v[147:148], off
	ds_bpermute_b32 v147, v126, v131 offset:12
	ds_bpermute_b32 v148, v126, v125 offset:12
	s_waitcnt vmcnt(1) lgkmcnt(1)
	v_sub_f32_e32 v147, v149, v147
	s_waitcnt vmcnt(0)
	s_delay_alu instid0(VALU_DEP_1) | instskip(SKIP_1) | instid1(VALU_DEP_1)
	v_mul_f32_e32 v147, v145, v147
	s_waitcnt lgkmcnt(0)
	v_fmac_f32_e32 v146, v147, v148
	v_add_co_u32 v147, vcc_lo, v17, v127
	v_add_co_ci_u32_e32 v148, vcc_lo, v18, v128, vcc_lo
	global_load_b32 v149, v[147:148], off
	v_add_co_u32 v147, vcc_lo, v7, v127
	v_add_co_ci_u32_e32 v148, vcc_lo, v8, v128, vcc_lo
	global_load_b32 v147, v[147:148], off
	ds_bpermute_b32 v148, v126, v131 offset:16
	s_waitcnt vmcnt(1) lgkmcnt(0)
	v_sub_f32_e32 v148, v149, v148
	ds_bpermute_b32 v149, v126, v125 offset:16
	s_waitcnt vmcnt(0)
	v_mul_f32_e32 v148, v147, v148
	s_waitcnt lgkmcnt(0)
	s_delay_alu instid0(VALU_DEP_1)
	v_fmac_f32_e32 v146, v148, v149
	v_add_co_u32 v148, vcc_lo, v21, v127
	v_add_co_ci_u32_e32 v149, vcc_lo, v22, v128, vcc_lo
	global_load_b32 v150, v[148:149], off
	v_add_co_u32 v148, vcc_lo, v11, v127
	v_add_co_ci_u32_e32 v149, vcc_lo, v12, v128, vcc_lo
	global_load_b32 v148, v[148:149], off
	ds_bpermute_b32 v149, v126, v131 offset:20
	s_waitcnt vmcnt(1) lgkmcnt(0)
	v_sub_f32_e32 v149, v150, v149
	ds_bpermute_b32 v150, v126, v125 offset:20
	s_waitcnt vmcnt(0)
	v_mul_f32_e32 v149, v148, v149
	s_waitcnt lgkmcnt(0)
	s_delay_alu instid0(VALU_DEP_1)
	v_fmac_f32_e32 v146, v149, v150
	v_add_co_u32 v149, vcc_lo, v23, v127
	v_add_co_ci_u32_e32 v150, vcc_lo, v24, v128, vcc_lo
	global_load_b32 v151, v[149:150], off
	v_add_co_u32 v149, vcc_lo, v19, v127
	v_add_co_ci_u32_e32 v150, vcc_lo, v20, v128, vcc_lo
	global_load_b32 v152, v[149:150], off
	ds_bpermute_b32 v149, v126, v131 offset:24
	ds_bpermute_b32 v150, v126, v125 offset:24
	s_waitcnt vmcnt(1) lgkmcnt(1)
	v_sub_f32_e32 v149, v151, v149
	s_waitcnt vmcnt(0)
	s_delay_alu instid0(VALU_DEP_1) | instskip(SKIP_1) | instid1(VALU_DEP_1)
	v_mul_f32_e32 v149, v152, v149
	s_waitcnt lgkmcnt(0)
	v_fmac_f32_e32 v146, v149, v150
	v_add_co_u32 v149, vcc_lo, v27, v127
	v_add_co_ci_u32_e32 v150, vcc_lo, v28, v128, vcc_lo
	global_load_b32 v151, v[149:150], off
	v_add_co_u32 v149, vcc_lo, v25, v127
	v_add_co_ci_u32_e32 v150, vcc_lo, v26, v128, vcc_lo
	global_load_b32 v153, v[149:150], off
	ds_bpermute_b32 v149, v126, v131 offset:28
	ds_bpermute_b32 v150, v126, v125 offset:28
	s_waitcnt vmcnt(1) lgkmcnt(1)
	v_sub_f32_e32 v149, v151, v149
	s_waitcnt vmcnt(0)
	s_delay_alu instid0(VALU_DEP_1) | instskip(SKIP_1) | instid1(VALU_DEP_1)
	v_mul_f32_e32 v149, v153, v149
	s_waitcnt lgkmcnt(0)
	;; [unrolled: 15-line block ×25, first 2 shown]
	v_fmac_f32_e32 v146, v149, v150
	v_add_co_u32 v149, vcc_lo, v121, v127
	v_add_co_ci_u32_e32 v150, vcc_lo, v122, v128, vcc_lo
	global_load_b32 v172, v[149:150], off
	v_add_co_u32 v149, vcc_lo, v123, v127
	v_add_co_ci_u32_e32 v150, vcc_lo, v124, v128, vcc_lo
	global_load_b32 v173, v[149:150], off
	scratch_load_b32 v149, off, off offset:208 ; 4-byte Folded Reload
	s_waitcnt vmcnt(0)
	v_add_f32_e32 v129, v149, v129
	s_delay_alu instid0(VALU_DEP_1) | instskip(NEXT) | instid1(VALU_DEP_1)
	v_add_f32_e32 v129, v129, v130
	v_add_f32_e32 v129, v129, v132
	ds_bpermute_b32 v132, v126, v125 offset:124
	ds_bpermute_b32 v125, v126, v131 offset:124
	v_add_f32_e32 v129, v129, v145
	v_mov_b32_e32 v145, v146
	s_delay_alu instid0(VALU_DEP_2) | instskip(NEXT) | instid1(VALU_DEP_1)
	v_add_f32_e32 v129, v129, v147
	v_add_f32_e32 v129, v129, v148
	s_delay_alu instid0(VALU_DEP_1) | instskip(NEXT) | instid1(VALU_DEP_1)
	v_add_f32_e32 v129, v129, v152
	v_add_f32_e32 v129, v129, v153
	s_delay_alu instid0(VALU_DEP_1) | instskip(NEXT) | instid1(VALU_DEP_1)
	;; [unrolled: 3-line block ×12, first 2 shown]
	v_add_f32_e32 v129, v129, v176
	v_add_f32_e32 v129, v129, v177
	s_delay_alu instid0(VALU_DEP_1)
	v_add_f32_e32 v147, v129, v178
.LBB61_217:                             ;   in Loop: Header=BB61_145 Depth=1
	s_waitcnt lgkmcnt(0)
	v_sub_f32_e32 v125, v173, v125
	scratch_load_b32 v180, off, off offset:212 ; 4-byte Folded Reload
	v_add_co_u32 v1, vcc_lo, v1, s12
	v_add_co_ci_u32_e32 v2, vcc_lo, s13, v2, vcc_lo
	v_mul_f32_e32 v125, v172, v125
	v_add_co_u32 v3, vcc_lo, v3, s12
	v_add_co_ci_u32_e32 v4, vcc_lo, s13, v4, vcc_lo
	s_delay_alu instid0(VALU_DEP_3)
	v_fmac_f32_e32 v145, v125, v132
	v_add_f32_e32 v125, v147, v172
	v_add_co_u32 v5, vcc_lo, v5, s12
	v_add_co_ci_u32_e32 v6, vcc_lo, s13, v6, vcc_lo
	scratch_store_b32 off, v125, off offset:208 ; 4-byte Folded Spill
	scratch_load_b32 v125, off, off         ; 4-byte Folded Reload
	v_add_co_u32 v7, vcc_lo, v7, s12
	v_add_co_ci_u32_e32 v8, vcc_lo, s13, v8, vcc_lo
	v_add_co_u32 v11, vcc_lo, v11, s12
	v_add_co_ci_u32_e32 v12, vcc_lo, s13, v12, vcc_lo
	;; [unrolled: 2-line block ×61, first 2 shown]
	s_add_u32 s22, s22, s3
	s_addc_u32 s23, s23, 0
	s_add_u32 s20, s20, s3
	v_cmp_ge_i64_e64 s7, s[22:23], s[16:17]
	s_addc_u32 s21, s21, 0
	s_waitcnt vmcnt(1)
	v_add_co_u32 v180, vcc_lo, v180, s3
	v_add_co_ci_u32_e32 v144, vcc_lo, 0, v144, vcc_lo
	s_waitcnt vmcnt(0)
	v_add_co_u32 v125, vcc_lo, v125, s12
	scratch_store_b32 off, v125, off        ; 4-byte Folded Spill
	scratch_load_b32 v125, off, off offset:4 ; 4-byte Folded Reload
	s_waitcnt vmcnt(0)
	v_add_co_ci_u32_e32 v125, vcc_lo, s13, v125, vcc_lo
	scratch_store_b32 off, v125, off offset:4 ; 4-byte Folded Spill
	scratch_load_b32 v125, off, off offset:8 ; 4-byte Folded Reload
	s_waitcnt vmcnt(0)
	v_add_co_u32 v125, vcc_lo, v125, s12
	scratch_store_b32 off, v125, off offset:8 ; 4-byte Folded Spill
	scratch_load_b32 v125, off, off offset:12 ; 4-byte Folded Reload
	s_waitcnt vmcnt(0)
	v_add_co_ci_u32_e32 v125, vcc_lo, s13, v125, vcc_lo
	scratch_store_b32 off, v125, off offset:12 ; 4-byte Folded Spill
	scratch_load_b32 v125, off, off offset:16 ; 4-byte Folded Reload
	s_waitcnt vmcnt(0)
	v_add_co_u32 v125, vcc_lo, v125, s12
	scratch_store_b32 off, v125, off offset:16 ; 4-byte Folded Spill
	;; [unrolled: 8-line block ×25, first 2 shown]
	scratch_load_b32 v125, off, off offset:204 ; 4-byte Folded Reload
	s_waitcnt vmcnt(0)
	v_add_co_ci_u32_e32 v125, vcc_lo, s13, v125, vcc_lo
	v_add_co_u32 v192, vcc_lo, v192, s12
	v_add_co_ci_u32_e32 v193, vcc_lo, s13, v193, vcc_lo
	v_add_co_u32 v194, vcc_lo, v194, s12
	;; [unrolled: 2-line block ×36, first 2 shown]
	v_add_co_ci_u32_e32 v143, vcc_lo, s13, v143, vcc_lo
	s_and_b32 vcc_lo, exec_lo, s7
	scratch_store_b32 off, v125, off offset:204 ; 4-byte Folded Spill
	s_cbranch_vccnz .LBB61_219
; %bb.218:                              ;   in Loop: Header=BB61_145 Depth=1
	v_mov_b32_e32 v146, v145
	s_branch .LBB61_145
.LBB61_219:
	s_clause 0x1
	scratch_load_b32 v226, off, off offset:312
	scratch_load_b32 v227, off, off offset:208
.LBB61_220:
	s_mov_b32 s15, 0
	s_mov_b32 s3, exec_lo
	s_lshl_b64 s[4:5], s[14:15], 5
	s_waitcnt vmcnt(1)
	v_dual_mov_b32 v5, s5 :: v_dual_and_b32 v0, 0x3ff, v226
	s_delay_alu instid0(VALU_DEP_1) | instskip(NEXT) | instid1(VALU_DEP_1)
	v_or_b32_e32 v4, s4, v0
	v_cmpx_gt_i64_e64 s[18:19], v[4:5]
	s_cbranch_execz .LBB61_225
; %bb.221:
	s_clause 0x1
	s_load_b32 s3, s[0:1], 0x4c
	s_load_b128 s[4:7], s[0:1], 0x30
	v_bfe_u32 v0, v226, 10, 10
	v_mov_b32_e32 v1, 0
	s_waitcnt lgkmcnt(0)
	s_lshr_b32 s0, s3, 16
	s_cmp_eq_u64 s[4:5], 0
	s_delay_alu instid0(VALU_DEP_1) | instskip(SKIP_1) | instid1(VALU_DEP_2)
	v_mad_u64_u32 v[2:3], null, s0, s2, v[0:1]
	v_lshlrev_b64 v[0:1], 2, v[4:5]
	v_mul_lo_u32 v3, v3, s18
	s_delay_alu instid0(VALU_DEP_3)
	v_mul_lo_u32 v6, v2, s19
	s_cbranch_scc1 .LBB61_223
; %bb.222:
	v_mad_u64_u32 v[4:5], null, v2, s18, 0
	s_delay_alu instid0(VALU_DEP_1) | instskip(NEXT) | instid1(VALU_DEP_1)
	v_add3_u32 v5, v5, v6, v3
	v_lshlrev_b64 v[4:5], 2, v[4:5]
	s_delay_alu instid0(VALU_DEP_1) | instskip(NEXT) | instid1(VALU_DEP_2)
	v_add_co_u32 v4, vcc_lo, s4, v4
	v_add_co_ci_u32_e32 v5, vcc_lo, s5, v5, vcc_lo
	s_delay_alu instid0(VALU_DEP_2) | instskip(NEXT) | instid1(VALU_DEP_2)
	v_add_co_u32 v4, vcc_lo, v4, v0
	v_add_co_ci_u32_e32 v5, vcc_lo, v5, v1, vcc_lo
	global_store_b32 v[4:5], v145, off
.LBB61_223:
	s_cmp_eq_u64 s[6:7], 0
	s_cbranch_scc1 .LBB61_225
; %bb.224:
	v_mad_u64_u32 v[4:5], null, v2, s18, 0
	s_delay_alu instid0(VALU_DEP_1) | instskip(NEXT) | instid1(VALU_DEP_1)
	v_add3_u32 v5, v5, v6, v3
	v_lshlrev_b64 v[2:3], 2, v[4:5]
	s_delay_alu instid0(VALU_DEP_1) | instskip(NEXT) | instid1(VALU_DEP_2)
	v_add_co_u32 v2, vcc_lo, s6, v2
	v_add_co_ci_u32_e32 v3, vcc_lo, s7, v3, vcc_lo
	s_delay_alu instid0(VALU_DEP_2) | instskip(NEXT) | instid1(VALU_DEP_2)
	v_add_co_u32 v0, vcc_lo, v2, v0
	v_add_co_ci_u32_e32 v1, vcc_lo, v3, v1, vcc_lo
	s_waitcnt vmcnt(0)
	global_store_b32 v[0:1], v227, off
.LBB61_225:
	s_endpgm
	.section	.rodata,"a",@progbits
	.p2align	6, 0x0
	.amdhsa_kernel _ZN2at6native12_GLOBAL__N_135GammaBetaBackwardCUDAKernelTemplateIffLj32ELj1ELj32ELb1ELb0ELb0EEEvllPKT_S5_PKT0_S8_PS3_S9_
		.amdhsa_group_segment_fixed_size 0
		.amdhsa_private_segment_fixed_size 320
		.amdhsa_kernarg_size 320
		.amdhsa_user_sgpr_count 14
		.amdhsa_user_sgpr_dispatch_ptr 0
		.amdhsa_user_sgpr_queue_ptr 0
		.amdhsa_user_sgpr_kernarg_segment_ptr 1
		.amdhsa_user_sgpr_dispatch_id 0
		.amdhsa_user_sgpr_private_segment_size 0
		.amdhsa_wavefront_size32 1
		.amdhsa_uses_dynamic_stack 0
		.amdhsa_enable_private_segment 1
		.amdhsa_system_sgpr_workgroup_id_x 1
		.amdhsa_system_sgpr_workgroup_id_y 1
		.amdhsa_system_sgpr_workgroup_id_z 0
		.amdhsa_system_sgpr_workgroup_info 0
		.amdhsa_system_vgpr_workitem_id 1
		.amdhsa_next_free_vgpr 256
		.amdhsa_next_free_sgpr 36
		.amdhsa_reserve_vcc 1
		.amdhsa_float_round_mode_32 0
		.amdhsa_float_round_mode_16_64 0
		.amdhsa_float_denorm_mode_32 3
		.amdhsa_float_denorm_mode_16_64 3
		.amdhsa_dx10_clamp 1
		.amdhsa_ieee_mode 1
		.amdhsa_fp16_overflow 0
		.amdhsa_workgroup_processor_mode 1
		.amdhsa_memory_ordered 1
		.amdhsa_forward_progress 0
		.amdhsa_shared_vgpr_count 0
		.amdhsa_exception_fp_ieee_invalid_op 0
		.amdhsa_exception_fp_denorm_src 0
		.amdhsa_exception_fp_ieee_div_zero 0
		.amdhsa_exception_fp_ieee_overflow 0
		.amdhsa_exception_fp_ieee_underflow 0
		.amdhsa_exception_fp_ieee_inexact 0
		.amdhsa_exception_int_div_zero 0
	.end_amdhsa_kernel
	.section	.text._ZN2at6native12_GLOBAL__N_135GammaBetaBackwardCUDAKernelTemplateIffLj32ELj1ELj32ELb1ELb0ELb0EEEvllPKT_S5_PKT0_S8_PS3_S9_,"axG",@progbits,_ZN2at6native12_GLOBAL__N_135GammaBetaBackwardCUDAKernelTemplateIffLj32ELj1ELj32ELb1ELb0ELb0EEEvllPKT_S5_PKT0_S8_PS3_S9_,comdat
.Lfunc_end61:
	.size	_ZN2at6native12_GLOBAL__N_135GammaBetaBackwardCUDAKernelTemplateIffLj32ELj1ELj32ELb1ELb0ELb0EEEvllPKT_S5_PKT0_S8_PS3_S9_, .Lfunc_end61-_ZN2at6native12_GLOBAL__N_135GammaBetaBackwardCUDAKernelTemplateIffLj32ELj1ELj32ELb1ELb0ELb0EEEvllPKT_S5_PKT0_S8_PS3_S9_
                                        ; -- End function
	.section	.AMDGPU.csdata,"",@progbits
; Kernel info:
; codeLenInByte = 27660
; NumSgprs: 38
; NumVgprs: 256
; ScratchSize: 320
; MemoryBound: 0
; FloatMode: 240
; IeeeMode: 1
; LDSByteSize: 0 bytes/workgroup (compile time only)
; SGPRBlocks: 4
; VGPRBlocks: 31
; NumSGPRsForWavesPerEU: 38
; NumVGPRsForWavesPerEU: 256
; Occupancy: 5
; WaveLimiterHint : 0
; COMPUTE_PGM_RSRC2:SCRATCH_EN: 1
; COMPUTE_PGM_RSRC2:USER_SGPR: 14
; COMPUTE_PGM_RSRC2:TRAP_HANDLER: 0
; COMPUTE_PGM_RSRC2:TGID_X_EN: 1
; COMPUTE_PGM_RSRC2:TGID_Y_EN: 1
; COMPUTE_PGM_RSRC2:TGID_Z_EN: 0
; COMPUTE_PGM_RSRC2:TIDIG_COMP_CNT: 1
	.section	.text._ZN2at6native12_GLOBAL__N_135GammaBetaBackwardCUDAKernelTemplateIffLj32ELj1ELj8ELb1ELb1ELb0EEEvllPKT_S5_PKT0_S8_PS3_S9_,"axG",@progbits,_ZN2at6native12_GLOBAL__N_135GammaBetaBackwardCUDAKernelTemplateIffLj32ELj1ELj8ELb1ELb1ELb0EEEvllPKT_S5_PKT0_S8_PS3_S9_,comdat
	.globl	_ZN2at6native12_GLOBAL__N_135GammaBetaBackwardCUDAKernelTemplateIffLj32ELj1ELj8ELb1ELb1ELb0EEEvllPKT_S5_PKT0_S8_PS3_S9_ ; -- Begin function _ZN2at6native12_GLOBAL__N_135GammaBetaBackwardCUDAKernelTemplateIffLj32ELj1ELj8ELb1ELb1ELb0EEEvllPKT_S5_PKT0_S8_PS3_S9_
	.p2align	8
	.type	_ZN2at6native12_GLOBAL__N_135GammaBetaBackwardCUDAKernelTemplateIffLj32ELj1ELj8ELb1ELb1ELb0EEEvllPKT_S5_PKT0_S8_PS3_S9_,@function
_ZN2at6native12_GLOBAL__N_135GammaBetaBackwardCUDAKernelTemplateIffLj32ELj1ELj8ELb1ELb1ELb0EEEvllPKT_S5_PKT0_S8_PS3_S9_: ; @_ZN2at6native12_GLOBAL__N_135GammaBetaBackwardCUDAKernelTemplateIffLj32ELj1ELj8ELb1ELb1ELb0EEEvllPKT_S5_PKT0_S8_PS3_S9_
; %bb.0:
	s_load_b128 s[16:19], s[0:1], 0x0
	s_mov_b32 s13, 0
	s_lshl_b32 s12, s15, 3
	v_bfe_u32 v6, v0, 10, 10
	s_mov_b32 s2, s15
	s_waitcnt lgkmcnt(0)
	v_cmp_lt_i64_e64 s3, s[12:13], s[16:17]
	s_delay_alu instid0(VALU_DEP_1)
	s_and_b32 vcc_lo, exec_lo, s3
	s_cbranch_vccnz .LBB62_2
; %bb.1:
	v_bfe_u32 v1, v0, 10, 10
	s_add_u32 s24, s0, 64
	s_addc_u32 s25, s1, 0
	s_mov_b32 s4, 0
	s_mov_b32 s3, s13
	s_branch .LBB62_3
.LBB62_2:
	s_mov_b32 s3, -1
                                        ; implicit-def: $sgpr4
                                        ; implicit-def: $sgpr24_sgpr25
                                        ; implicit-def: $vgpr1
.LBB62_3:
	s_load_b128 s[20:23], s[0:1], 0x30
	v_mov_b32_e32 v17, s4
	v_and_b32_e32 v7, 0x3ff, v0
	v_mov_b32_e32 v9, s4
	s_and_not1_b32 vcc_lo, exec_lo, s3
	s_cbranch_vccnz .LBB62_11
; %bb.4:
	s_clause 0x2
	s_load_b32 s3, s[0:1], 0x4c
	s_load_b32 s15, s[0:1], 0x44
	s_load_b256 s[4:11], s[0:1], 0x10
	v_dual_mov_b32 v1, 0 :: v_dual_lshlrev_b32 v0, 3, v6
	s_add_u32 s24, s0, 64
	s_addc_u32 s25, s1, 0
	v_dual_mov_b32 v8, 8 :: v_dual_mov_b32 v11, 12
	s_delay_alu instid0(VALU_DEP_2) | instskip(NEXT) | instid1(VALU_DEP_1)
	v_add_co_u32 v2, s0, v0, s12
	v_add_co_ci_u32_e64 v3, null, 0, 0, s0
	v_lshl_add_u32 v0, s14, 5, v7
	s_delay_alu instid0(VALU_DEP_3) | instskip(SKIP_1) | instid1(VALU_DEP_4)
	v_mul_lo_u32 v9, s19, v2
	v_mad_u64_u32 v[4:5], null, s18, v2, 0
	v_mul_lo_u32 v18, s18, v3
	s_delay_alu instid0(VALU_DEP_4)
	v_lshlrev_b64 v[16:17], 2, v[0:1]
	v_dual_mov_b32 v10, 4 :: v_dual_mov_b32 v13, 20
	s_waitcnt lgkmcnt(0)
	s_and_b32 s0, s3, 0xffff
	s_lshl_b32 s26, s15, 3
	v_mad_u32_u24 v15, v6, s0, v7
	s_mul_i32 s1, s19, s26
	v_add3_u32 v5, v5, v18, v9
	s_mul_hi_u32 s3, s18, s26
	v_mov_b32_e32 v12, 16
	v_and_b32_e32 v20, 31, v15
	v_dual_mov_b32 v14, 24 :: v_dual_mov_b32 v9, 0
	v_lshlrev_b64 v[18:19], 2, v[4:5]
	v_mov_b32_e32 v15, 28
	s_delay_alu instid0(VALU_DEP_4) | instskip(SKIP_1) | instid1(VALU_DEP_4)
	v_add_co_u32 v2, vcc_lo, v2, v20
	v_add_co_ci_u32_e32 v3, vcc_lo, 0, v3, vcc_lo
	v_add_co_u32 v0, vcc_lo, v18, v16
	v_add_co_ci_u32_e32 v16, vcc_lo, v19, v17, vcc_lo
	s_delay_alu instid0(VALU_DEP_3)
	v_lshlrev_b64 v[4:5], 2, v[2:3]
	v_mov_b32_e32 v17, 0
	v_cmp_gt_u32_e64 s0, 8, v20
	s_mov_b32 s27, 0
	s_add_i32 s31, s3, s1
	s_mul_i32 s30, s18, s26
	s_lshl_b64 s[28:29], s[26:27], 2
	s_lshl_b64 s[30:31], s[30:31], 2
	;; [unrolled: 1-line block ×3, first 2 shown]
	s_branch .LBB62_7
.LBB62_5:                               ;   in Loop: Header=BB62_7 Depth=1
	s_or_b32 exec_lo, exec_lo, s3
.LBB62_6:                               ;   in Loop: Header=BB62_7 Depth=1
	s_delay_alu instid0(SALU_CYCLE_1)
	s_or_b32 exec_lo, exec_lo, s1
	v_add_co_u32 v20, vcc_lo, s4, v0
	v_add_co_ci_u32_e32 v21, vcc_lo, s5, v16, vcc_lo
	v_add_co_u32 v22, vcc_lo, s6, v0
	v_add_co_ci_u32_e32 v23, vcc_lo, s7, v16, vcc_lo
	global_load_b32 v30, v[20:21], off
	v_add_co_u32 v20, vcc_lo, v20, s34
	v_add_co_ci_u32_e32 v21, vcc_lo, s35, v21, vcc_lo
	v_add_co_u32 v24, vcc_lo, v22, s34
	v_add_co_ci_u32_e32 v25, vcc_lo, s35, v23, vcc_lo
	s_delay_alu instid0(VALU_DEP_4) | instskip(NEXT) | instid1(VALU_DEP_4)
	v_add_co_u32 v26, vcc_lo, v20, s34
	v_add_co_ci_u32_e32 v27, vcc_lo, s35, v21, vcc_lo
	s_delay_alu instid0(VALU_DEP_4) | instskip(NEXT) | instid1(VALU_DEP_4)
	v_add_co_u32 v28, vcc_lo, v24, s34
	v_add_co_ci_u32_e32 v29, vcc_lo, s35, v25, vcc_lo
	global_load_b32 v31, v[22:23], off
	global_load_b32 v32, v[20:21], off
	;; [unrolled: 1-line block ×5, first 2 shown]
	v_add_co_u32 v20, vcc_lo, v28, s34
	v_add_co_ci_u32_e32 v21, vcc_lo, s35, v29, vcc_lo
	v_add_co_u32 v22, vcc_lo, v26, s34
	v_add_co_ci_u32_e32 v23, vcc_lo, s35, v27, vcc_lo
	global_load_b32 v36, v[20:21], off
	v_add_co_u32 v24, vcc_lo, v22, s34
	v_add_co_ci_u32_e32 v25, vcc_lo, s35, v23, vcc_lo
	v_add_co_u32 v20, vcc_lo, v20, s34
	v_add_co_ci_u32_e32 v21, vcc_lo, s35, v21, vcc_lo
	s_delay_alu instid0(VALU_DEP_4) | instskip(NEXT) | instid1(VALU_DEP_4)
	v_add_co_u32 v26, vcc_lo, v24, s34
	v_add_co_ci_u32_e32 v27, vcc_lo, s35, v25, vcc_lo
	s_delay_alu instid0(VALU_DEP_4) | instskip(NEXT) | instid1(VALU_DEP_4)
	v_add_co_u32 v28, vcc_lo, v20, s34
	v_add_co_ci_u32_e32 v29, vcc_lo, s35, v21, vcc_lo
	s_clause 0x1
	global_load_b32 v37, v[22:23], off
	global_load_b32 v24, v[24:25], off
	;; [unrolled: 1-line block ×5, first 2 shown]
	v_add_co_u32 v20, vcc_lo, v28, s34
	v_add_co_ci_u32_e32 v21, vcc_lo, s35, v29, vcc_lo
	v_add_co_u32 v22, vcc_lo, v26, s34
	v_add_co_ci_u32_e32 v23, vcc_lo, s35, v27, vcc_lo
	global_load_b32 v26, v[20:21], off
	v_add_co_u32 v20, vcc_lo, v20, s34
	v_add_co_ci_u32_e32 v21, vcc_lo, s35, v21, vcc_lo
	global_load_b32 v27, v[22:23], off
	global_load_b32 v28, v[20:21], off
	v_add_co_u32 v20, vcc_lo, v22, s34
	v_add_co_ci_u32_e32 v21, vcc_lo, s35, v23, vcc_lo
	s_waitcnt vmcnt(16)
	ds_bpermute_b32 v22, v10, v19
	s_waitcnt vmcnt(15)
	ds_bpermute_b32 v23, v1, v18
	ds_bpermute_b32 v29, v8, v19
	global_load_b32 v20, v[20:21], off
	ds_bpermute_b32 v21, v1, v19
	ds_bpermute_b32 v40, v10, v18
	;; [unrolled: 1-line block ×5, first 2 shown]
	v_add_co_u32 v4, vcc_lo, v4, s28
	s_add_u32 s12, s12, s26
	v_add_co_ci_u32_e32 v5, vcc_lo, s29, v5, vcc_lo
	s_addc_u32 s13, s13, 0
	v_add_co_u32 v2, vcc_lo, v2, s26
	v_add_co_ci_u32_e32 v3, vcc_lo, 0, v3, vcc_lo
	v_cmp_lt_i64_e64 s1, s[12:13], s[16:17]
	v_add_co_u32 v0, vcc_lo, v0, s30
	v_add_co_ci_u32_e32 v16, vcc_lo, s31, v16, vcc_lo
	s_delay_alu instid0(VALU_DEP_3)
	s_and_b32 vcc_lo, exec_lo, s1
	s_waitcnt vmcnt(15)
	v_add_f32_e32 v17, v17, v30
	s_waitcnt vmcnt(14) lgkmcnt(4)
	v_sub_f32_e32 v21, v31, v21
	ds_bpermute_b32 v31, v8, v18
	s_waitcnt vmcnt(12)
	v_sub_f32_e32 v22, v33, v22
	ds_bpermute_b32 v33, v11, v18
	v_mul_f32_e32 v21, v30, v21
	ds_bpermute_b32 v30, v13, v18
	v_fmac_f32_e32 v9, v21, v23
	s_waitcnt vmcnt(10)
	v_dual_mul_f32 v21, v32, v22 :: v_dual_sub_f32 v22, v35, v29
	ds_bpermute_b32 v23, v12, v18
	ds_bpermute_b32 v29, v14, v19
	v_add_f32_e32 v17, v17, v32
	s_waitcnt lgkmcnt(8)
	v_fmac_f32_e32 v9, v21, v40
	s_waitcnt vmcnt(9) lgkmcnt(7)
	v_dual_mul_f32 v21, v34, v22 :: v_dual_sub_f32 v22, v36, v41
	ds_bpermute_b32 v19, v15, v19
	s_waitcnt lgkmcnt(5)
	v_fmac_f32_e32 v9, v21, v31
	s_waitcnt vmcnt(8)
	v_mul_f32_e32 v21, v37, v22
	s_waitcnt vmcnt(6)
	v_sub_f32_e32 v22, v25, v42
	ds_bpermute_b32 v25, v14, v18
	ds_bpermute_b32 v18, v15, v18
	s_waitcnt lgkmcnt(6)
	v_fmac_f32_e32 v9, v21, v33
	s_waitcnt vmcnt(4)
	v_dual_mul_f32 v21, v24, v22 :: v_dual_sub_f32 v22, v39, v43
	s_waitcnt lgkmcnt(4)
	s_delay_alu instid0(VALU_DEP_1) | instskip(NEXT) | instid1(VALU_DEP_2)
	v_fmac_f32_e32 v9, v21, v23
	v_mul_f32_e32 v21, v38, v22
	s_waitcnt vmcnt(3) lgkmcnt(3)
	v_dual_sub_f32 v22, v26, v29 :: v_dual_add_f32 v17, v17, v34
	s_delay_alu instid0(VALU_DEP_2) | instskip(SKIP_1) | instid1(VALU_DEP_2)
	v_fmac_f32_e32 v9, v21, v30
	s_waitcnt vmcnt(2)
	v_mul_f32_e32 v21, v27, v22
	s_delay_alu instid0(VALU_DEP_3)
	v_add_f32_e32 v17, v17, v37
	s_waitcnt vmcnt(1) lgkmcnt(2)
	v_sub_f32_e32 v19, v28, v19
	s_waitcnt lgkmcnt(1)
	v_fmac_f32_e32 v9, v21, v25
	v_add_f32_e32 v17, v17, v24
	s_waitcnt vmcnt(0)
	v_mul_f32_e32 v19, v20, v19
	s_delay_alu instid0(VALU_DEP_2) | instskip(SKIP_1) | instid1(VALU_DEP_2)
	v_add_f32_e32 v17, v17, v38
	s_waitcnt lgkmcnt(0)
	v_fmac_f32_e32 v9, v19, v18
	s_delay_alu instid0(VALU_DEP_2) | instskip(NEXT) | instid1(VALU_DEP_1)
	v_add_f32_e32 v17, v17, v27
	v_add_f32_e32 v17, v17, v20
	s_cbranch_vccz .LBB62_10
.LBB62_7:                               ; =>This Inner Loop Header: Depth=1
	v_dual_mov_b32 v18, 0 :: v_dual_mov_b32 v19, 0
	s_and_saveexec_b32 s1, s0
	s_cbranch_execz .LBB62_6
; %bb.8:                                ;   in Loop: Header=BB62_7 Depth=1
	v_dual_mov_b32 v19, 0 :: v_dual_mov_b32 v18, 0
	s_mov_b32 s3, exec_lo
	v_cmpx_gt_i64_e64 s[16:17], v[2:3]
	s_cbranch_execz .LBB62_5
; %bb.9:                                ;   in Loop: Header=BB62_7 Depth=1
	v_add_co_u32 v18, vcc_lo, s8, v4
	v_add_co_ci_u32_e32 v19, vcc_lo, s9, v5, vcc_lo
	v_add_co_u32 v20, vcc_lo, s10, v4
	v_add_co_ci_u32_e32 v21, vcc_lo, s11, v5, vcc_lo
	global_load_b32 v19, v[18:19], off
	global_load_b32 v18, v[20:21], off
	s_branch .LBB62_5
.LBB62_10:
	v_mov_b32_e32 v1, v6
.LBB62_11:
	s_load_b32 s0, s[24:25], 0xc
	v_mov_b32_e32 v2, 0
	s_mov_b32 s15, 0
	s_waitcnt lgkmcnt(0)
	s_lshr_b32 s0, s0, 16
	s_delay_alu instid0(VALU_DEP_1) | instid1(SALU_CYCLE_1)
	v_mad_u64_u32 v[3:4], null, s0, s2, v[1:2]
	s_lshl_b64 s[0:1], s[14:15], 5
	s_cmp_eq_u64 s[20:21], 0
	v_add_co_u32 v0, s0, s0, v7
	s_delay_alu instid0(VALU_DEP_1) | instskip(NEXT) | instid1(VALU_DEP_3)
	v_add_co_ci_u32_e64 v1, null, s1, 0, s0
	v_mul_lo_u32 v2, v4, s18
	s_delay_alu instid0(VALU_DEP_4) | instskip(NEXT) | instid1(VALU_DEP_3)
	v_mul_lo_u32 v4, v3, s19
	v_lshlrev_b64 v[0:1], 2, v[0:1]
	s_cbranch_scc1 .LBB62_13
; %bb.12:
	v_mad_u64_u32 v[5:6], null, v3, s18, 0
	s_delay_alu instid0(VALU_DEP_1) | instskip(NEXT) | instid1(VALU_DEP_1)
	v_add3_u32 v6, v6, v4, v2
	v_lshlrev_b64 v[5:6], 2, v[5:6]
	s_delay_alu instid0(VALU_DEP_1) | instskip(NEXT) | instid1(VALU_DEP_2)
	v_add_co_u32 v5, vcc_lo, s20, v5
	v_add_co_ci_u32_e32 v6, vcc_lo, s21, v6, vcc_lo
	s_delay_alu instid0(VALU_DEP_2) | instskip(NEXT) | instid1(VALU_DEP_2)
	v_add_co_u32 v5, vcc_lo, v5, v0
	v_add_co_ci_u32_e32 v6, vcc_lo, v6, v1, vcc_lo
	global_store_b32 v[5:6], v9, off
.LBB62_13:
	s_cmp_eq_u64 s[22:23], 0
	s_cbranch_scc1 .LBB62_15
; %bb.14:
	v_mad_u64_u32 v[5:6], null, v3, s18, 0
	s_delay_alu instid0(VALU_DEP_1) | instskip(NEXT) | instid1(VALU_DEP_1)
	v_add3_u32 v6, v6, v4, v2
	v_lshlrev_b64 v[2:3], 2, v[5:6]
	s_delay_alu instid0(VALU_DEP_1) | instskip(NEXT) | instid1(VALU_DEP_2)
	v_add_co_u32 v2, vcc_lo, s22, v2
	v_add_co_ci_u32_e32 v3, vcc_lo, s23, v3, vcc_lo
	s_delay_alu instid0(VALU_DEP_2) | instskip(NEXT) | instid1(VALU_DEP_2)
	v_add_co_u32 v0, vcc_lo, v2, v0
	v_add_co_ci_u32_e32 v1, vcc_lo, v3, v1, vcc_lo
	global_store_b32 v[0:1], v17, off
.LBB62_15:
	s_nop 0
	s_sendmsg sendmsg(MSG_DEALLOC_VGPRS)
	s_endpgm
	.section	.rodata,"a",@progbits
	.p2align	6, 0x0
	.amdhsa_kernel _ZN2at6native12_GLOBAL__N_135GammaBetaBackwardCUDAKernelTemplateIffLj32ELj1ELj8ELb1ELb1ELb0EEEvllPKT_S5_PKT0_S8_PS3_S9_
		.amdhsa_group_segment_fixed_size 0
		.amdhsa_private_segment_fixed_size 0
		.amdhsa_kernarg_size 320
		.amdhsa_user_sgpr_count 14
		.amdhsa_user_sgpr_dispatch_ptr 0
		.amdhsa_user_sgpr_queue_ptr 0
		.amdhsa_user_sgpr_kernarg_segment_ptr 1
		.amdhsa_user_sgpr_dispatch_id 0
		.amdhsa_user_sgpr_private_segment_size 0
		.amdhsa_wavefront_size32 1
		.amdhsa_uses_dynamic_stack 0
		.amdhsa_enable_private_segment 0
		.amdhsa_system_sgpr_workgroup_id_x 1
		.amdhsa_system_sgpr_workgroup_id_y 1
		.amdhsa_system_sgpr_workgroup_id_z 0
		.amdhsa_system_sgpr_workgroup_info 0
		.amdhsa_system_vgpr_workitem_id 1
		.amdhsa_next_free_vgpr 44
		.amdhsa_next_free_sgpr 36
		.amdhsa_reserve_vcc 1
		.amdhsa_float_round_mode_32 0
		.amdhsa_float_round_mode_16_64 0
		.amdhsa_float_denorm_mode_32 3
		.amdhsa_float_denorm_mode_16_64 3
		.amdhsa_dx10_clamp 1
		.amdhsa_ieee_mode 1
		.amdhsa_fp16_overflow 0
		.amdhsa_workgroup_processor_mode 1
		.amdhsa_memory_ordered 1
		.amdhsa_forward_progress 0
		.amdhsa_shared_vgpr_count 0
		.amdhsa_exception_fp_ieee_invalid_op 0
		.amdhsa_exception_fp_denorm_src 0
		.amdhsa_exception_fp_ieee_div_zero 0
		.amdhsa_exception_fp_ieee_overflow 0
		.amdhsa_exception_fp_ieee_underflow 0
		.amdhsa_exception_fp_ieee_inexact 0
		.amdhsa_exception_int_div_zero 0
	.end_amdhsa_kernel
	.section	.text._ZN2at6native12_GLOBAL__N_135GammaBetaBackwardCUDAKernelTemplateIffLj32ELj1ELj8ELb1ELb1ELb0EEEvllPKT_S5_PKT0_S8_PS3_S9_,"axG",@progbits,_ZN2at6native12_GLOBAL__N_135GammaBetaBackwardCUDAKernelTemplateIffLj32ELj1ELj8ELb1ELb1ELb0EEEvllPKT_S5_PKT0_S8_PS3_S9_,comdat
.Lfunc_end62:
	.size	_ZN2at6native12_GLOBAL__N_135GammaBetaBackwardCUDAKernelTemplateIffLj32ELj1ELj8ELb1ELb1ELb0EEEvllPKT_S5_PKT0_S8_PS3_S9_, .Lfunc_end62-_ZN2at6native12_GLOBAL__N_135GammaBetaBackwardCUDAKernelTemplateIffLj32ELj1ELj8ELb1ELb1ELb0EEEvllPKT_S5_PKT0_S8_PS3_S9_
                                        ; -- End function
	.section	.AMDGPU.csdata,"",@progbits
; Kernel info:
; codeLenInByte = 1504
; NumSgprs: 38
; NumVgprs: 44
; ScratchSize: 0
; MemoryBound: 0
; FloatMode: 240
; IeeeMode: 1
; LDSByteSize: 0 bytes/workgroup (compile time only)
; SGPRBlocks: 4
; VGPRBlocks: 5
; NumSGPRsForWavesPerEU: 38
; NumVGPRsForWavesPerEU: 44
; Occupancy: 16
; WaveLimiterHint : 0
; COMPUTE_PGM_RSRC2:SCRATCH_EN: 0
; COMPUTE_PGM_RSRC2:USER_SGPR: 14
; COMPUTE_PGM_RSRC2:TRAP_HANDLER: 0
; COMPUTE_PGM_RSRC2:TGID_X_EN: 1
; COMPUTE_PGM_RSRC2:TGID_Y_EN: 1
; COMPUTE_PGM_RSRC2:TGID_Z_EN: 0
; COMPUTE_PGM_RSRC2:TIDIG_COMP_CNT: 1
	.section	.text._ZN2at6native12_GLOBAL__N_135GammaBetaBackwardCUDAKernelTemplateIffLj32ELj1ELj8ELb1ELb0ELb0EEEvllPKT_S5_PKT0_S8_PS3_S9_,"axG",@progbits,_ZN2at6native12_GLOBAL__N_135GammaBetaBackwardCUDAKernelTemplateIffLj32ELj1ELj8ELb1ELb0ELb0EEEvllPKT_S5_PKT0_S8_PS3_S9_,comdat
	.globl	_ZN2at6native12_GLOBAL__N_135GammaBetaBackwardCUDAKernelTemplateIffLj32ELj1ELj8ELb1ELb0ELb0EEEvllPKT_S5_PKT0_S8_PS3_S9_ ; -- Begin function _ZN2at6native12_GLOBAL__N_135GammaBetaBackwardCUDAKernelTemplateIffLj32ELj1ELj8ELb1ELb0ELb0EEEvllPKT_S5_PKT0_S8_PS3_S9_
	.p2align	8
	.type	_ZN2at6native12_GLOBAL__N_135GammaBetaBackwardCUDAKernelTemplateIffLj32ELj1ELj8ELb1ELb0ELb0EEEvllPKT_S5_PKT0_S8_PS3_S9_,@function
_ZN2at6native12_GLOBAL__N_135GammaBetaBackwardCUDAKernelTemplateIffLj32ELj1ELj8ELb1ELb0ELb0EEEvllPKT_S5_PKT0_S8_PS3_S9_: ; @_ZN2at6native12_GLOBAL__N_135GammaBetaBackwardCUDAKernelTemplateIffLj32ELj1ELj8ELb1ELb0ELb0EEEvllPKT_S5_PKT0_S8_PS3_S9_
; %bb.0:
	s_clause 0x1
	s_load_b256 s[16:23], s[0:1], 0x0
	s_load_b128 s[36:39], s[0:1], 0x20
	s_mov_b32 s2, s15
	s_mov_b32 s5, 0
	s_lshl_b32 s12, s2, 3
	s_mov_b32 s13, s5
	s_lshl_b32 s15, s14, 5
	s_delay_alu instid0(SALU_CYCLE_1) | instskip(SKIP_3) | instid1(VALU_DEP_2)
	s_or_b32 s4, s15, 31
	s_waitcnt lgkmcnt(0)
	v_cmp_lt_i64_e64 s33, s[12:13], s[16:17]
	v_cmp_ge_i64_e64 s3, s[4:5], s[18:19]
	v_cndmask_b32_e64 v1, 0, 1, s33
	s_delay_alu instid0(VALU_DEP_2) | instskip(NEXT) | instid1(VALU_DEP_1)
	s_and_b32 vcc_lo, exec_lo, s3
	v_cmp_ne_u32_e64 s3, 1, v1
	s_cbranch_vccz .LBB63_49
; %bb.1:
	v_dual_mov_b32 v51, 0 :: v_dual_mov_b32 v56, 0
	s_delay_alu instid0(VALU_DEP_2)
	s_and_b32 vcc_lo, exec_lo, s3
	s_cbranch_vccnz .LBB63_50
; %bb.2:
	v_bfe_u32 v29, v0, 10, 10
	s_load_b32 s4, s[0:1], 0x44
	v_dual_mov_b32 v2, 0 :: v_dual_and_b32 v31, 0x3ff, v0
	s_add_u32 s6, s0, 64
	s_delay_alu instid0(VALU_DEP_2) | instskip(NEXT) | instid1(VALU_DEP_2)
	v_dual_mov_b32 v67, 0 :: v_dual_lshlrev_b32 v30, 3, v29
	v_dual_mov_b32 v32, v2 :: v_dual_add_nc_u32 v1, s15, v31
	s_addc_u32 s7, s1, 0
	s_delay_alu instid0(VALU_DEP_2) | instskip(NEXT) | instid1(VALU_DEP_1)
	v_add_co_u32 v9, s3, v30, s12
	v_add_co_ci_u32_e64 v10, null, 0, 0, s3
	s_delay_alu instid0(VALU_DEP_3) | instskip(NEXT) | instid1(VALU_DEP_3)
	v_cmp_gt_i64_e64 s3, s[18:19], v[1:2]
	v_add_co_u32 v5, vcc_lo, v9, 7
	s_delay_alu instid0(VALU_DEP_3) | instskip(SKIP_1) | instid1(VALU_DEP_3)
	v_add_co_ci_u32_e32 v3, vcc_lo, 0, v10, vcc_lo
	v_add_co_u32 v8, vcc_lo, v9, 6
	v_mul_lo_u32 v6, s19, v5
	s_delay_alu instid0(VALU_DEP_3)
	v_mul_lo_u32 v7, s18, v3
	v_mad_u64_u32 v[3:4], null, s18, v5, 0
	v_add_co_ci_u32_e32 v5, vcc_lo, 0, v10, vcc_lo
	v_lshlrev_b64 v[25:26], 2, v[1:2]
	v_mul_lo_u32 v1, s19, v8
	s_waitcnt lgkmcnt(0)
	s_lshl_b32 s40, s4, 3
	v_mov_b32_e32 v51, 0
	v_add3_u32 v4, v4, v7, v6
	v_mul_lo_u32 v7, s18, v5
	v_mad_u64_u32 v[5:6], null, s18, v8, 0
	s_mul_i32 s4, s19, s40
	s_delay_alu instid0(VALU_DEP_3) | instskip(SKIP_4) | instid1(VALU_DEP_2)
	v_lshlrev_b64 v[3:4], 2, v[3:4]
	s_mul_hi_u32 s8, s18, s40
	s_mul_i32 s10, s18, s40
	s_add_i32 s11, s8, s4
	s_mov_b32 s24, 0
	v_add3_u32 v6, v6, v7, v1
	v_add_co_u32 v33, vcc_lo, s20, v3
	v_add_co_ci_u32_e32 v34, vcc_lo, s21, v4, vcc_lo
	v_add_co_u32 v1, vcc_lo, v9, 5
	v_add_co_u32 v35, s4, s22, v3
	s_delay_alu instid0(VALU_DEP_1) | instskip(SKIP_4) | instid1(VALU_DEP_3)
	v_add_co_ci_u32_e64 v36, s4, s23, v4, s4
	v_lshlrev_b64 v[3:4], 2, v[5:6]
	v_add_co_ci_u32_e32 v5, vcc_lo, 0, v10, vcc_lo
	v_add_co_u32 v12, vcc_lo, v9, 4
	v_mul_lo_u32 v11, s19, v1
	v_mul_lo_u32 v13, s18, v5
	v_mad_u64_u32 v[5:6], null, s18, v1, 0
	v_add_co_ci_u32_e32 v7, vcc_lo, 0, v10, vcc_lo
	v_mul_lo_u32 v1, s19, v12
	v_add_co_u32 v37, vcc_lo, s20, v3
	s_delay_alu instid0(VALU_DEP_3)
	v_mul_lo_u32 v14, s18, v7
	v_mad_u64_u32 v[7:8], null, s18, v12, 0
	v_add3_u32 v6, v6, v13, v11
	v_add_co_ci_u32_e32 v38, vcc_lo, s21, v4, vcc_lo
	v_add_co_u32 v39, vcc_lo, s22, v3
	v_add_co_ci_u32_e32 v40, vcc_lo, s23, v4, vcc_lo
	s_delay_alu instid0(VALU_DEP_4) | instskip(SKIP_3) | instid1(VALU_DEP_4)
	v_lshlrev_b64 v[3:4], 2, v[5:6]
	v_add3_u32 v8, v8, v14, v1
	v_add_co_u32 v1, vcc_lo, v9, 3
	v_add_co_ci_u32_e32 v11, vcc_lo, 0, v10, vcc_lo
	v_add_co_u32 v41, vcc_lo, s20, v3
	s_delay_alu instid0(VALU_DEP_4)
	v_lshlrev_b64 v[5:6], 2, v[7:8]
	v_add_co_ci_u32_e32 v42, vcc_lo, s21, v4, vcc_lo
	v_mul_lo_u32 v12, s19, v1
	v_mul_lo_u32 v11, s18, v11
	v_mad_u64_u32 v[7:8], null, s18, v1, 0
	v_add_co_u32 v43, vcc_lo, s22, v3
	v_add_co_ci_u32_e32 v44, vcc_lo, s23, v4, vcc_lo
	v_add_co_u32 v45, vcc_lo, s20, v5
	v_add_co_ci_u32_e32 v46, vcc_lo, s21, v6, vcc_lo
	v_add_co_u32 v1, vcc_lo, v9, 2
	v_add3_u32 v8, v8, v11, v12
	v_add_co_ci_u32_e32 v11, vcc_lo, 0, v10, vcc_lo
	v_add_co_u32 v47, vcc_lo, s22, v5
	v_add_co_ci_u32_e32 v48, vcc_lo, s23, v6, vcc_lo
	v_mul_lo_u32 v12, s19, v1
	s_delay_alu instid0(VALU_DEP_4)
	v_mul_lo_u32 v11, s18, v11
	v_mad_u64_u32 v[5:6], null, s18, v1, 0
	v_lshlrev_b64 v[3:4], 2, v[7:8]
	v_mul_lo_u32 v1, s19, v9
	v_mul_lo_u32 v10, s18, v10
	v_mad_u64_u32 v[7:8], null, s18, v9, 0
	s_mov_b64 s[8:9], 7
	s_delay_alu instid0(VALU_DEP_4)
	v_add_co_u32 v49, vcc_lo, s20, v3
	v_add3_u32 v6, v6, v11, v12
	v_add_co_ci_u32_e32 v50, vcc_lo, s21, v4, vcc_lo
	v_add_co_u32 v52, vcc_lo, s22, v3
	v_add3_u32 v8, v8, v10, v1
	v_add_co_ci_u32_e32 v53, vcc_lo, s23, v4, vcc_lo
	v_lshlrev_b64 v[3:4], 2, v[5:6]
	v_add_co_u32 v5, vcc_lo, v7, s18
	s_delay_alu instid0(VALU_DEP_4) | instskip(SKIP_1) | instid1(VALU_DEP_3)
	v_add_co_ci_u32_e32 v6, vcc_lo, s19, v8, vcc_lo
	s_lshl_b64 s[10:11], s[10:11], 2
	v_add_co_u32 v54, vcc_lo, s20, v3
	s_delay_alu instid0(VALU_DEP_2) | instskip(SKIP_3) | instid1(VALU_DEP_4)
	v_lshlrev_b64 v[5:6], 2, v[5:6]
	v_add_co_ci_u32_e32 v55, vcc_lo, s21, v4, vcc_lo
	v_add_co_u32 v57, vcc_lo, s22, v3
	v_add_co_ci_u32_e32 v58, vcc_lo, s23, v4, vcc_lo
	v_add_co_u32 v59, vcc_lo, s20, v5
	v_lshlrev_b64 v[3:4], 2, v[7:8]
	v_add_co_ci_u32_e32 v60, vcc_lo, s21, v6, vcc_lo
	v_add_co_u32 v61, vcc_lo, s22, v5
	v_add_co_ci_u32_e32 v62, vcc_lo, s23, v6, vcc_lo
	s_delay_alu instid0(VALU_DEP_4)
	v_add_co_u32 v63, vcc_lo, s20, v3
	v_add_co_ci_u32_e32 v64, vcc_lo, s21, v4, vcc_lo
	v_add_co_u32 v65, vcc_lo, s22, v3
	v_add_co_ci_u32_e32 v66, vcc_lo, s23, v4, vcc_lo
	s_mov_b64 s[34:35], s[12:13]
.LBB63_3:                               ; =>This Inner Loop Header: Depth=1
	s_add_u32 s26, s12, s8
	s_addc_u32 s27, 0, s9
	v_add_co_u32 v27, vcc_lo, s12, v30
	v_cmp_ge_i64_e64 s4, s[26:27], s[16:17]
	v_add_co_ci_u32_e32 v28, vcc_lo, 0, v32, vcc_lo
	s_delay_alu instid0(VALU_DEP_2)
	s_and_b32 vcc_lo, exec_lo, s4
	s_cbranch_vccz .LBB63_25
; %bb.4:                                ;   in Loop: Header=BB63_3 Depth=1
	s_load_b32 s4, s[6:7], 0xc
	v_dual_mov_b32 v69, 0 :: v_dual_mov_b32 v68, 0
	s_waitcnt lgkmcnt(0)
	s_and_b32 s4, s4, 0xffff
	s_delay_alu instid0(SALU_CYCLE_1) | instskip(SKIP_1) | instid1(VALU_DEP_1)
	v_mad_u32_u24 v1, v29, s4, v31
	s_mov_b32 s4, exec_lo
	v_and_b32_e32 v1, 31, v1
	s_delay_alu instid0(VALU_DEP_1)
	v_cmpx_gt_u32_e32 8, v1
	s_cbranch_execz .LBB63_8
; %bb.5:                                ;   in Loop: Header=BB63_3 Depth=1
	v_add_co_u32 v3, vcc_lo, v27, v1
	v_add_co_ci_u32_e32 v4, vcc_lo, 0, v28, vcc_lo
	v_dual_mov_b32 v68, 0 :: v_dual_mov_b32 v69, 0
	s_mov_b32 s25, exec_lo
	s_delay_alu instid0(VALU_DEP_2)
	v_cmpx_gt_i64_e64 s[16:17], v[3:4]
	s_cbranch_execz .LBB63_7
; %bb.6:                                ;   in Loop: Header=BB63_3 Depth=1
	v_lshlrev_b64 v[3:4], 2, v[3:4]
	s_delay_alu instid0(VALU_DEP_1) | instskip(NEXT) | instid1(VALU_DEP_2)
	v_add_co_u32 v5, vcc_lo, s36, v3
	v_add_co_ci_u32_e32 v6, vcc_lo, s37, v4, vcc_lo
	v_add_co_u32 v3, vcc_lo, s38, v3
	v_add_co_ci_u32_e32 v4, vcc_lo, s39, v4, vcc_lo
	global_load_b32 v68, v[5:6], off
	global_load_b32 v69, v[3:4], off
.LBB63_7:                               ;   in Loop: Header=BB63_3 Depth=1
	s_or_b32 exec_lo, exec_lo, s25
.LBB63_8:                               ;   in Loop: Header=BB63_3 Depth=1
	s_delay_alu instid0(SALU_CYCLE_1)
	s_or_b32 exec_lo, exec_lo, s4
	s_mov_b32 s30, s24
	s_mov_b32 s31, s24
	;; [unrolled: 1-line block ×7, first 2 shown]
	v_dual_mov_b32 v9, s24 :: v_dual_mov_b32 v10, s25
	v_dual_mov_b32 v15, s30 :: v_dual_mov_b32 v16, s31
	;; [unrolled: 1-line block ×4, first 2 shown]
	v_cmp_gt_i64_e32 vcc_lo, s[16:17], v[27:28]
	s_delay_alu instid0(VALU_DEP_4) | instskip(NEXT) | instid1(VALU_DEP_3)
	v_dual_mov_b32 v24, v16 :: v_dual_mov_b32 v23, v15
	v_dual_mov_b32 v21, v13 :: v_dual_mov_b32 v22, v14
	;; [unrolled: 1-line block ×4, first 2 shown]
	s_and_b32 s25, s3, vcc_lo
	s_delay_alu instid0(SALU_CYCLE_1)
	s_and_saveexec_b32 s4, s25
	s_cbranch_execz .LBB63_10
; %bb.9:                                ;   in Loop: Header=BB63_3 Depth=1
	v_add_co_u32 v3, vcc_lo, v63, v25
	v_add_co_ci_u32_e32 v4, vcc_lo, v64, v26, vcc_lo
	v_mov_b32_e32 v8, v2
	v_mov_b32_e32 v5, v2
	;; [unrolled: 1-line block ×3, first 2 shown]
	global_load_b32 v1, v[3:4], off
	v_add_co_u32 v3, vcc_lo, v65, v25
	v_add_co_ci_u32_e32 v4, vcc_lo, v66, v26, vcc_lo
	v_mov_b32_e32 v7, v2
	v_mov_b32_e32 v15, v2
	global_load_b32 v9, v[3:4], off
	v_mov_b32_e32 v3, v2
	v_mov_b32_e32 v4, v2
	s_waitcnt vmcnt(1)
	v_dual_mov_b32 v11, v2 :: v_dual_mov_b32 v24, v8
	v_dual_mov_b32 v10, v2 :: v_dual_mov_b32 v23, v7
	;; [unrolled: 1-line block ×5, first 2 shown]
	v_mov_b32_e32 v16, v2
	v_mov_b32_e32 v22, v6
	v_dual_mov_b32 v18, v2 :: v_dual_mov_b32 v17, v1
.LBB63_10:                              ;   in Loop: Header=BB63_3 Depth=1
	s_or_b32 exec_lo, exec_lo, s4
	v_add_co_u32 v3, vcc_lo, v27, 1
	v_add_co_ci_u32_e32 v4, vcc_lo, 0, v28, vcc_lo
	s_delay_alu instid0(VALU_DEP_1) | instskip(SKIP_1) | instid1(SALU_CYCLE_1)
	v_cmp_gt_i64_e32 vcc_lo, s[16:17], v[3:4]
	s_and_b32 s25, s3, vcc_lo
	s_and_saveexec_b32 s4, s25
	s_cbranch_execz .LBB63_12
; %bb.11:                               ;   in Loop: Header=BB63_3 Depth=1
	v_add_co_u32 v3, vcc_lo, v59, v25
	v_add_co_ci_u32_e32 v4, vcc_lo, v60, v26, vcc_lo
	v_add_co_u32 v5, vcc_lo, v61, v25
	v_add_co_ci_u32_e32 v6, vcc_lo, v62, v26, vcc_lo
	global_load_b32 v18, v[3:4], off
	global_load_b32 v10, v[5:6], off
.LBB63_12:                              ;   in Loop: Header=BB63_3 Depth=1
	s_or_b32 exec_lo, exec_lo, s4
	v_add_co_u32 v3, vcc_lo, v27, 2
	v_add_co_ci_u32_e32 v4, vcc_lo, 0, v28, vcc_lo
	s_delay_alu instid0(VALU_DEP_1) | instskip(SKIP_1) | instid1(SALU_CYCLE_1)
	v_cmp_gt_i64_e32 vcc_lo, s[16:17], v[3:4]
	s_and_b32 s25, s3, vcc_lo
	s_and_saveexec_b32 s4, s25
	s_cbranch_execz .LBB63_14
; %bb.13:                               ;   in Loop: Header=BB63_3 Depth=1
	v_add_co_u32 v3, vcc_lo, v54, v25
	v_add_co_ci_u32_e32 v4, vcc_lo, v55, v26, vcc_lo
	v_add_co_u32 v5, vcc_lo, v57, v25
	v_add_co_ci_u32_e32 v6, vcc_lo, v58, v26, vcc_lo
	global_load_b32 v19, v[3:4], off
	global_load_b32 v11, v[5:6], off
.LBB63_14:                              ;   in Loop: Header=BB63_3 Depth=1
	;; [unrolled: 16-line block ×7, first 2 shown]
	s_or_b32 exec_lo, exec_lo, s4
	s_waitcnt vmcnt(1)
	ds_bpermute_b32 v1, v2, v68
	ds_bpermute_b32 v3, v2, v68 offset:4
	ds_bpermute_b32 v4, v2, v68 offset:8
	ds_bpermute_b32 v6, v2, v68 offset:12
	s_waitcnt vmcnt(0)
	ds_bpermute_b32 v5, v2, v69
	ds_bpermute_b32 v7, v2, v69 offset:4
	ds_bpermute_b32 v8, v2, v68 offset:16
	;; [unrolled: 1-line block ×5, first 2 shown]
	s_waitcnt lgkmcnt(9)
	v_sub_f32_e32 v1, v9, v1
	v_add_f32_e32 v9, v51, v17
	s_waitcnt lgkmcnt(7)
	v_sub_f32_e32 v4, v11, v4
	s_waitcnt lgkmcnt(6)
	v_dual_sub_f32 v6, v12, v6 :: v_dual_sub_f32 v3, v10, v3
	ds_bpermute_b32 v10, v2, v69 offset:16
	ds_bpermute_b32 v11, v2, v69 offset:24
	v_mul_f32_e32 v4, v19, v4
	v_dual_mul_f32 v6, v20, v6 :: v_dual_mul_f32 v3, v18, v3
	v_mul_f32_e32 v1, v17, v1
	ds_bpermute_b32 v17, v2, v68 offset:24
	s_waitcnt lgkmcnt(8)
	v_fma_f32 v56, v1, v5, v67
	ds_bpermute_b32 v5, v2, v69 offset:20
	ds_bpermute_b32 v1, v2, v69 offset:28
	s_waitcnt lgkmcnt(9)
	v_dual_fmac_f32 v56, v3, v7 :: v_dual_add_f32 v3, v18, v9
	s_waitcnt lgkmcnt(7)
	s_delay_alu instid0(VALU_DEP_1) | instskip(NEXT) | instid1(VALU_DEP_2)
	v_dual_sub_f32 v7, v13, v8 :: v_dual_fmac_f32 v56, v4, v70
	v_add_f32_e32 v4, v19, v3
	ds_bpermute_b32 v3, v2, v68 offset:28
	s_waitcnt lgkmcnt(6)
	v_dual_sub_f32 v8, v14, v72 :: v_dual_mul_f32 v7, v21, v7
	v_fmac_f32_e32 v56, v6, v71
	v_add_f32_e32 v4, v20, v4
	s_waitcnt lgkmcnt(3)
	v_sub_f32_e32 v6, v15, v17
	v_mul_f32_e32 v8, v22, v8
	v_fmac_f32_e32 v56, v7, v10
	v_add_f32_e32 v4, v21, v4
	s_delay_alu instid0(VALU_DEP_4) | instskip(SKIP_1) | instid1(VALU_DEP_3)
	v_mul_f32_e32 v6, v23, v6
	s_waitcnt lgkmcnt(2)
	v_fmac_f32_e32 v56, v8, v5
	s_delay_alu instid0(VALU_DEP_3) | instskip(NEXT) | instid1(VALU_DEP_2)
	v_add_f32_e32 v4, v22, v4
	v_fmac_f32_e32 v56, v6, v11
	s_delay_alu instid0(VALU_DEP_2)
	v_add_f32_e32 v4, v23, v4
	s_branch .LBB63_40
.LBB63_25:                              ;   in Loop: Header=BB63_3 Depth=1
                                        ; implicit-def: $vgpr1
                                        ; implicit-def: $vgpr9_vgpr10_vgpr11_vgpr12_vgpr13_vgpr14_vgpr15_vgpr16
                                        ; implicit-def: $vgpr17_vgpr18_vgpr19_vgpr20_vgpr21_vgpr22_vgpr23_vgpr24
                                        ; implicit-def: $vgpr3
                                        ; implicit-def: $vgpr4
                                        ; implicit-def: $vgpr56
	s_cbranch_execz .LBB63_40
; %bb.26:                               ;   in Loop: Header=BB63_3 Depth=1
	s_load_b32 s4, s[6:7], 0x0
	v_mov_b32_e32 v56, 0
	v_mov_b32_e32 v68, 0
	s_waitcnt lgkmcnt(0)
	s_cmp_lt_u32 s14, s4
	s_cselect_b32 s4, 12, 18
	s_delay_alu instid0(SALU_CYCLE_1)
	s_add_u32 s26, s6, s4
	s_addc_u32 s27, s7, 0
	s_mov_b32 s4, exec_lo
	global_load_u16 v1, v2, s[26:27]
	s_waitcnt vmcnt(0)
	v_mad_u32_u24 v1, v29, v1, v31
	s_delay_alu instid0(VALU_DEP_1) | instskip(NEXT) | instid1(VALU_DEP_1)
	v_and_b32_e32 v1, 31, v1
	v_cmpx_gt_u32_e32 8, v1
	s_cbranch_execz .LBB63_30
; %bb.27:                               ;   in Loop: Header=BB63_3 Depth=1
	v_add_co_u32 v3, vcc_lo, v27, v1
	v_add_co_ci_u32_e32 v4, vcc_lo, 0, v28, vcc_lo
	v_mov_b32_e32 v56, 0
	v_mov_b32_e32 v68, 0
	s_mov_b32 s25, exec_lo
	s_delay_alu instid0(VALU_DEP_3)
	v_cmpx_gt_i64_e64 s[16:17], v[3:4]
	s_cbranch_execz .LBB63_29
; %bb.28:                               ;   in Loop: Header=BB63_3 Depth=1
	v_lshlrev_b64 v[3:4], 2, v[3:4]
	s_delay_alu instid0(VALU_DEP_1) | instskip(NEXT) | instid1(VALU_DEP_2)
	v_add_co_u32 v5, vcc_lo, s36, v3
	v_add_co_ci_u32_e32 v6, vcc_lo, s37, v4, vcc_lo
	v_add_co_u32 v3, vcc_lo, s38, v3
	v_add_co_ci_u32_e32 v4, vcc_lo, s39, v4, vcc_lo
	global_load_b32 v56, v[5:6], off
	global_load_b32 v68, v[3:4], off
.LBB63_29:                              ;   in Loop: Header=BB63_3 Depth=1
	s_or_b32 exec_lo, exec_lo, s25
.LBB63_30:                              ;   in Loop: Header=BB63_3 Depth=1
	s_delay_alu instid0(SALU_CYCLE_1)
	s_or_b32 exec_lo, exec_lo, s4
	s_mov_b32 s30, s24
	s_mov_b32 s31, s24
	;; [unrolled: 1-line block ×7, first 2 shown]
	v_dual_mov_b32 v9, s24 :: v_dual_mov_b32 v10, s25
	v_dual_mov_b32 v15, s30 :: v_dual_mov_b32 v16, s31
	;; [unrolled: 1-line block ×4, first 2 shown]
	s_delay_alu instid0(VALU_DEP_3) | instskip(NEXT) | instid1(VALU_DEP_3)
	v_dual_mov_b32 v24, v16 :: v_dual_mov_b32 v23, v15
	v_dual_mov_b32 v20, v12 :: v_dual_mov_b32 v19, v11
	s_delay_alu instid0(VALU_DEP_3)
	v_dual_mov_b32 v22, v14 :: v_dual_mov_b32 v21, v13
	v_dual_mov_b32 v18, v10 :: v_dual_mov_b32 v17, v9
	s_and_saveexec_b32 s4, s3
	s_cbranch_execnz .LBB63_42
; %bb.31:                               ;   in Loop: Header=BB63_3 Depth=1
	s_or_b32 exec_lo, exec_lo, s4
	s_and_saveexec_b32 s4, s3
	s_cbranch_execnz .LBB63_43
.LBB63_32:                              ;   in Loop: Header=BB63_3 Depth=1
	s_or_b32 exec_lo, exec_lo, s4
	s_and_saveexec_b32 s4, s3
	s_cbranch_execnz .LBB63_44
.LBB63_33:                              ;   in Loop: Header=BB63_3 Depth=1
	s_or_b32 exec_lo, exec_lo, s4
	s_and_saveexec_b32 s4, s3
	s_cbranch_execnz .LBB63_45
.LBB63_34:                              ;   in Loop: Header=BB63_3 Depth=1
	s_or_b32 exec_lo, exec_lo, s4
	s_and_saveexec_b32 s4, s3
	s_cbranch_execnz .LBB63_46
.LBB63_35:                              ;   in Loop: Header=BB63_3 Depth=1
	s_or_b32 exec_lo, exec_lo, s4
	s_and_saveexec_b32 s4, s3
	s_cbranch_execnz .LBB63_47
.LBB63_36:                              ;   in Loop: Header=BB63_3 Depth=1
	s_or_b32 exec_lo, exec_lo, s4
	s_and_saveexec_b32 s4, s3
	s_cbranch_execnz .LBB63_48
.LBB63_37:                              ;   in Loop: Header=BB63_3 Depth=1
	s_or_b32 exec_lo, exec_lo, s4
	s_and_saveexec_b32 s4, s3
	s_cbranch_execz .LBB63_39
.LBB63_38:                              ;   in Loop: Header=BB63_3 Depth=1
	v_add_co_u32 v3, vcc_lo, v33, v25
	v_add_co_ci_u32_e32 v4, vcc_lo, v34, v26, vcc_lo
	v_add_co_u32 v5, vcc_lo, v35, v25
	v_add_co_ci_u32_e32 v6, vcc_lo, v36, v26, vcc_lo
	global_load_b32 v24, v[3:4], off
	global_load_b32 v16, v[5:6], off
.LBB63_39:                              ;   in Loop: Header=BB63_3 Depth=1
	s_or_b32 exec_lo, exec_lo, s4
	s_waitcnt vmcnt(1)
	ds_bpermute_b32 v1, v2, v56
	ds_bpermute_b32 v3, v2, v56 offset:4
	ds_bpermute_b32 v4, v2, v56 offset:8
	s_waitcnt vmcnt(0)
	ds_bpermute_b32 v5, v2, v68
	ds_bpermute_b32 v6, v2, v56 offset:12
	ds_bpermute_b32 v7, v2, v68 offset:4
	;; [unrolled: 1-line block ×5, first 2 shown]
	s_waitcnt lgkmcnt(8)
	v_sub_f32_e32 v1, v9, v1
	ds_bpermute_b32 v9, v2, v68 offset:12
	s_waitcnt lgkmcnt(7)
	v_dual_sub_f32 v4, v11, v4 :: v_dual_sub_f32 v3, v10, v3
	v_add_f32_e32 v10, v51, v17
	v_mul_f32_e32 v1, v17, v1
	ds_bpermute_b32 v17, v2, v68 offset:16
	v_dual_mul_f32 v4, v19, v4 :: v_dual_mul_f32 v3, v18, v3
	ds_bpermute_b32 v11, v2, v68 offset:20
	s_waitcnt lgkmcnt(8)
	v_fmac_f32_e32 v67, v1, v5
	ds_bpermute_b32 v5, v2, v56 offset:24
	s_waitcnt lgkmcnt(6)
	v_dual_sub_f32 v1, v12, v6 :: v_dual_sub_f32 v6, v13, v8
	s_waitcnt lgkmcnt(5)
	v_dual_sub_f32 v8, v14, v28 :: v_dual_fmac_f32 v67, v3, v7
	v_add_f32_e32 v3, v18, v10
	s_delay_alu instid0(VALU_DEP_3) | instskip(NEXT) | instid1(VALU_DEP_3)
	v_mul_f32_e32 v6, v21, v6
	v_dual_mul_f32 v8, v22, v8 :: v_dual_mul_f32 v1, v20, v1
	s_waitcnt lgkmcnt(4)
	v_fmac_f32_e32 v67, v4, v27
	ds_bpermute_b32 v4, v2, v68 offset:24
	v_add_f32_e32 v7, v19, v3
	ds_bpermute_b32 v3, v2, v56 offset:28
	s_waitcnt lgkmcnt(5)
	v_fmac_f32_e32 v67, v1, v9
	ds_bpermute_b32 v1, v2, v68 offset:28
	s_waitcnt lgkmcnt(5)
	v_fmac_f32_e32 v67, v6, v17
	s_waitcnt lgkmcnt(3)
	v_sub_f32_e32 v5, v15, v5
	s_delay_alu instid0(VALU_DEP_2) | instskip(NEXT) | instid1(VALU_DEP_2)
	v_fmac_f32_e32 v67, v8, v11
	v_mul_f32_e32 v5, v23, v5
	s_waitcnt lgkmcnt(2)
	s_delay_alu instid0(VALU_DEP_1) | instskip(NEXT) | instid1(VALU_DEP_1)
	v_fmac_f32_e32 v67, v5, v4
	v_dual_add_f32 v7, v20, v7 :: v_dual_mov_b32 v56, v67
	s_delay_alu instid0(VALU_DEP_1) | instskip(NEXT) | instid1(VALU_DEP_1)
	v_add_f32_e32 v6, v21, v7
	v_add_f32_e32 v6, v22, v6
	s_delay_alu instid0(VALU_DEP_1)
	v_add_f32_e32 v4, v23, v6
.LBB63_40:                              ;   in Loop: Header=BB63_3 Depth=1
	v_add_co_u32 v33, vcc_lo, v33, s10
	v_add_co_ci_u32_e32 v34, vcc_lo, s11, v34, vcc_lo
	v_add_co_u32 v35, vcc_lo, v35, s10
	v_add_co_ci_u32_e32 v36, vcc_lo, s11, v36, vcc_lo
	;; [unrolled: 2-line block ×13, first 2 shown]
	v_add_co_u32 v61, vcc_lo, v61, s10
	s_waitcnt lgkmcnt(0)
	v_sub_f32_e32 v3, v16, v3
	v_add_co_ci_u32_e32 v62, vcc_lo, s11, v62, vcc_lo
	v_add_co_u32 v30, vcc_lo, v30, s40
	s_add_u32 s34, s34, s40
	v_add_co_ci_u32_e32 v32, vcc_lo, 0, v32, vcc_lo
	v_mul_f32_e32 v3, v24, v3
	s_addc_u32 s35, s35, 0
	v_add_co_u32 v63, vcc_lo, v63, s10
	v_add_co_ci_u32_e32 v64, vcc_lo, s11, v64, vcc_lo
	v_cmp_lt_i64_e64 s4, s[34:35], s[16:17]
	v_add_co_u32 v65, vcc_lo, v65, s10
	v_dual_add_f32 v51, v4, v24 :: v_dual_fmac_f32 v56, v3, v1
	v_add_co_ci_u32_e32 v66, vcc_lo, s11, v66, vcc_lo
	s_add_u32 s8, s8, s40
	s_addc_u32 s9, s9, 0
	s_and_b32 vcc_lo, exec_lo, s4
	s_cbranch_vccz .LBB63_50
; %bb.41:                               ;   in Loop: Header=BB63_3 Depth=1
	v_mov_b32_e32 v67, v56
	s_branch .LBB63_3
.LBB63_42:                              ;   in Loop: Header=BB63_3 Depth=1
	v_add_co_u32 v3, vcc_lo, v63, v25
	v_add_co_ci_u32_e32 v4, vcc_lo, v64, v26, vcc_lo
	v_mov_b32_e32 v8, v2
	v_mov_b32_e32 v5, v2
	;; [unrolled: 1-line block ×3, first 2 shown]
	global_load_b32 v1, v[3:4], off
	v_add_co_u32 v3, vcc_lo, v65, v25
	v_add_co_ci_u32_e32 v4, vcc_lo, v66, v26, vcc_lo
	v_mov_b32_e32 v7, v2
	v_mov_b32_e32 v15, v2
	global_load_b32 v9, v[3:4], off
	v_mov_b32_e32 v3, v2
	v_mov_b32_e32 v4, v2
	s_waitcnt vmcnt(1)
	v_dual_mov_b32 v11, v2 :: v_dual_mov_b32 v24, v8
	v_dual_mov_b32 v10, v2 :: v_dual_mov_b32 v23, v7
	;; [unrolled: 1-line block ×5, first 2 shown]
	v_mov_b32_e32 v16, v2
	v_mov_b32_e32 v22, v6
	v_dual_mov_b32 v18, v2 :: v_dual_mov_b32 v17, v1
	s_or_b32 exec_lo, exec_lo, s4
	s_and_saveexec_b32 s4, s3
	s_cbranch_execz .LBB63_32
.LBB63_43:                              ;   in Loop: Header=BB63_3 Depth=1
	v_add_co_u32 v3, vcc_lo, v59, v25
	v_add_co_ci_u32_e32 v4, vcc_lo, v60, v26, vcc_lo
	v_add_co_u32 v5, vcc_lo, v61, v25
	v_add_co_ci_u32_e32 v6, vcc_lo, v62, v26, vcc_lo
	global_load_b32 v18, v[3:4], off
	global_load_b32 v10, v[5:6], off
	s_or_b32 exec_lo, exec_lo, s4
	s_and_saveexec_b32 s4, s3
	s_cbranch_execz .LBB63_33
.LBB63_44:                              ;   in Loop: Header=BB63_3 Depth=1
	v_add_co_u32 v3, vcc_lo, v54, v25
	v_add_co_ci_u32_e32 v4, vcc_lo, v55, v26, vcc_lo
	v_add_co_u32 v5, vcc_lo, v57, v25
	v_add_co_ci_u32_e32 v6, vcc_lo, v58, v26, vcc_lo
	global_load_b32 v19, v[3:4], off
	global_load_b32 v11, v[5:6], off
	s_or_b32 exec_lo, exec_lo, s4
	s_and_saveexec_b32 s4, s3
	s_cbranch_execz .LBB63_34
.LBB63_45:                              ;   in Loop: Header=BB63_3 Depth=1
	v_add_co_u32 v3, vcc_lo, v49, v25
	v_add_co_ci_u32_e32 v4, vcc_lo, v50, v26, vcc_lo
	v_add_co_u32 v5, vcc_lo, v52, v25
	v_add_co_ci_u32_e32 v6, vcc_lo, v53, v26, vcc_lo
	global_load_b32 v20, v[3:4], off
	global_load_b32 v12, v[5:6], off
	s_or_b32 exec_lo, exec_lo, s4
	s_and_saveexec_b32 s4, s3
	s_cbranch_execz .LBB63_35
.LBB63_46:                              ;   in Loop: Header=BB63_3 Depth=1
	v_add_co_u32 v3, vcc_lo, v45, v25
	v_add_co_ci_u32_e32 v4, vcc_lo, v46, v26, vcc_lo
	v_add_co_u32 v5, vcc_lo, v47, v25
	v_add_co_ci_u32_e32 v6, vcc_lo, v48, v26, vcc_lo
	global_load_b32 v21, v[3:4], off
	global_load_b32 v13, v[5:6], off
	s_or_b32 exec_lo, exec_lo, s4
	s_and_saveexec_b32 s4, s3
	s_cbranch_execz .LBB63_36
.LBB63_47:                              ;   in Loop: Header=BB63_3 Depth=1
	v_add_co_u32 v3, vcc_lo, v41, v25
	v_add_co_ci_u32_e32 v4, vcc_lo, v42, v26, vcc_lo
	v_add_co_u32 v5, vcc_lo, v43, v25
	v_add_co_ci_u32_e32 v6, vcc_lo, v44, v26, vcc_lo
	global_load_b32 v22, v[3:4], off
	global_load_b32 v14, v[5:6], off
	s_or_b32 exec_lo, exec_lo, s4
	s_and_saveexec_b32 s4, s3
	s_cbranch_execz .LBB63_37
.LBB63_48:                              ;   in Loop: Header=BB63_3 Depth=1
	v_add_co_u32 v3, vcc_lo, v37, v25
	v_add_co_ci_u32_e32 v4, vcc_lo, v38, v26, vcc_lo
	v_add_co_u32 v5, vcc_lo, v39, v25
	v_add_co_ci_u32_e32 v6, vcc_lo, v40, v26, vcc_lo
	global_load_b32 v23, v[3:4], off
	global_load_b32 v15, v[5:6], off
	s_or_b32 exec_lo, exec_lo, s4
	s_and_saveexec_b32 s4, s3
	s_cbranch_execnz .LBB63_38
	s_branch .LBB63_39
.LBB63_49:
	s_mov_b32 s5, -1
                                        ; implicit-def: $vgpr51
                                        ; implicit-def: $vgpr56
.LBB63_50:
	s_delay_alu instid0(SALU_CYCLE_1)
	s_and_not1_b32 vcc_lo, exec_lo, s5
	s_cbranch_vccnz .LBB63_82
; %bb.51:
	v_dual_mov_b32 v51, 0 :: v_dual_mov_b32 v56, 0
	s_and_not1_b32 vcc_lo, exec_lo, s33
	s_mov_b32 s4, 0
	s_cbranch_vccnz .LBB63_82
; %bb.52:
	v_bfe_u32 v52, v0, 10, 10
	s_add_u32 s24, s0, 64
	s_addc_u32 s25, s1, 0
	s_lshl_b64 s[6:7], s[12:13], 2
	s_load_b32 s3, s[0:1], 0x44
	v_lshlrev_b32_e32 v3, 5, v52
	v_dual_mov_b32 v2, 0 :: v_dual_and_b32 v53, 0x3ff, v0
	v_lshlrev_b32_e32 v54, 3, v52
	s_mov_b64 s[26:27], s[12:13]
	s_delay_alu instid0(VALU_DEP_3) | instskip(NEXT) | instid1(VALU_DEP_3)
	v_add_co_u32 v3, s5, v3, s6
	v_mov_b32_e32 v55, v2
	v_add_co_ci_u32_e64 v4, null, 0, s7, s5
	v_add_nc_u32_e32 v1, s15, v53
	s_delay_alu instid0(VALU_DEP_4) | instskip(NEXT) | instid1(VALU_DEP_3)
	v_add_co_u32 v7, vcc_lo, v3, 4
	v_add_co_ci_u32_e32 v5, vcc_lo, 0, v4, vcc_lo
	s_delay_alu instid0(VALU_DEP_3) | instskip(SKIP_1) | instid1(VALU_DEP_3)
	v_lshlrev_b64 v[21:22], 2, v[1:2]
	v_add_co_u32 v1, vcc_lo, v3, 8
	v_mul_lo_u32 v8, s18, v5
	v_add_co_ci_u32_e32 v5, vcc_lo, 0, v4, vcc_lo
	v_add_co_u32 v11, vcc_lo, v3, 12
	s_waitcnt lgkmcnt(0)
	s_lshl_b32 s15, s3, 3
	s_delay_alu instid0(VALU_DEP_2)
	v_mul_lo_u32 v10, s18, v5
	v_add_co_ci_u32_e32 v5, vcc_lo, 0, v4, vcc_lo
	v_add_co_u32 v13, vcc_lo, v3, 16
	v_add_co_ci_u32_e32 v6, vcc_lo, 0, v4, vcc_lo
	v_add_co_u32 v17, vcc_lo, v3, 20
	s_mul_i32 s3, s19, s15
	s_mul_hi_u32 s5, s18, s15
	v_mul_lo_u32 v14, s18, v5
	v_add_co_ci_u32_e32 v5, vcc_lo, 0, v4, vcc_lo
	s_add_i32 s7, s5, s3
	v_add_co_u32 v47, vcc_lo, v3, 24
	v_add_co_u32 v73, s3, v54, s12
	v_mul_lo_u32 v16, s18, v6
	v_add_co_ci_u32_e32 v6, vcc_lo, 0, v4, vcc_lo
	v_add_co_ci_u32_e64 v74, null, 0, 0, s3
	v_add_co_u32 v59, vcc_lo, v3, 28
	v_mul_lo_u32 v49, s18, v5
	s_delay_alu instid0(VALU_DEP_4) | instskip(SKIP_4) | instid1(VALU_DEP_4)
	v_mul_lo_u32 v51, s18, v6
	v_add_co_ci_u32_e32 v5, vcc_lo, 0, v4, vcc_lo
	v_mul_lo_u32 v6, s19, v73
	v_mul_lo_u32 v35, s18, v74
	v_mad_u64_u32 v[3:4], null, s18, v73, 0
	v_mul_lo_u32 v60, s18, v5
	v_mad_u64_u32 v[19:20], null, s18, v7, s[20:21]
	;; [unrolled: 2-line block ×3, first 2 shown]
	v_add3_u32 v4, v4, v35, v6
	v_mul_lo_u32 v12, s19, v1
	v_mad_u64_u32 v[35:36], null, s18, v7, s[22:23]
	v_mad_u64_u32 v[37:38], null, s18, v1, s[22:23]
	s_delay_alu instid0(VALU_DEP_4) | instskip(SKIP_3) | instid1(VALU_DEP_4)
	v_lshlrev_b64 v[5:6], 2, v[3:4]
	v_mad_u64_u32 v[25:26], null, s18, v11, s[20:21]
	v_mul_lo_u32 v15, s19, v11
	v_mad_u64_u32 v[39:40], null, s18, v11, s[22:23]
	v_add_co_u32 v57, vcc_lo, s20, v5
	v_add_co_ci_u32_e32 v58, vcc_lo, s21, v6, vcc_lo
	v_add_co_u32 v1, vcc_lo, v73, 7
	v_add_co_ci_u32_e32 v7, vcc_lo, 0, v74, vcc_lo
	v_mad_u64_u32 v[27:28], null, s18, v13, s[20:21]
	v_mul_lo_u32 v18, s19, v13
	v_mad_u64_u32 v[41:42], null, s18, v13, s[22:23]
	v_add_co_u32 v13, vcc_lo, v73, 6
	v_add3_u32 v20, v9, v20, v8
	v_add3_u32 v24, v12, v24, v10
	;; [unrolled: 1-line block ×4, first 2 shown]
	v_mul_lo_u32 v11, s19, v1
	v_mul_lo_u32 v12, s18, v7
	v_mad_u64_u32 v[7:8], null, s18, v1, 0
	v_add_co_ci_u32_e32 v9, vcc_lo, 0, v74, vcc_lo
	v_mad_u64_u32 v[31:32], null, s18, v47, s[20:21]
	v_mul_lo_u32 v56, s19, v47
	v_mad_u64_u32 v[33:34], null, s18, v59, s[20:21]
	v_mul_lo_u32 v61, s19, v59
	v_mad_u64_u32 v[45:46], null, s18, v47, s[22:23]
	v_mad_u64_u32 v[47:48], null, s18, v59, s[22:23]
	v_add3_u32 v26, v15, v26, v14
	v_add3_u32 v40, v15, v40, v14
	v_mul_lo_u32 v1, s19, v13
	v_mul_lo_u32 v14, s18, v9
	v_mad_u64_u32 v[9:10], null, s18, v13, 0
	v_add3_u32 v8, v8, v12, v11
	v_add_co_u32 v59, vcc_lo, s22, v5
	v_add3_u32 v34, v61, v34, v60
	v_add3_u32 v48, v61, v48, v60
	v_add_co_ci_u32_e32 v60, vcc_lo, s23, v6, vcc_lo
	v_lshlrev_b64 v[5:6], 2, v[7:8]
	v_add3_u32 v10, v10, v14, v1
	v_add_co_u32 v1, vcc_lo, v73, 5
	v_add_co_ci_u32_e32 v11, vcc_lo, 0, v74, vcc_lo
	s_delay_alu instid0(VALU_DEP_4) | instskip(NEXT) | instid1(VALU_DEP_4)
	v_add_co_u32 v61, vcc_lo, s20, v5
	v_lshlrev_b64 v[7:8], 2, v[9:10]
	v_add_co_ci_u32_e32 v62, vcc_lo, s21, v6, vcc_lo
	v_mul_lo_u32 v12, s19, v1
	v_mul_lo_u32 v11, s18, v11
	v_mad_u64_u32 v[9:10], null, s18, v1, 0
	v_add_co_u32 v63, vcc_lo, s22, v5
	v_add_co_ci_u32_e32 v64, vcc_lo, s23, v6, vcc_lo
	v_add_co_u32 v65, vcc_lo, s20, v7
	v_add_co_ci_u32_e32 v66, vcc_lo, s21, v8, vcc_lo
	v_add_co_u32 v1, vcc_lo, v73, 4
	v_add3_u32 v10, v10, v11, v12
	v_add_co_u32 v67, s3, s22, v7
	v_add_co_ci_u32_e32 v7, vcc_lo, 0, v74, vcc_lo
	v_add_co_u32 v12, vcc_lo, v73, 3
	s_delay_alu instid0(VALU_DEP_4)
	v_lshlrev_b64 v[5:6], 2, v[9:10]
	v_add_co_ci_u32_e32 v9, vcc_lo, 0, v74, vcc_lo
	v_add_co_ci_u32_e64 v68, s3, s23, v8, s3
	v_mul_lo_u32 v11, s19, v1
	v_mul_lo_u32 v13, s18, v7
	v_mad_u64_u32 v[7:8], null, s18, v1, 0
	v_mul_lo_u32 v1, s19, v12
	v_mul_lo_u32 v14, s18, v9
	v_mad_u64_u32 v[9:10], null, s18, v12, 0
	v_add_co_u32 v69, vcc_lo, s20, v5
	v_add_co_ci_u32_e32 v70, vcc_lo, s21, v6, vcc_lo
	v_add3_u32 v8, v8, v13, v11
	v_add_co_u32 v71, vcc_lo, s22, v5
	v_add_co_ci_u32_e32 v72, vcc_lo, s23, v6, vcc_lo
	v_add3_u32 v10, v10, v14, v1
	v_add_co_u32 v1, vcc_lo, v73, 2
	v_lshlrev_b64 v[5:6], 2, v[7:8]
	v_add_co_ci_u32_e32 v11, vcc_lo, 0, v74, vcc_lo
	s_delay_alu instid0(VALU_DEP_4) | instskip(NEXT) | instid1(VALU_DEP_4)
	v_lshlrev_b64 v[7:8], 2, v[9:10]
	v_mul_lo_u32 v12, s19, v1
	v_mad_u64_u32 v[9:10], null, s18, v1, 0
	v_add_co_u32 v73, vcc_lo, s20, v5
	v_mul_lo_u32 v11, s18, v11
	v_add_co_ci_u32_e32 v74, vcc_lo, s21, v6, vcc_lo
	v_add_co_u32 v75, vcc_lo, s22, v5
	v_add_co_ci_u32_e32 v76, vcc_lo, s23, v6, vcc_lo
	v_add_co_u32 v77, vcc_lo, s20, v7
	v_add_co_ci_u32_e32 v78, vcc_lo, s21, v8, vcc_lo
	v_add3_u32 v10, v10, v11, v12
	v_add_co_u32 v79, vcc_lo, s22, v7
	v_add_co_ci_u32_e32 v80, vcc_lo, s23, v8, vcc_lo
	v_add_co_u32 v3, vcc_lo, v3, s18
	s_delay_alu instid0(VALU_DEP_4) | instskip(SKIP_3) | instid1(VALU_DEP_4)
	v_lshlrev_b64 v[5:6], 2, v[9:10]
	v_add_co_ci_u32_e32 v4, vcc_lo, s19, v4, vcc_lo
	v_mad_u64_u32 v[29:30], null, s18, v17, s[20:21]
	v_mul_lo_u32 v50, s19, v17
	v_add_co_u32 v81, vcc_lo, s20, v5
	s_delay_alu instid0(VALU_DEP_4)
	v_lshlrev_b64 v[3:4], 2, v[3:4]
	v_add_co_ci_u32_e32 v82, vcc_lo, s21, v6, vcc_lo
	v_mad_u64_u32 v[43:44], null, s18, v17, s[22:23]
	v_add_co_u32 v83, vcc_lo, s22, v5
	v_add_co_ci_u32_e32 v84, vcc_lo, s23, v6, vcc_lo
	v_add_co_u32 v85, vcc_lo, s20, v3
	v_add_co_ci_u32_e32 v86, vcc_lo, s21, v4, vcc_lo
	v_add_co_u32 v87, vcc_lo, s22, v3
	v_add3_u32 v28, v18, v28, v16
	v_add3_u32 v30, v50, v30, v49
	;; [unrolled: 1-line block ×6, first 2 shown]
	v_add_co_ci_u32_e32 v88, vcc_lo, s23, v4, vcc_lo
	v_dual_mov_b32 v56, 0 :: v_dual_mov_b32 v51, 0
	s_mul_i32 s6, s18, s15
	s_mov_b64 s[22:23], 7
	s_lshl_b64 s[20:21], s[6:7], 2
	s_branch .LBB63_56
.LBB63_53:                              ;   in Loop: Header=BB63_56 Depth=1
	s_or_b32 exec_lo, exec_lo, s5
.LBB63_54:                              ;   in Loop: Header=BB63_56 Depth=1
	s_delay_alu instid0(SALU_CYCLE_1)
	s_or_b32 exec_lo, exec_lo, s3
	v_add_co_u32 v3, vcc_lo, v57, v21
	v_add_co_ci_u32_e32 v4, vcc_lo, v58, v22, vcc_lo
	s_waitcnt vmcnt(1)
	ds_bpermute_b32 v89, v2, v1
	global_load_b32 v6, v[3:4], off
	v_add_co_u32 v3, vcc_lo, v59, v21
	v_add_co_ci_u32_e32 v4, vcc_lo, v60, v22, vcc_lo
	global_load_b32 v7, v[3:4], off
	v_add_co_u32 v3, vcc_lo, v19, v21
	v_add_co_ci_u32_e32 v4, vcc_lo, v20, v22, vcc_lo
	;; [unrolled: 3-line block ×15, first 2 shown]
	global_load_b32 v4, v[3:4], off
	s_waitcnt vmcnt(16)
	ds_bpermute_b32 v3, v2, v5
	s_waitcnt vmcnt(14) lgkmcnt(1)
	v_sub_f32_e32 v7, v7, v89
	s_delay_alu instid0(VALU_DEP_1) | instskip(SKIP_1) | instid1(VALU_DEP_1)
	v_mul_f32_e32 v7, v6, v7
	s_waitcnt lgkmcnt(0)
	v_fmac_f32_e32 v56, v7, v3
	ds_bpermute_b32 v7, v2, v1 offset:4
	v_add_f32_e32 v3, v51, v6
	ds_bpermute_b32 v6, v2, v5 offset:4
	s_waitcnt vmcnt(13)
	v_add_f32_e32 v3, v3, v8
	s_waitcnt vmcnt(11)
	s_delay_alu instid0(VALU_DEP_1) | instskip(SKIP_2) | instid1(VALU_DEP_1)
	v_add_f32_e32 v3, v3, v11
	s_waitcnt lgkmcnt(1)
	v_sub_f32_e32 v7, v9, v7
	v_mul_f32_e32 v7, v8, v7
	s_waitcnt vmcnt(9)
	v_add_f32_e32 v3, v3, v13
	s_waitcnt lgkmcnt(0)
	s_delay_alu instid0(VALU_DEP_2)
	v_fmac_f32_e32 v56, v7, v6
	ds_bpermute_b32 v7, v2, v1 offset:8
	ds_bpermute_b32 v6, v2, v5 offset:8
	s_waitcnt vmcnt(7)
	v_add_f32_e32 v3, v3, v15
	s_waitcnt lgkmcnt(1)
	v_sub_f32_e32 v7, v12, v7
	s_delay_alu instid0(VALU_DEP_1) | instskip(SKIP_3) | instid1(VALU_DEP_2)
	v_mul_f32_e32 v7, v11, v7
	s_waitcnt vmcnt(5)
	v_add_f32_e32 v3, v3, v17
	s_waitcnt lgkmcnt(0)
	v_fmac_f32_e32 v56, v7, v6
	ds_bpermute_b32 v7, v2, v1 offset:12
	ds_bpermute_b32 v6, v2, v5 offset:12
	s_waitcnt vmcnt(3)
	v_add_f32_e32 v3, v3, v49
	s_waitcnt lgkmcnt(1)
	v_sub_f32_e32 v7, v14, v7
	s_delay_alu instid0(VALU_DEP_1) | instskip(SKIP_1) | instid1(VALU_DEP_1)
	v_mul_f32_e32 v7, v13, v7
	s_waitcnt lgkmcnt(0)
	v_fmac_f32_e32 v56, v7, v6
	ds_bpermute_b32 v7, v2, v1 offset:16
	ds_bpermute_b32 v6, v2, v5 offset:16
	s_waitcnt lgkmcnt(1)
	v_sub_f32_e32 v7, v16, v7
	s_delay_alu instid0(VALU_DEP_1) | instskip(SKIP_1) | instid1(VALU_DEP_1)
	v_mul_f32_e32 v7, v15, v7
	s_waitcnt lgkmcnt(0)
	v_fmac_f32_e32 v56, v7, v6
	ds_bpermute_b32 v7, v2, v1 offset:20
	ds_bpermute_b32 v6, v2, v5 offset:20
	;; [unrolled: 8-line block ×3, first 2 shown]
	ds_bpermute_b32 v6, v2, v5 offset:24
	ds_bpermute_b32 v5, v2, v5 offset:28
	s_waitcnt vmcnt(2) lgkmcnt(3)
	v_sub_f32_e32 v7, v50, v7
	s_waitcnt vmcnt(0) lgkmcnt(2)
	v_sub_f32_e32 v1, v4, v1
	s_delay_alu instid0(VALU_DEP_2) | instskip(SKIP_1) | instid1(VALU_DEP_1)
	v_mul_f32_e32 v7, v49, v7
	s_waitcnt lgkmcnt(1)
	v_dual_mul_f32 v1, v10, v1 :: v_dual_fmac_f32 v56, v7, v6
	s_waitcnt lgkmcnt(0)
	s_delay_alu instid0(VALU_DEP_1)
	v_dual_mul_f32 v4, v1, v5 :: v_dual_mov_b32 v1, v56
.LBB63_55:                              ;   in Loop: Header=BB63_56 Depth=1
	v_add_co_u32 v54, vcc_lo, v54, s15
	v_add_co_ci_u32_e32 v55, vcc_lo, 0, v55, vcc_lo
	v_add_co_u32 v19, vcc_lo, v19, s20
	v_add_co_ci_u32_e32 v20, vcc_lo, s21, v20, vcc_lo
	;; [unrolled: 2-line block ×28, first 2 shown]
	v_add_co_u32 v83, vcc_lo, v83, s20
	s_add_u32 s26, s26, s15
	v_add_co_ci_u32_e32 v84, vcc_lo, s21, v84, vcc_lo
	s_addc_u32 s27, s27, 0
	v_add_co_u32 v85, vcc_lo, v85, s20
	v_add_co_ci_u32_e32 v86, vcc_lo, s21, v86, vcc_lo
	v_cmp_ge_i64_e64 s3, s[26:27], s[16:17]
	v_add_co_u32 v87, vcc_lo, v87, s20
	v_dual_add_f32 v56, v1, v4 :: v_dual_add_f32 v51, v3, v10
	v_add_co_ci_u32_e32 v88, vcc_lo, s21, v88, vcc_lo
	s_add_u32 s22, s22, s15
	s_addc_u32 s23, s23, 0
	s_and_b32 vcc_lo, exec_lo, s3
	s_cbranch_vccnz .LBB63_82
.LBB63_56:                              ; =>This Inner Loop Header: Depth=1
	s_add_u32 s6, s12, s22
	s_addc_u32 s7, 0, s23
	v_add_co_u32 v49, vcc_lo, s12, v54
	v_cmp_ge_i64_e64 s3, s[6:7], s[16:17]
	v_add_co_ci_u32_e32 v50, vcc_lo, 0, v55, vcc_lo
	s_delay_alu instid0(VALU_DEP_2)
	s_and_b32 vcc_lo, exec_lo, s3
	s_cbranch_vccz .LBB63_78
; %bb.57:                               ;   in Loop: Header=BB63_56 Depth=1
	s_load_b32 s3, s[24:25], 0xc
	v_dual_mov_b32 v89, 0 :: v_dual_mov_b32 v90, 0
	s_waitcnt lgkmcnt(0)
	s_and_b32 s3, s3, 0xffff
	s_delay_alu instid0(SALU_CYCLE_1) | instskip(SKIP_1) | instid1(VALU_DEP_1)
	v_mad_u32_u24 v1, v52, s3, v53
	s_mov_b32 s3, exec_lo
	v_and_b32_e32 v1, 31, v1
	s_delay_alu instid0(VALU_DEP_1)
	v_cmpx_gt_u32_e32 8, v1
	s_cbranch_execz .LBB63_61
; %bb.58:                               ;   in Loop: Header=BB63_56 Depth=1
	v_add_co_u32 v3, vcc_lo, v49, v1
	v_add_co_ci_u32_e32 v4, vcc_lo, 0, v50, vcc_lo
	v_dual_mov_b32 v90, 0 :: v_dual_mov_b32 v89, 0
	s_mov_b32 s5, exec_lo
	s_delay_alu instid0(VALU_DEP_2)
	v_cmpx_gt_i64_e64 s[16:17], v[3:4]
	s_cbranch_execz .LBB63_60
; %bb.59:                               ;   in Loop: Header=BB63_56 Depth=1
	v_lshlrev_b64 v[3:4], 2, v[3:4]
	s_delay_alu instid0(VALU_DEP_1) | instskip(NEXT) | instid1(VALU_DEP_2)
	v_add_co_u32 v5, vcc_lo, s36, v3
	v_add_co_ci_u32_e32 v6, vcc_lo, s37, v4, vcc_lo
	v_add_co_u32 v3, vcc_lo, s38, v3
	v_add_co_ci_u32_e32 v4, vcc_lo, s39, v4, vcc_lo
	global_load_b32 v90, v[5:6], off
	global_load_b32 v89, v[3:4], off
.LBB63_60:                              ;   in Loop: Header=BB63_56 Depth=1
	s_or_b32 exec_lo, exec_lo, s5
.LBB63_61:                              ;   in Loop: Header=BB63_56 Depth=1
	s_delay_alu instid0(SALU_CYCLE_1)
	s_or_b32 exec_lo, exec_lo, s3
	s_mov_b32 s11, s4
	s_mov_b32 s5, s4
	;; [unrolled: 1-line block ×7, first 2 shown]
	s_delay_alu instid0(SALU_CYCLE_1) | instskip(SKIP_3) | instid1(VALU_DEP_3)
	v_dual_mov_b32 v18, s11 :: v_dual_mov_b32 v17, s10
	v_dual_mov_b32 v12, s5 :: v_dual_mov_b32 v11, s4
	;; [unrolled: 1-line block ×5, first 2 shown]
	s_delay_alu instid0(VALU_DEP_3) | instskip(NEXT) | instid1(VALU_DEP_3)
	v_dual_mov_b32 v7, v15 :: v_dual_mov_b32 v8, v16
	v_dual_mov_b32 v5, v13 :: v_dual_mov_b32 v6, v14
	;; [unrolled: 1-line block ×3, first 2 shown]
	s_mov_b32 s3, exec_lo
	v_cmpx_gt_i64_e64 s[16:17], v[49:50]
	s_cbranch_execz .LBB63_63
; %bb.62:                               ;   in Loop: Header=BB63_56 Depth=1
	v_add_co_u32 v3, vcc_lo, v57, v21
	v_add_co_ci_u32_e32 v4, vcc_lo, v58, v22, vcc_lo
	v_mov_b32_e32 v8, v2
	v_mov_b32_e32 v5, v2
	;; [unrolled: 1-line block ×3, first 2 shown]
	global_load_b32 v1, v[3:4], off
	v_add_co_u32 v3, vcc_lo, v59, v21
	v_add_co_ci_u32_e32 v4, vcc_lo, v60, v22, vcc_lo
	v_mov_b32_e32 v7, v2
	v_mov_b32_e32 v17, v2
	global_load_b32 v11, v[3:4], off
	v_mov_b32_e32 v3, v2
	v_mov_b32_e32 v4, v2
	s_waitcnt vmcnt(1)
	v_dual_mov_b32 v13, v2 :: v_dual_mov_b32 v10, v8
	v_dual_mov_b32 v12, v2 :: v_dual_mov_b32 v9, v7
	v_mov_b32_e32 v8, v6
	v_dual_mov_b32 v14, v2 :: v_dual_mov_b32 v7, v5
	v_dual_mov_b32 v15, v2 :: v_dual_mov_b32 v6, v4
	;; [unrolled: 1-line block ×3, first 2 shown]
	v_mov_b32_e32 v4, v2
	v_dual_mov_b32 v18, v2 :: v_dual_mov_b32 v3, v1
.LBB63_63:                              ;   in Loop: Header=BB63_56 Depth=1
	s_or_b32 exec_lo, exec_lo, s3
	v_add_co_u32 v91, vcc_lo, v49, 1
	v_add_co_ci_u32_e32 v92, vcc_lo, 0, v50, vcc_lo
	s_mov_b32 s3, exec_lo
	s_delay_alu instid0(VALU_DEP_1)
	v_cmpx_gt_i64_e64 s[16:17], v[91:92]
	s_cbranch_execz .LBB63_65
; %bb.64:                               ;   in Loop: Header=BB63_56 Depth=1
	v_add_co_u32 v91, vcc_lo, v85, v21
	v_add_co_ci_u32_e32 v92, vcc_lo, v86, v22, vcc_lo
	v_add_co_u32 v93, vcc_lo, v87, v21
	v_add_co_ci_u32_e32 v94, vcc_lo, v88, v22, vcc_lo
	global_load_b32 v4, v[91:92], off
	global_load_b32 v12, v[93:94], off
.LBB63_65:                              ;   in Loop: Header=BB63_56 Depth=1
	s_or_b32 exec_lo, exec_lo, s3
	v_add_co_u32 v91, vcc_lo, v49, 2
	v_add_co_ci_u32_e32 v92, vcc_lo, 0, v50, vcc_lo
	s_mov_b32 s3, exec_lo
	s_delay_alu instid0(VALU_DEP_1)
	v_cmpx_gt_i64_e64 s[16:17], v[91:92]
	s_cbranch_execz .LBB63_67
; %bb.66:                               ;   in Loop: Header=BB63_56 Depth=1
	v_add_co_u32 v91, vcc_lo, v81, v21
	v_add_co_ci_u32_e32 v92, vcc_lo, v82, v22, vcc_lo
	v_add_co_u32 v93, vcc_lo, v83, v21
	v_add_co_ci_u32_e32 v94, vcc_lo, v84, v22, vcc_lo
	global_load_b32 v5, v[91:92], off
	global_load_b32 v13, v[93:94], off
.LBB63_67:                              ;   in Loop: Header=BB63_56 Depth=1
	;; [unrolled: 15-line block ×7, first 2 shown]
	s_or_b32 exec_lo, exec_lo, s3
	s_waitcnt vmcnt(1)
	ds_bpermute_b32 v1, v2, v90
	ds_bpermute_b32 v91, v2, v90 offset:4
	ds_bpermute_b32 v92, v2, v90 offset:8
	s_waitcnt vmcnt(0)
	ds_bpermute_b32 v93, v2, v89
	ds_bpermute_b32 v94, v2, v90 offset:12
	ds_bpermute_b32 v95, v2, v89 offset:4
	;; [unrolled: 1-line block ×5, first 2 shown]
	v_add_f32_e32 v96, v51, v3
	ds_bpermute_b32 v99, v2, v89 offset:16
	s_waitcnt lgkmcnt(8)
	v_dual_sub_f32 v1, v11, v1 :: v_dual_sub_f32 v12, v12, v91
	ds_bpermute_b32 v11, v2, v89 offset:12
	ds_bpermute_b32 v91, v2, v90 offset:24
	s_waitcnt lgkmcnt(9)
	v_sub_f32_e32 v13, v13, v92
	v_dual_mul_f32 v1, v3, v1 :: v_dual_mul_f32 v12, v4, v12
	ds_bpermute_b32 v90, v2, v90 offset:28
	ds_bpermute_b32 v3, v2, v89 offset:20
	v_dual_add_f32 v4, v4, v96 :: v_dual_mul_f32 v13, v5, v13
	s_waitcnt lgkmcnt(10)
	v_fma_f32 v1, v1, v93, v56
	s_waitcnt lgkmcnt(9)
	v_sub_f32_e32 v14, v14, v94
	s_waitcnt lgkmcnt(7)
	v_dual_add_f32 v4, v5, v4 :: v_dual_sub_f32 v5, v15, v97
	v_fmac_f32_e32 v1, v12, v95
	ds_bpermute_b32 v12, v2, v89 offset:24
	v_mul_f32_e32 v14, v6, v14
	v_dual_add_f32 v4, v6, v4 :: v_dual_mul_f32 v5, v7, v5
	s_waitcnt lgkmcnt(7)
	v_fmac_f32_e32 v1, v13, v98
	ds_bpermute_b32 v13, v2, v89 offset:28
	s_waitcnt lgkmcnt(7)
	v_sub_f32_e32 v6, v16, v100
	s_waitcnt lgkmcnt(4)
	v_dual_add_f32 v4, v7, v4 :: v_dual_sub_f32 v7, v17, v91
	s_delay_alu instid0(VALU_DEP_2) | instskip(NEXT) | instid1(VALU_DEP_2)
	v_dual_fmac_f32 v1, v14, v11 :: v_dual_mul_f32 v6, v8, v6
	v_dual_add_f32 v4, v8, v4 :: v_dual_mul_f32 v7, v9, v7
	s_delay_alu instid0(VALU_DEP_2) | instskip(SKIP_2) | instid1(VALU_DEP_1)
	v_fmac_f32_e32 v1, v5, v99
	s_waitcnt lgkmcnt(3)
	v_sub_f32_e32 v5, v18, v90
	v_mul_f32_e32 v5, v10, v5
	s_waitcnt lgkmcnt(2)
	v_fmac_f32_e32 v1, v6, v3
	v_add_f32_e32 v3, v9, v4
	s_waitcnt lgkmcnt(0)
	s_delay_alu instid0(VALU_DEP_2)
	v_dual_mul_f32 v4, v5, v13 :: v_dual_fmac_f32 v1, v7, v12
	s_branch .LBB63_55
.LBB63_78:                              ;   in Loop: Header=BB63_56 Depth=1
                                        ; implicit-def: $vgpr10
                                        ; implicit-def: $vgpr4
                                        ; implicit-def: $vgpr3
                                        ; implicit-def: $vgpr1
	s_cbranch_execz .LBB63_55
; %bb.79:                               ;   in Loop: Header=BB63_56 Depth=1
	s_load_b32 s3, s[24:25], 0x0
	v_mov_b32_e32 v5, 0
	s_waitcnt lgkmcnt(0)
	s_cmp_lt_u32 s14, s3
	s_cselect_b32 s3, 12, 18
	s_delay_alu instid0(SALU_CYCLE_1)
	s_add_u32 s6, s24, s3
	s_addc_u32 s7, s25, 0
	s_mov_b32 s3, exec_lo
	global_load_u16 v1, v2, s[6:7]
	s_waitcnt vmcnt(0)
	v_mad_u32_u24 v1, v52, v1, v53
	s_delay_alu instid0(VALU_DEP_1) | instskip(SKIP_1) | instid1(VALU_DEP_2)
	v_and_b32_e32 v3, 31, v1
	v_mov_b32_e32 v1, 0
	v_cmpx_gt_u32_e32 8, v3
	s_cbranch_execz .LBB63_54
; %bb.80:                               ;   in Loop: Header=BB63_56 Depth=1
	v_add_co_u32 v3, vcc_lo, v49, v3
	v_add_co_ci_u32_e32 v4, vcc_lo, 0, v50, vcc_lo
	v_mov_b32_e32 v1, 0
	v_mov_b32_e32 v5, 0
	s_mov_b32 s5, exec_lo
	s_delay_alu instid0(VALU_DEP_3)
	v_cmpx_gt_i64_e64 s[16:17], v[3:4]
	s_cbranch_execz .LBB63_53
; %bb.81:                               ;   in Loop: Header=BB63_56 Depth=1
	v_lshlrev_b64 v[3:4], 2, v[3:4]
	s_delay_alu instid0(VALU_DEP_1) | instskip(NEXT) | instid1(VALU_DEP_2)
	v_add_co_u32 v5, vcc_lo, s36, v3
	v_add_co_ci_u32_e32 v6, vcc_lo, s37, v4, vcc_lo
	v_add_co_u32 v3, vcc_lo, s38, v3
	v_add_co_ci_u32_e32 v4, vcc_lo, s39, v4, vcc_lo
	global_load_b32 v1, v[5:6], off
	global_load_b32 v5, v[3:4], off
	s_branch .LBB63_53
.LBB63_82:
	v_and_b32_e32 v1, 0x3ff, v0
	s_mov_b32 s15, 0
	s_mov_b32 s3, exec_lo
	s_lshl_b64 s[4:5], s[14:15], 5
	s_delay_alu instid0(SALU_CYCLE_1) | instskip(SKIP_1) | instid1(VALU_DEP_1)
	v_mov_b32_e32 v5, s5
	v_or_b32_e32 v4, s4, v1
	v_cmpx_gt_i64_e64 s[18:19], v[4:5]
	s_cbranch_execz .LBB63_87
; %bb.83:
	s_clause 0x1
	s_load_b32 s3, s[0:1], 0x4c
	s_load_b128 s[4:7], s[0:1], 0x30
	v_bfe_u32 v0, v0, 10, 10
	v_mov_b32_e32 v1, 0
	s_waitcnt lgkmcnt(0)
	s_lshr_b32 s0, s3, 16
	s_cmp_eq_u64 s[4:5], 0
	s_delay_alu instid0(VALU_DEP_1) | instskip(SKIP_1) | instid1(VALU_DEP_2)
	v_mad_u64_u32 v[2:3], null, s0, s2, v[0:1]
	v_lshlrev_b64 v[0:1], 2, v[4:5]
	v_mul_lo_u32 v3, v3, s18
	s_delay_alu instid0(VALU_DEP_3)
	v_mul_lo_u32 v6, v2, s19
	s_cbranch_scc1 .LBB63_85
; %bb.84:
	v_mad_u64_u32 v[4:5], null, v2, s18, 0
	s_delay_alu instid0(VALU_DEP_1) | instskip(NEXT) | instid1(VALU_DEP_1)
	v_add3_u32 v5, v5, v6, v3
	v_lshlrev_b64 v[4:5], 2, v[4:5]
	s_delay_alu instid0(VALU_DEP_1) | instskip(NEXT) | instid1(VALU_DEP_2)
	v_add_co_u32 v4, vcc_lo, s4, v4
	v_add_co_ci_u32_e32 v5, vcc_lo, s5, v5, vcc_lo
	s_delay_alu instid0(VALU_DEP_2) | instskip(NEXT) | instid1(VALU_DEP_2)
	v_add_co_u32 v4, vcc_lo, v4, v0
	v_add_co_ci_u32_e32 v5, vcc_lo, v5, v1, vcc_lo
	global_store_b32 v[4:5], v56, off
.LBB63_85:
	s_cmp_eq_u64 s[6:7], 0
	s_cbranch_scc1 .LBB63_87
; %bb.86:
	v_mad_u64_u32 v[4:5], null, v2, s18, 0
	s_delay_alu instid0(VALU_DEP_1) | instskip(NEXT) | instid1(VALU_DEP_1)
	v_add3_u32 v5, v5, v6, v3
	v_lshlrev_b64 v[2:3], 2, v[4:5]
	s_delay_alu instid0(VALU_DEP_1) | instskip(NEXT) | instid1(VALU_DEP_2)
	v_add_co_u32 v2, vcc_lo, s6, v2
	v_add_co_ci_u32_e32 v3, vcc_lo, s7, v3, vcc_lo
	s_delay_alu instid0(VALU_DEP_2) | instskip(NEXT) | instid1(VALU_DEP_2)
	v_add_co_u32 v0, vcc_lo, v2, v0
	v_add_co_ci_u32_e32 v1, vcc_lo, v3, v1, vcc_lo
	global_store_b32 v[0:1], v51, off
.LBB63_87:
	s_nop 0
	s_sendmsg sendmsg(MSG_DEALLOC_VGPRS)
	s_endpgm
	.section	.rodata,"a",@progbits
	.p2align	6, 0x0
	.amdhsa_kernel _ZN2at6native12_GLOBAL__N_135GammaBetaBackwardCUDAKernelTemplateIffLj32ELj1ELj8ELb1ELb0ELb0EEEvllPKT_S5_PKT0_S8_PS3_S9_
		.amdhsa_group_segment_fixed_size 0
		.amdhsa_private_segment_fixed_size 0
		.amdhsa_kernarg_size 320
		.amdhsa_user_sgpr_count 14
		.amdhsa_user_sgpr_dispatch_ptr 0
		.amdhsa_user_sgpr_queue_ptr 0
		.amdhsa_user_sgpr_kernarg_segment_ptr 1
		.amdhsa_user_sgpr_dispatch_id 0
		.amdhsa_user_sgpr_private_segment_size 0
		.amdhsa_wavefront_size32 1
		.amdhsa_uses_dynamic_stack 0
		.amdhsa_enable_private_segment 0
		.amdhsa_system_sgpr_workgroup_id_x 1
		.amdhsa_system_sgpr_workgroup_id_y 1
		.amdhsa_system_sgpr_workgroup_id_z 0
		.amdhsa_system_sgpr_workgroup_info 0
		.amdhsa_system_vgpr_workitem_id 1
		.amdhsa_next_free_vgpr 101
		.amdhsa_next_free_sgpr 41
		.amdhsa_reserve_vcc 1
		.amdhsa_float_round_mode_32 0
		.amdhsa_float_round_mode_16_64 0
		.amdhsa_float_denorm_mode_32 3
		.amdhsa_float_denorm_mode_16_64 3
		.amdhsa_dx10_clamp 1
		.amdhsa_ieee_mode 1
		.amdhsa_fp16_overflow 0
		.amdhsa_workgroup_processor_mode 1
		.amdhsa_memory_ordered 1
		.amdhsa_forward_progress 0
		.amdhsa_shared_vgpr_count 0
		.amdhsa_exception_fp_ieee_invalid_op 0
		.amdhsa_exception_fp_denorm_src 0
		.amdhsa_exception_fp_ieee_div_zero 0
		.amdhsa_exception_fp_ieee_overflow 0
		.amdhsa_exception_fp_ieee_underflow 0
		.amdhsa_exception_fp_ieee_inexact 0
		.amdhsa_exception_int_div_zero 0
	.end_amdhsa_kernel
	.section	.text._ZN2at6native12_GLOBAL__N_135GammaBetaBackwardCUDAKernelTemplateIffLj32ELj1ELj8ELb1ELb0ELb0EEEvllPKT_S5_PKT0_S8_PS3_S9_,"axG",@progbits,_ZN2at6native12_GLOBAL__N_135GammaBetaBackwardCUDAKernelTemplateIffLj32ELj1ELj8ELb1ELb0ELb0EEEvllPKT_S5_PKT0_S8_PS3_S9_,comdat
.Lfunc_end63:
	.size	_ZN2at6native12_GLOBAL__N_135GammaBetaBackwardCUDAKernelTemplateIffLj32ELj1ELj8ELb1ELb0ELb0EEEvllPKT_S5_PKT0_S8_PS3_S9_, .Lfunc_end63-_ZN2at6native12_GLOBAL__N_135GammaBetaBackwardCUDAKernelTemplateIffLj32ELj1ELj8ELb1ELb0ELb0EEEvllPKT_S5_PKT0_S8_PS3_S9_
                                        ; -- End function
	.section	.AMDGPU.csdata,"",@progbits
; Kernel info:
; codeLenInByte = 7740
; NumSgprs: 43
; NumVgprs: 101
; ScratchSize: 0
; MemoryBound: 0
; FloatMode: 240
; IeeeMode: 1
; LDSByteSize: 0 bytes/workgroup (compile time only)
; SGPRBlocks: 5
; VGPRBlocks: 12
; NumSGPRsForWavesPerEU: 43
; NumVGPRsForWavesPerEU: 101
; Occupancy: 12
; WaveLimiterHint : 0
; COMPUTE_PGM_RSRC2:SCRATCH_EN: 0
; COMPUTE_PGM_RSRC2:USER_SGPR: 14
; COMPUTE_PGM_RSRC2:TRAP_HANDLER: 0
; COMPUTE_PGM_RSRC2:TGID_X_EN: 1
; COMPUTE_PGM_RSRC2:TGID_Y_EN: 1
; COMPUTE_PGM_RSRC2:TGID_Z_EN: 0
; COMPUTE_PGM_RSRC2:TIDIG_COMP_CNT: 1
	.section	.text._ZN2at6native12_GLOBAL__N_135GammaBetaBackwardCUDAKernelTemplateIffLj32ELj8ELj64ELb0ELb1ELb0EEEvllPKT_S5_PKT0_S8_PS3_S9_,"axG",@progbits,_ZN2at6native12_GLOBAL__N_135GammaBetaBackwardCUDAKernelTemplateIffLj32ELj8ELj64ELb0ELb1ELb0EEEvllPKT_S5_PKT0_S8_PS3_S9_,comdat
	.globl	_ZN2at6native12_GLOBAL__N_135GammaBetaBackwardCUDAKernelTemplateIffLj32ELj8ELj64ELb0ELb1ELb0EEEvllPKT_S5_PKT0_S8_PS3_S9_ ; -- Begin function _ZN2at6native12_GLOBAL__N_135GammaBetaBackwardCUDAKernelTemplateIffLj32ELj8ELj64ELb0ELb1ELb0EEEvllPKT_S5_PKT0_S8_PS3_S9_
	.p2align	8
	.type	_ZN2at6native12_GLOBAL__N_135GammaBetaBackwardCUDAKernelTemplateIffLj32ELj8ELj64ELb0ELb1ELb0EEEvllPKT_S5_PKT0_S8_PS3_S9_,@function
_ZN2at6native12_GLOBAL__N_135GammaBetaBackwardCUDAKernelTemplateIffLj32ELj8ELj64ELb0ELb1ELb0EEEvllPKT_S5_PKT0_S8_PS3_S9_: ; @_ZN2at6native12_GLOBAL__N_135GammaBetaBackwardCUDAKernelTemplateIffLj32ELj8ELj64ELb0ELb1ELb0EEEvllPKT_S5_PKT0_S8_PS3_S9_
; %bb.0:
	s_load_b128 s[20:23], s[0:1], 0x0
	s_mov_b32 s3, 0
	s_lshl_b32 s2, s15, 6
	v_bfe_u32 v7, v0, 10, 10
	s_waitcnt lgkmcnt(0)
	v_cmp_lt_i64_e64 s4, s[2:3], s[20:21]
	s_delay_alu instid0(VALU_DEP_1)
	s_and_b32 vcc_lo, exec_lo, s4
	s_cbranch_vccnz .LBB64_2
; %bb.1:
	v_bfe_u32 v2, v0, 10, 10
	s_mov_b32 s5, 0
	s_mov_b32 s4, s3
	s_branch .LBB64_3
.LBB64_2:
	s_mov_b32 s4, -1
                                        ; implicit-def: $sgpr5
                                        ; implicit-def: $vgpr2
.LBB64_3:
	s_load_b128 s[16:19], s[0:1], 0x30
	v_dual_mov_b32 v17, s5 :: v_dual_and_b32 v6, 0x3ff, v0
	v_mov_b32_e32 v0, s5
	s_and_not1_b32 vcc_lo, exec_lo, s4
	s_cbranch_vccnz .LBB64_11
; %bb.4:
	s_clause 0x2
	s_load_b32 s12, s[0:1], 0x4c
	s_load_b32 s15, s[0:1], 0x44
	s_load_b256 s[4:11], s[0:1], 0x10
	v_dual_mov_b32 v1, 0 :: v_dual_lshlrev_b32 v0, 3, v7
	v_dual_mov_b32 v8, 8 :: v_dual_mov_b32 v9, 4
	v_dual_mov_b32 v10, 12 :: v_dual_mov_b32 v11, 16
	s_delay_alu instid0(VALU_DEP_3) | instskip(NEXT) | instid1(VALU_DEP_1)
	v_add_co_u32 v2, s0, v0, s2
	v_add_co_ci_u32_e64 v3, null, 0, 0, s0
	v_lshl_add_u32 v0, s14, 5, v6
	s_delay_alu instid0(VALU_DEP_3) | instskip(SKIP_1) | instid1(VALU_DEP_4)
	v_mul_lo_u32 v17, s23, v2
	v_mad_u64_u32 v[4:5], null, s22, v2, 0
	v_mul_lo_u32 v18, s22, v3
	v_dual_mov_b32 v12, 20 :: v_dual_mov_b32 v13, 24
	s_waitcnt lgkmcnt(0)
	s_and_b32 s0, s12, 0xffff
	s_lshl_b32 s12, s15, 6
	v_mad_u32_u24 v15, v7, s0, v6
	v_mov_b32_e32 v14, 28
	s_mul_i32 s1, s23, s12
	v_add3_u32 v5, v5, v18, v17
	s_mul_hi_u32 s15, s22, s12
	v_and_b32_e32 v19, 31, v15
	v_lshlrev_b64 v[15:16], 2, v[0:1]
	v_mov_b32_e32 v0, 0
	v_lshlrev_b64 v[17:18], 2, v[4:5]
	s_mov_b32 s13, 0
	v_add_co_u32 v2, vcc_lo, v2, v19
	v_add_co_ci_u32_e32 v3, vcc_lo, 0, v3, vcc_lo
	s_delay_alu instid0(VALU_DEP_3) | instskip(SKIP_1) | instid1(VALU_DEP_3)
	v_add_co_u32 v15, vcc_lo, v17, v15
	v_mov_b32_e32 v17, 0
	v_lshlrev_b64 v[4:5], 2, v[2:3]
	v_cmp_gt_u32_e64 s0, 8, v19
	v_add_co_ci_u32_e32 v16, vcc_lo, v18, v16, vcc_lo
	s_add_i32 s27, s15, s1
	s_mul_i32 s26, s22, s12
	s_lshl_b64 s[24:25], s[12:13], 2
	s_lshl_b64 s[26:27], s[26:27], 2
	;; [unrolled: 1-line block ×3, first 2 shown]
	s_branch .LBB64_7
.LBB64_5:                               ;   in Loop: Header=BB64_7 Depth=1
	s_or_b32 exec_lo, exec_lo, s13
.LBB64_6:                               ;   in Loop: Header=BB64_7 Depth=1
	s_delay_alu instid0(SALU_CYCLE_1)
	s_or_b32 exec_lo, exec_lo, s1
	v_add_co_u32 v20, vcc_lo, s4, v15
	v_add_co_ci_u32_e32 v21, vcc_lo, s5, v16, vcc_lo
	v_add_co_u32 v22, vcc_lo, s6, v15
	v_add_co_ci_u32_e32 v23, vcc_lo, s7, v16, vcc_lo
	global_load_b32 v30, v[20:21], off
	v_add_co_u32 v20, vcc_lo, v20, s22
	v_add_co_ci_u32_e32 v21, vcc_lo, s23, v21, vcc_lo
	v_add_co_u32 v24, vcc_lo, v22, s22
	v_add_co_ci_u32_e32 v25, vcc_lo, s23, v23, vcc_lo
	s_delay_alu instid0(VALU_DEP_4) | instskip(NEXT) | instid1(VALU_DEP_4)
	v_add_co_u32 v26, vcc_lo, v20, s22
	v_add_co_ci_u32_e32 v27, vcc_lo, s23, v21, vcc_lo
	s_delay_alu instid0(VALU_DEP_4) | instskip(NEXT) | instid1(VALU_DEP_4)
	v_add_co_u32 v28, vcc_lo, v24, s22
	v_add_co_ci_u32_e32 v29, vcc_lo, s23, v25, vcc_lo
	global_load_b32 v31, v[22:23], off
	global_load_b32 v32, v[20:21], off
	;; [unrolled: 1-line block ×5, first 2 shown]
	v_add_co_u32 v20, vcc_lo, v28, s22
	v_add_co_ci_u32_e32 v21, vcc_lo, s23, v29, vcc_lo
	v_add_co_u32 v22, vcc_lo, v26, s22
	v_add_co_ci_u32_e32 v23, vcc_lo, s23, v27, vcc_lo
	global_load_b32 v36, v[20:21], off
	v_add_co_u32 v24, vcc_lo, v22, s22
	v_add_co_ci_u32_e32 v25, vcc_lo, s23, v23, vcc_lo
	v_add_co_u32 v20, vcc_lo, v20, s22
	v_add_co_ci_u32_e32 v21, vcc_lo, s23, v21, vcc_lo
	s_delay_alu instid0(VALU_DEP_4) | instskip(NEXT) | instid1(VALU_DEP_4)
	v_add_co_u32 v26, vcc_lo, v24, s22
	v_add_co_ci_u32_e32 v27, vcc_lo, s23, v25, vcc_lo
	s_delay_alu instid0(VALU_DEP_4) | instskip(NEXT) | instid1(VALU_DEP_4)
	v_add_co_u32 v28, vcc_lo, v20, s22
	v_add_co_ci_u32_e32 v29, vcc_lo, s23, v21, vcc_lo
	s_clause 0x1
	global_load_b32 v37, v[22:23], off
	global_load_b32 v24, v[24:25], off
	;; [unrolled: 1-line block ×5, first 2 shown]
	v_add_co_u32 v20, vcc_lo, v28, s22
	v_add_co_ci_u32_e32 v21, vcc_lo, s23, v29, vcc_lo
	v_add_co_u32 v22, vcc_lo, v26, s22
	v_add_co_ci_u32_e32 v23, vcc_lo, s23, v27, vcc_lo
	global_load_b32 v26, v[20:21], off
	v_add_co_u32 v20, vcc_lo, v20, s22
	v_add_co_ci_u32_e32 v21, vcc_lo, s23, v21, vcc_lo
	global_load_b32 v27, v[22:23], off
	global_load_b32 v28, v[20:21], off
	v_add_co_u32 v20, vcc_lo, v22, s22
	v_add_co_ci_u32_e32 v21, vcc_lo, s23, v23, vcc_lo
	s_waitcnt vmcnt(16)
	ds_bpermute_b32 v22, v9, v19
	s_waitcnt vmcnt(15)
	ds_bpermute_b32 v23, v1, v18
	ds_bpermute_b32 v29, v8, v19
	global_load_b32 v20, v[20:21], off
	ds_bpermute_b32 v21, v1, v19
	ds_bpermute_b32 v40, v9, v18
	;; [unrolled: 1-line block ×5, first 2 shown]
	v_add_co_u32 v4, vcc_lo, v4, s24
	s_add_u32 s2, s2, s12
	v_add_co_ci_u32_e32 v5, vcc_lo, s25, v5, vcc_lo
	s_addc_u32 s3, s3, 0
	v_add_co_u32 v2, vcc_lo, v2, s12
	v_add_co_ci_u32_e32 v3, vcc_lo, 0, v3, vcc_lo
	v_cmp_lt_i64_e64 s1, s[2:3], s[20:21]
	v_add_co_u32 v15, vcc_lo, v15, s26
	v_add_co_ci_u32_e32 v16, vcc_lo, s27, v16, vcc_lo
	s_delay_alu instid0(VALU_DEP_3)
	s_and_b32 vcc_lo, exec_lo, s1
	s_waitcnt vmcnt(15)
	v_add_f32_e32 v17, v17, v30
	s_waitcnt vmcnt(14) lgkmcnt(4)
	v_sub_f32_e32 v21, v31, v21
	ds_bpermute_b32 v31, v8, v18
	s_waitcnt vmcnt(12)
	v_sub_f32_e32 v22, v33, v22
	ds_bpermute_b32 v33, v10, v18
	v_mul_f32_e32 v21, v30, v21
	ds_bpermute_b32 v30, v12, v18
	v_dual_fmac_f32 v0, v21, v23 :: v_dual_mul_f32 v21, v32, v22
	s_waitcnt vmcnt(10)
	v_sub_f32_e32 v22, v35, v29
	ds_bpermute_b32 v23, v11, v18
	ds_bpermute_b32 v29, v13, v19
	v_add_f32_e32 v17, v17, v32
	s_waitcnt lgkmcnt(8)
	v_dual_fmac_f32 v0, v21, v40 :: v_dual_mul_f32 v21, v34, v22
	s_waitcnt vmcnt(9) lgkmcnt(7)
	v_sub_f32_e32 v22, v36, v41
	ds_bpermute_b32 v19, v14, v19
	v_add_f32_e32 v17, v17, v34
	s_waitcnt lgkmcnt(5)
	v_fmac_f32_e32 v0, v21, v31
	s_waitcnt vmcnt(8)
	v_mul_f32_e32 v21, v37, v22
	s_waitcnt vmcnt(6)
	v_sub_f32_e32 v22, v25, v42
	ds_bpermute_b32 v25, v13, v18
	ds_bpermute_b32 v18, v14, v18
	s_waitcnt lgkmcnt(6)
	v_dual_fmac_f32 v0, v21, v33 :: v_dual_mul_f32 v21, v24, v22
	s_waitcnt vmcnt(4)
	v_sub_f32_e32 v22, v39, v43
	s_waitcnt lgkmcnt(4)
	s_delay_alu instid0(VALU_DEP_1) | instskip(SKIP_2) | instid1(VALU_DEP_2)
	v_dual_fmac_f32 v0, v21, v23 :: v_dual_mul_f32 v21, v38, v22
	s_waitcnt vmcnt(3) lgkmcnt(3)
	v_sub_f32_e32 v22, v26, v29
	v_fmac_f32_e32 v0, v21, v30
	s_waitcnt vmcnt(2)
	s_delay_alu instid0(VALU_DEP_2) | instskip(SKIP_1) | instid1(VALU_DEP_1)
	v_mul_f32_e32 v21, v27, v22
	s_waitcnt vmcnt(1) lgkmcnt(1)
	v_dual_sub_f32 v19, v28, v19 :: v_dual_fmac_f32 v0, v21, v25
	s_waitcnt vmcnt(0)
	s_delay_alu instid0(VALU_DEP_1) | instskip(SKIP_1) | instid1(VALU_DEP_1)
	v_mul_f32_e32 v19, v20, v19
	s_waitcnt lgkmcnt(0)
	v_dual_add_f32 v17, v17, v37 :: v_dual_fmac_f32 v0, v19, v18
	s_delay_alu instid0(VALU_DEP_1) | instskip(NEXT) | instid1(VALU_DEP_1)
	v_add_f32_e32 v17, v17, v24
	v_add_f32_e32 v17, v17, v38
	s_delay_alu instid0(VALU_DEP_1) | instskip(NEXT) | instid1(VALU_DEP_1)
	v_add_f32_e32 v17, v17, v27
	v_add_f32_e32 v17, v17, v20
	s_cbranch_vccz .LBB64_10
.LBB64_7:                               ; =>This Inner Loop Header: Depth=1
	v_dual_mov_b32 v18, 0 :: v_dual_mov_b32 v19, 0
	s_and_saveexec_b32 s1, s0
	s_cbranch_execz .LBB64_6
; %bb.8:                                ;   in Loop: Header=BB64_7 Depth=1
	v_dual_mov_b32 v19, 0 :: v_dual_mov_b32 v18, 0
	s_mov_b32 s13, exec_lo
	v_cmpx_gt_i64_e64 s[20:21], v[2:3]
	s_cbranch_execz .LBB64_5
; %bb.9:                                ;   in Loop: Header=BB64_7 Depth=1
	v_add_co_u32 v18, vcc_lo, s8, v4
	v_add_co_ci_u32_e32 v19, vcc_lo, s9, v5, vcc_lo
	v_add_co_u32 v20, vcc_lo, s10, v4
	v_add_co_ci_u32_e32 v21, vcc_lo, s11, v5, vcc_lo
	global_load_b32 v19, v[18:19], off
	global_load_b32 v18, v[20:21], off
	s_branch .LBB64_5
.LBB64_10:
	v_mov_b32_e32 v2, v7
.LBB64_11:
	s_delay_alu instid0(VALU_DEP_2) | instskip(NEXT) | instid1(VALU_DEP_2)
	v_lshrrev_b32_e32 v3, 5, v6
	v_mad_u32_u24 v4, v2, 33, v6
	s_mov_b32 s15, 0
	s_mov_b32 s0, exec_lo
	s_delay_alu instid0(VALU_DEP_2) | instskip(NEXT) | instid1(VALU_DEP_2)
	v_add_nc_u32_e32 v1, v3, v2
	v_lshl_add_u32 v4, v4, 2, 0
	ds_store_b32 v4, v0
	ds_store_b32 v4, v17 offset:1056
	s_waitcnt lgkmcnt(0)
	s_barrier
	buffer_gl0_inv
	v_cmpx_gt_u32_e32 32, v1
	s_cbranch_execz .LBB64_21
; %bb.12:
	v_mbcnt_lo_u32_b32 v0, -1, 0
	s_lshl_b64 s[4:5], s[14:15], 5
	v_cmp_eq_u32_e64 s0, 0, v6
	s_cmp_lg_u64 s[16:17], 0
	s_cselect_b32 s3, -1, 0
	v_xor_b32_e32 v5, 4, v0
	v_xor_b32_e32 v8, 2, v0
	;; [unrolled: 1-line block ×3, first 2 shown]
	s_cmp_lg_u64 s[18:19], 0
	s_delay_alu instid0(VALU_DEP_3)
	v_cmp_gt_i32_e32 vcc_lo, 32, v5
	v_and_b32_e32 v4, 31, v6
	v_or_b32_e32 v6, s4, v3
	s_cselect_b32 s4, -1, 0
	v_cndmask_b32_e32 v7, v0, v5, vcc_lo
	v_cmp_gt_i32_e32 vcc_lo, 32, v8
	v_cmp_gt_u32_e64 s1, 8, v4
	v_mul_u32_u24_e32 v10, 33, v4
	v_add_co_u32 v4, s2, v6, v2
	s_delay_alu instid0(VALU_DEP_1)
	v_add_co_ci_u32_e64 v5, null, s5, 0, s2
	v_cndmask_b32_e32 v6, v0, v8, vcc_lo
	v_cmp_gt_i32_e32 vcc_lo, 32, v9
	v_add3_u32 v10, v10, v2, v3
	v_cndmask_b32_e32 v0, v0, v9, vcc_lo
	v_lshlrev_b64 v[8:9], 2, v[4:5]
	v_lshlrev_b32_e32 v4, 2, v7
	v_add_nc_u32_e32 v7, -8, v1
	v_lshlrev_b32_e32 v5, 2, v6
	v_lshlrev_b32_e32 v6, 2, v0
	v_add_co_u32 v0, vcc_lo, s18, v8
	v_add_co_ci_u32_e32 v1, vcc_lo, s19, v9, vcc_lo
	v_add_co_u32 v2, vcc_lo, s16, v8
	v_add_co_ci_u32_e32 v3, vcc_lo, s17, v9, vcc_lo
	v_lshl_add_u32 v8, v10, 2, 0
                                        ; implicit-def: $vgpr9
                                        ; implicit-def: $vgpr10
	s_branch .LBB64_14
.LBB64_13:                              ;   in Loop: Header=BB64_14 Depth=1
	s_or_b32 exec_lo, exec_lo, s2
	v_add_nc_u32_e32 v7, 8, v7
	v_add_co_u32 v0, vcc_lo, v0, 32
	v_add_co_ci_u32_e32 v1, vcc_lo, 0, v1, vcc_lo
	s_delay_alu instid0(VALU_DEP_3) | instskip(SKIP_1) | instid1(VALU_DEP_1)
	v_cmp_lt_u32_e32 vcc_lo, 23, v7
	v_add_co_u32 v2, s2, v2, 32
	v_add_co_ci_u32_e64 v3, s2, 0, v3, s2
	v_add_nc_u32_e32 v8, 32, v8
	s_or_b32 s15, vcc_lo, s15
	s_delay_alu instid0(SALU_CYCLE_1)
	s_and_not1_b32 exec_lo, exec_lo, s15
	s_cbranch_execz .LBB64_21
.LBB64_14:                              ; =>This Inner Loop Header: Depth=1
	s_and_saveexec_b32 s2, s1
	s_cbranch_execz .LBB64_16
; %bb.15:                               ;   in Loop: Header=BB64_14 Depth=1
	ds_load_b32 v9, v8
	ds_load_b32 v10, v8 offset:1056
.LBB64_16:                              ;   in Loop: Header=BB64_14 Depth=1
	s_or_b32 exec_lo, exec_lo, s2
	s_waitcnt lgkmcnt(1)
	ds_bpermute_b32 v11, v4, v9
	s_waitcnt lgkmcnt(1)
	ds_bpermute_b32 v12, v4, v10
	s_waitcnt lgkmcnt(0)
	v_dual_add_f32 v9, v9, v11 :: v_dual_add_f32 v10, v10, v12
	ds_bpermute_b32 v11, v5, v9
	ds_bpermute_b32 v12, v5, v10
	s_waitcnt lgkmcnt(0)
	v_dual_add_f32 v9, v9, v11 :: v_dual_add_f32 v10, v10, v12
	ds_bpermute_b32 v11, v6, v9
	ds_bpermute_b32 v12, v6, v10
	s_waitcnt lgkmcnt(0)
	v_dual_add_f32 v9, v9, v11 :: v_dual_add_f32 v10, v10, v12
	s_and_saveexec_b32 s2, s0
	s_cbranch_execz .LBB64_13
; %bb.17:                               ;   in Loop: Header=BB64_14 Depth=1
	s_and_not1_b32 vcc_lo, exec_lo, s3
	s_cbranch_vccnz .LBB64_19
; %bb.18:                               ;   in Loop: Header=BB64_14 Depth=1
	global_store_b32 v[2:3], v9, off
.LBB64_19:                              ;   in Loop: Header=BB64_14 Depth=1
	s_and_not1_b32 vcc_lo, exec_lo, s4
	s_cbranch_vccnz .LBB64_13
; %bb.20:                               ;   in Loop: Header=BB64_14 Depth=1
	global_store_b32 v[0:1], v10, off
	s_branch .LBB64_13
.LBB64_21:
	s_nop 0
	s_sendmsg sendmsg(MSG_DEALLOC_VGPRS)
	s_endpgm
	.section	.rodata,"a",@progbits
	.p2align	6, 0x0
	.amdhsa_kernel _ZN2at6native12_GLOBAL__N_135GammaBetaBackwardCUDAKernelTemplateIffLj32ELj8ELj64ELb0ELb1ELb0EEEvllPKT_S5_PKT0_S8_PS3_S9_
		.amdhsa_group_segment_fixed_size 0
		.amdhsa_private_segment_fixed_size 0
		.amdhsa_kernarg_size 320
		.amdhsa_user_sgpr_count 14
		.amdhsa_user_sgpr_dispatch_ptr 0
		.amdhsa_user_sgpr_queue_ptr 0
		.amdhsa_user_sgpr_kernarg_segment_ptr 1
		.amdhsa_user_sgpr_dispatch_id 0
		.amdhsa_user_sgpr_private_segment_size 0
		.amdhsa_wavefront_size32 1
		.amdhsa_uses_dynamic_stack 0
		.amdhsa_enable_private_segment 0
		.amdhsa_system_sgpr_workgroup_id_x 1
		.amdhsa_system_sgpr_workgroup_id_y 1
		.amdhsa_system_sgpr_workgroup_id_z 0
		.amdhsa_system_sgpr_workgroup_info 0
		.amdhsa_system_vgpr_workitem_id 1
		.amdhsa_next_free_vgpr 44
		.amdhsa_next_free_sgpr 28
		.amdhsa_reserve_vcc 1
		.amdhsa_float_round_mode_32 0
		.amdhsa_float_round_mode_16_64 0
		.amdhsa_float_denorm_mode_32 3
		.amdhsa_float_denorm_mode_16_64 3
		.amdhsa_dx10_clamp 1
		.amdhsa_ieee_mode 1
		.amdhsa_fp16_overflow 0
		.amdhsa_workgroup_processor_mode 1
		.amdhsa_memory_ordered 1
		.amdhsa_forward_progress 0
		.amdhsa_shared_vgpr_count 0
		.amdhsa_exception_fp_ieee_invalid_op 0
		.amdhsa_exception_fp_denorm_src 0
		.amdhsa_exception_fp_ieee_div_zero 0
		.amdhsa_exception_fp_ieee_overflow 0
		.amdhsa_exception_fp_ieee_underflow 0
		.amdhsa_exception_fp_ieee_inexact 0
		.amdhsa_exception_int_div_zero 0
	.end_amdhsa_kernel
	.section	.text._ZN2at6native12_GLOBAL__N_135GammaBetaBackwardCUDAKernelTemplateIffLj32ELj8ELj64ELb0ELb1ELb0EEEvllPKT_S5_PKT0_S8_PS3_S9_,"axG",@progbits,_ZN2at6native12_GLOBAL__N_135GammaBetaBackwardCUDAKernelTemplateIffLj32ELj8ELj64ELb0ELb1ELb0EEEvllPKT_S5_PKT0_S8_PS3_S9_,comdat
.Lfunc_end64:
	.size	_ZN2at6native12_GLOBAL__N_135GammaBetaBackwardCUDAKernelTemplateIffLj32ELj8ELj64ELb0ELb1ELb0EEEvllPKT_S5_PKT0_S8_PS3_S9_, .Lfunc_end64-_ZN2at6native12_GLOBAL__N_135GammaBetaBackwardCUDAKernelTemplateIffLj32ELj8ELj64ELb0ELb1ELb0EEEvllPKT_S5_PKT0_S8_PS3_S9_
                                        ; -- End function
	.section	.AMDGPU.csdata,"",@progbits
; Kernel info:
; codeLenInByte = 1724
; NumSgprs: 30
; NumVgprs: 44
; ScratchSize: 0
; MemoryBound: 0
; FloatMode: 240
; IeeeMode: 1
; LDSByteSize: 0 bytes/workgroup (compile time only)
; SGPRBlocks: 3
; VGPRBlocks: 5
; NumSGPRsForWavesPerEU: 30
; NumVGPRsForWavesPerEU: 44
; Occupancy: 16
; WaveLimiterHint : 0
; COMPUTE_PGM_RSRC2:SCRATCH_EN: 0
; COMPUTE_PGM_RSRC2:USER_SGPR: 14
; COMPUTE_PGM_RSRC2:TRAP_HANDLER: 0
; COMPUTE_PGM_RSRC2:TGID_X_EN: 1
; COMPUTE_PGM_RSRC2:TGID_Y_EN: 1
; COMPUTE_PGM_RSRC2:TGID_Z_EN: 0
; COMPUTE_PGM_RSRC2:TIDIG_COMP_CNT: 1
	.section	.text._ZN2at6native12_GLOBAL__N_135GammaBetaBackwardCUDAKernelTemplateIffLj32ELj8ELj64ELb0ELb0ELb0EEEvllPKT_S5_PKT0_S8_PS3_S9_,"axG",@progbits,_ZN2at6native12_GLOBAL__N_135GammaBetaBackwardCUDAKernelTemplateIffLj32ELj8ELj64ELb0ELb0ELb0EEEvllPKT_S5_PKT0_S8_PS3_S9_,comdat
	.globl	_ZN2at6native12_GLOBAL__N_135GammaBetaBackwardCUDAKernelTemplateIffLj32ELj8ELj64ELb0ELb0ELb0EEEvllPKT_S5_PKT0_S8_PS3_S9_ ; -- Begin function _ZN2at6native12_GLOBAL__N_135GammaBetaBackwardCUDAKernelTemplateIffLj32ELj8ELj64ELb0ELb0ELb0EEEvllPKT_S5_PKT0_S8_PS3_S9_
	.p2align	8
	.type	_ZN2at6native12_GLOBAL__N_135GammaBetaBackwardCUDAKernelTemplateIffLj32ELj8ELj64ELb0ELb0ELb0EEEvllPKT_S5_PKT0_S8_PS3_S9_,@function
_ZN2at6native12_GLOBAL__N_135GammaBetaBackwardCUDAKernelTemplateIffLj32ELj8ELj64ELb0ELb0ELb0EEEvllPKT_S5_PKT0_S8_PS3_S9_: ; @_ZN2at6native12_GLOBAL__N_135GammaBetaBackwardCUDAKernelTemplateIffLj32ELj8ELj64ELb0ELb0ELb0EEEvllPKT_S5_PKT0_S8_PS3_S9_
; %bb.0:
	s_clause 0x1
	s_load_b256 s[4:11], s[0:1], 0x0
	s_load_b128 s[24:27], s[0:1], 0x20
	s_mov_b32 s29, 0
	s_lshl_b32 s12, s15, 6
	s_mov_b32 s13, s29
	s_lshl_b32 s33, s14, 5
	s_delay_alu instid0(SALU_CYCLE_1) | instskip(SKIP_3) | instid1(VALU_DEP_2)
	s_or_b32 s28, s33, 31
	s_waitcnt lgkmcnt(0)
	v_cmp_lt_i64_e64 s15, s[12:13], s[4:5]
	v_cmp_ge_i64_e64 s2, s[28:29], s[6:7]
	v_cndmask_b32_e64 v1, 0, 1, s15
	s_delay_alu instid0(VALU_DEP_2) | instskip(NEXT) | instid1(VALU_DEP_1)
	s_and_b32 vcc_lo, exec_lo, s2
	v_cmp_ne_u32_e64 s2, 1, v1
	s_cbranch_vccz .LBB65_49
; %bb.1:
	v_mov_b32_e32 v49, 0
	v_mov_b32_e32 v53, 0
	s_delay_alu instid0(VALU_DEP_3)
	s_and_b32 vcc_lo, exec_lo, s2
	s_cbranch_vccnz .LBB65_50
; %bb.2:
	v_bfe_u32 v27, v0, 10, 10
	s_load_b32 s3, s[0:1], 0x44
	v_dual_mov_b32 v2, 0 :: v_dual_and_b32 v29, 0x3ff, v0
	s_add_u32 s30, s0, 64
	s_delay_alu instid0(VALU_DEP_2) | instskip(NEXT) | instid1(VALU_DEP_2)
	v_dual_mov_b32 v49, 0 :: v_dual_lshlrev_b32 v28, 3, v27
	v_dual_mov_b32 v64, 0 :: v_dual_add_nc_u32 v1, s33, v29
	s_addc_u32 s31, s1, 0
	s_delay_alu instid0(VALU_DEP_2) | instskip(NEXT) | instid1(VALU_DEP_1)
	v_add_co_u32 v9, s2, v28, s12
	v_add_co_ci_u32_e64 v10, null, 0, 0, s2
	s_delay_alu instid0(VALU_DEP_3) | instskip(NEXT) | instid1(VALU_DEP_3)
	v_cmp_gt_i64_e64 s2, s[6:7], v[1:2]
	v_add_co_u32 v5, vcc_lo, v9, 7
	s_delay_alu instid0(VALU_DEP_3) | instskip(SKIP_1) | instid1(VALU_DEP_3)
	v_add_co_ci_u32_e32 v3, vcc_lo, 0, v10, vcc_lo
	v_add_co_u32 v8, vcc_lo, v9, 6
	v_mul_lo_u32 v6, s7, v5
	s_delay_alu instid0(VALU_DEP_3)
	v_mul_lo_u32 v7, s6, v3
	v_mad_u64_u32 v[3:4], null, s6, v5, 0
	v_add_co_ci_u32_e32 v5, vcc_lo, 0, v10, vcc_lo
	v_lshlrev_b64 v[25:26], 2, v[1:2]
	v_mul_lo_u32 v1, s7, v8
	s_waitcnt lgkmcnt(0)
	s_lshl_b32 s28, s3, 6
	s_mov_b32 s16, 0
	s_delay_alu instid0(VALU_DEP_4) | instskip(SKIP_3) | instid1(VALU_DEP_3)
	v_add3_u32 v4, v4, v7, v6
	v_mul_lo_u32 v7, s6, v5
	v_mad_u64_u32 v[5:6], null, s6, v8, 0
	s_mul_i32 s3, s7, s28
	v_lshlrev_b64 v[3:4], 2, v[3:4]
	s_mul_hi_u32 s17, s6, s28
	s_mul_i32 s18, s6, s28
	s_add_i32 s19, s17, s3
	s_mov_b64 s[38:39], s[12:13]
	s_delay_alu instid0(VALU_DEP_2) | instskip(SKIP_4) | instid1(VALU_DEP_1)
	v_add3_u32 v6, v6, v7, v1
	v_add_co_u32 v30, vcc_lo, s8, v3
	v_add_co_ci_u32_e32 v31, vcc_lo, s9, v4, vcc_lo
	v_add_co_u32 v1, vcc_lo, v9, 5
	v_add_co_u32 v32, s3, s10, v3
	v_add_co_ci_u32_e64 v33, s3, s11, v4, s3
	v_lshlrev_b64 v[3:4], 2, v[5:6]
	v_add_co_ci_u32_e32 v5, vcc_lo, 0, v10, vcc_lo
	v_add_co_u32 v12, vcc_lo, v9, 4
	v_mul_lo_u32 v11, s7, v1
	s_delay_alu instid0(VALU_DEP_3) | instskip(SKIP_4) | instid1(VALU_DEP_3)
	v_mul_lo_u32 v13, s6, v5
	v_mad_u64_u32 v[5:6], null, s6, v1, 0
	v_add_co_ci_u32_e32 v7, vcc_lo, 0, v10, vcc_lo
	v_mul_lo_u32 v1, s7, v12
	v_add_co_u32 v34, vcc_lo, s8, v3
	v_mul_lo_u32 v14, s6, v7
	v_mad_u64_u32 v[7:8], null, s6, v12, 0
	v_add3_u32 v6, v6, v13, v11
	v_add_co_ci_u32_e32 v35, vcc_lo, s9, v4, vcc_lo
	v_add_co_u32 v36, vcc_lo, s10, v3
	v_add_co_ci_u32_e32 v37, vcc_lo, s11, v4, vcc_lo
	s_delay_alu instid0(VALU_DEP_4) | instskip(SKIP_3) | instid1(VALU_DEP_4)
	v_lshlrev_b64 v[3:4], 2, v[5:6]
	v_add3_u32 v8, v8, v14, v1
	v_add_co_u32 v1, vcc_lo, v9, 3
	v_add_co_ci_u32_e32 v11, vcc_lo, 0, v10, vcc_lo
	v_add_co_u32 v38, vcc_lo, s8, v3
	s_delay_alu instid0(VALU_DEP_4)
	v_lshlrev_b64 v[5:6], 2, v[7:8]
	v_add_co_ci_u32_e32 v39, vcc_lo, s9, v4, vcc_lo
	v_mul_lo_u32 v12, s7, v1
	v_mul_lo_u32 v11, s6, v11
	v_mad_u64_u32 v[7:8], null, s6, v1, 0
	v_add_co_u32 v40, vcc_lo, s10, v3
	v_add_co_ci_u32_e32 v41, vcc_lo, s11, v4, vcc_lo
	v_add_co_u32 v42, vcc_lo, s8, v5
	v_add_co_ci_u32_e32 v43, vcc_lo, s9, v6, vcc_lo
	v_add_co_u32 v1, vcc_lo, v9, 2
	v_add3_u32 v8, v8, v11, v12
	v_add_co_ci_u32_e32 v11, vcc_lo, 0, v10, vcc_lo
	v_add_co_u32 v44, vcc_lo, s10, v5
	v_add_co_ci_u32_e32 v45, vcc_lo, s11, v6, vcc_lo
	v_mul_lo_u32 v12, s7, v1
	s_delay_alu instid0(VALU_DEP_4)
	v_mul_lo_u32 v11, s6, v11
	v_mad_u64_u32 v[5:6], null, s6, v1, 0
	v_lshlrev_b64 v[3:4], 2, v[7:8]
	v_mul_lo_u32 v1, s7, v9
	v_mul_lo_u32 v10, s6, v10
	v_mad_u64_u32 v[7:8], null, s6, v9, 0
	s_lshl_b64 s[34:35], s[18:19], 2
	s_delay_alu instid0(VALU_DEP_4)
	v_add_co_u32 v46, vcc_lo, s8, v3
	v_add3_u32 v6, v6, v11, v12
	v_add_co_ci_u32_e32 v47, vcc_lo, s9, v4, vcc_lo
	v_add_co_u32 v48, vcc_lo, s10, v3
	v_add3_u32 v8, v8, v10, v1
	v_add_co_ci_u32_e32 v50, vcc_lo, s11, v4, vcc_lo
	v_lshlrev_b64 v[3:4], 2, v[5:6]
	v_add_co_u32 v5, vcc_lo, v7, s6
	s_delay_alu instid0(VALU_DEP_4) | instskip(SKIP_1) | instid1(VALU_DEP_3)
	v_add_co_ci_u32_e32 v6, vcc_lo, s7, v8, vcc_lo
	s_add_u32 s36, s12, 63
	v_add_co_u32 v51, vcc_lo, s8, v3
	s_delay_alu instid0(VALU_DEP_2) | instskip(SKIP_3) | instid1(VALU_DEP_4)
	v_lshlrev_b64 v[5:6], 2, v[5:6]
	v_add_co_ci_u32_e32 v52, vcc_lo, s9, v4, vcc_lo
	v_add_co_u32 v54, vcc_lo, s10, v3
	v_add_co_ci_u32_e32 v55, vcc_lo, s11, v4, vcc_lo
	v_add_co_u32 v56, vcc_lo, s8, v5
	v_lshlrev_b64 v[3:4], 2, v[7:8]
	v_add_co_ci_u32_e32 v57, vcc_lo, s9, v6, vcc_lo
	v_add_co_u32 v58, vcc_lo, s10, v5
	v_add_co_ci_u32_e32 v59, vcc_lo, s11, v6, vcc_lo
	s_delay_alu instid0(VALU_DEP_4)
	v_add_co_u32 v60, vcc_lo, s8, v3
	v_add_co_ci_u32_e32 v61, vcc_lo, s9, v4, vcc_lo
	v_add_co_u32 v62, vcc_lo, s10, v3
	v_add_co_ci_u32_e32 v63, vcc_lo, s11, v4, vcc_lo
	s_addc_u32 s37, 0, 0
.LBB65_3:                               ; =>This Inner Loop Header: Depth=1
	s_delay_alu instid0(SALU_CYCLE_1) | instskip(SKIP_1) | instid1(VALU_DEP_1)
	v_cmp_ge_i64_e64 s3, s[36:37], s[4:5]
	v_add_co_u32 v65, s17, v28, s36
	v_add_co_ci_u32_e64 v66, null, 0, s37, s17
	s_delay_alu instid0(VALU_DEP_3)
	s_and_b32 vcc_lo, exec_lo, s3
	s_cbranch_vccz .LBB65_25
; %bb.4:                                ;   in Loop: Header=BB65_3 Depth=1
	s_load_b32 s3, s[30:31], 0xc
	v_dual_mov_b32 v67, 0 :: v_dual_mov_b32 v68, 0
	s_waitcnt lgkmcnt(0)
	s_and_b32 s3, s3, 0xffff
	s_delay_alu instid0(SALU_CYCLE_1) | instskip(SKIP_1) | instid1(VALU_DEP_1)
	v_mad_u32_u24 v1, v27, s3, v29
	s_mov_b32 s3, exec_lo
	v_and_b32_e32 v1, 31, v1
	s_delay_alu instid0(VALU_DEP_1)
	v_cmpx_gt_u32_e32 8, v1
	s_cbranch_execz .LBB65_8
; %bb.5:                                ;   in Loop: Header=BB65_3 Depth=1
	v_add_co_u32 v1, vcc_lo, v65, v1
	v_add_co_ci_u32_e32 v4, vcc_lo, 0, v66, vcc_lo
	v_dual_mov_b32 v67, 0 :: v_dual_mov_b32 v68, 0
	s_delay_alu instid0(VALU_DEP_3) | instskip(NEXT) | instid1(VALU_DEP_3)
	v_add_co_u32 v3, vcc_lo, 0xffffffc1, v1
	v_add_co_ci_u32_e32 v4, vcc_lo, -1, v4, vcc_lo
	s_mov_b32 s17, exec_lo
	s_delay_alu instid0(VALU_DEP_1)
	v_cmpx_gt_i64_e64 s[4:5], v[3:4]
	s_cbranch_execz .LBB65_7
; %bb.6:                                ;   in Loop: Header=BB65_3 Depth=1
	v_lshlrev_b64 v[3:4], 2, v[3:4]
	s_delay_alu instid0(VALU_DEP_1) | instskip(NEXT) | instid1(VALU_DEP_2)
	v_add_co_u32 v5, vcc_lo, s24, v3
	v_add_co_ci_u32_e32 v6, vcc_lo, s25, v4, vcc_lo
	v_add_co_u32 v3, vcc_lo, s26, v3
	v_add_co_ci_u32_e32 v4, vcc_lo, s27, v4, vcc_lo
	global_load_b32 v67, v[5:6], off
	global_load_b32 v68, v[3:4], off
.LBB65_7:                               ;   in Loop: Header=BB65_3 Depth=1
	s_or_b32 exec_lo, exec_lo, s17
.LBB65_8:                               ;   in Loop: Header=BB65_3 Depth=1
	s_delay_alu instid0(SALU_CYCLE_1)
	s_or_b32 exec_lo, exec_lo, s3
	v_add_co_u32 v3, vcc_lo, 0xffffffc1, v65
	v_add_co_ci_u32_e32 v4, vcc_lo, -1, v66, vcc_lo
	s_mov_b32 s22, s16
	s_mov_b32 s23, s16
	s_mov_b32 s17, s16
	s_mov_b32 s18, s16
	s_mov_b32 s19, s16
	s_mov_b32 s20, s16
	s_mov_b32 s21, s16
	v_dual_mov_b32 v9, s16 :: v_dual_mov_b32 v10, s17
	v_dual_mov_b32 v15, s22 :: v_dual_mov_b32 v16, s23
	v_dual_mov_b32 v11, s18 :: v_dual_mov_b32 v12, s19
	v_dual_mov_b32 v13, s20 :: v_dual_mov_b32 v14, s21
	v_cmp_gt_i64_e32 vcc_lo, s[4:5], v[3:4]
	s_delay_alu instid0(VALU_DEP_4) | instskip(NEXT) | instid1(VALU_DEP_3)
	v_dual_mov_b32 v24, v16 :: v_dual_mov_b32 v23, v15
	v_dual_mov_b32 v21, v13 :: v_dual_mov_b32 v22, v14
	;; [unrolled: 1-line block ×4, first 2 shown]
	s_and_b32 s17, s2, vcc_lo
	s_delay_alu instid0(SALU_CYCLE_1)
	s_and_saveexec_b32 s3, s17
	s_cbranch_execz .LBB65_10
; %bb.9:                                ;   in Loop: Header=BB65_3 Depth=1
	v_add_co_u32 v3, vcc_lo, v60, v25
	v_add_co_ci_u32_e32 v4, vcc_lo, v61, v26, vcc_lo
	v_mov_b32_e32 v8, v2
	v_mov_b32_e32 v5, v2
	;; [unrolled: 1-line block ×3, first 2 shown]
	global_load_b32 v1, v[3:4], off
	v_add_co_u32 v3, vcc_lo, v62, v25
	v_add_co_ci_u32_e32 v4, vcc_lo, v63, v26, vcc_lo
	v_mov_b32_e32 v7, v2
	v_mov_b32_e32 v15, v2
	global_load_b32 v9, v[3:4], off
	v_mov_b32_e32 v3, v2
	v_mov_b32_e32 v4, v2
	s_waitcnt vmcnt(1)
	v_dual_mov_b32 v11, v2 :: v_dual_mov_b32 v24, v8
	v_dual_mov_b32 v10, v2 :: v_dual_mov_b32 v23, v7
	;; [unrolled: 1-line block ×5, first 2 shown]
	v_mov_b32_e32 v16, v2
	v_mov_b32_e32 v22, v6
	v_dual_mov_b32 v18, v2 :: v_dual_mov_b32 v17, v1
.LBB65_10:                              ;   in Loop: Header=BB65_3 Depth=1
	s_or_b32 exec_lo, exec_lo, s3
	v_add_co_u32 v3, vcc_lo, 0xffffffc2, v65
	v_add_co_ci_u32_e32 v4, vcc_lo, -1, v66, vcc_lo
	s_delay_alu instid0(VALU_DEP_1) | instskip(SKIP_1) | instid1(SALU_CYCLE_1)
	v_cmp_gt_i64_e32 vcc_lo, s[4:5], v[3:4]
	s_and_b32 s17, s2, vcc_lo
	s_and_saveexec_b32 s3, s17
	s_cbranch_execz .LBB65_12
; %bb.11:                               ;   in Loop: Header=BB65_3 Depth=1
	v_add_co_u32 v3, vcc_lo, v56, v25
	v_add_co_ci_u32_e32 v4, vcc_lo, v57, v26, vcc_lo
	v_add_co_u32 v5, vcc_lo, v58, v25
	v_add_co_ci_u32_e32 v6, vcc_lo, v59, v26, vcc_lo
	global_load_b32 v18, v[3:4], off
	global_load_b32 v10, v[5:6], off
.LBB65_12:                              ;   in Loop: Header=BB65_3 Depth=1
	s_or_b32 exec_lo, exec_lo, s3
	v_add_co_u32 v3, vcc_lo, 0xffffffc3, v65
	v_add_co_ci_u32_e32 v4, vcc_lo, -1, v66, vcc_lo
	s_delay_alu instid0(VALU_DEP_1) | instskip(SKIP_1) | instid1(SALU_CYCLE_1)
	v_cmp_gt_i64_e32 vcc_lo, s[4:5], v[3:4]
	s_and_b32 s17, s2, vcc_lo
	s_and_saveexec_b32 s3, s17
	s_cbranch_execz .LBB65_14
; %bb.13:                               ;   in Loop: Header=BB65_3 Depth=1
	v_add_co_u32 v3, vcc_lo, v51, v25
	v_add_co_ci_u32_e32 v4, vcc_lo, v52, v26, vcc_lo
	v_add_co_u32 v5, vcc_lo, v54, v25
	v_add_co_ci_u32_e32 v6, vcc_lo, v55, v26, vcc_lo
	global_load_b32 v19, v[3:4], off
	global_load_b32 v11, v[5:6], off
.LBB65_14:                              ;   in Loop: Header=BB65_3 Depth=1
	s_or_b32 exec_lo, exec_lo, s3
	v_add_co_u32 v3, vcc_lo, 0xffffffc4, v65
	v_add_co_ci_u32_e32 v4, vcc_lo, -1, v66, vcc_lo
	s_delay_alu instid0(VALU_DEP_1) | instskip(SKIP_1) | instid1(SALU_CYCLE_1)
	v_cmp_gt_i64_e32 vcc_lo, s[4:5], v[3:4]
	s_and_b32 s17, s2, vcc_lo
	s_and_saveexec_b32 s3, s17
	s_cbranch_execz .LBB65_16
; %bb.15:                               ;   in Loop: Header=BB65_3 Depth=1
	v_add_co_u32 v3, vcc_lo, v46, v25
	v_add_co_ci_u32_e32 v4, vcc_lo, v47, v26, vcc_lo
	v_add_co_u32 v5, vcc_lo, v48, v25
	v_add_co_ci_u32_e32 v6, vcc_lo, v50, v26, vcc_lo
	global_load_b32 v20, v[3:4], off
	global_load_b32 v12, v[5:6], off
.LBB65_16:                              ;   in Loop: Header=BB65_3 Depth=1
	s_or_b32 exec_lo, exec_lo, s3
	v_add_co_u32 v3, vcc_lo, 0xffffffc5, v65
	v_add_co_ci_u32_e32 v4, vcc_lo, -1, v66, vcc_lo
	s_delay_alu instid0(VALU_DEP_1) | instskip(SKIP_1) | instid1(SALU_CYCLE_1)
	v_cmp_gt_i64_e32 vcc_lo, s[4:5], v[3:4]
	s_and_b32 s17, s2, vcc_lo
	s_and_saveexec_b32 s3, s17
	s_cbranch_execz .LBB65_18
; %bb.17:                               ;   in Loop: Header=BB65_3 Depth=1
	v_add_co_u32 v3, vcc_lo, v42, v25
	v_add_co_ci_u32_e32 v4, vcc_lo, v43, v26, vcc_lo
	v_add_co_u32 v5, vcc_lo, v44, v25
	v_add_co_ci_u32_e32 v6, vcc_lo, v45, v26, vcc_lo
	global_load_b32 v21, v[3:4], off
	global_load_b32 v13, v[5:6], off
.LBB65_18:                              ;   in Loop: Header=BB65_3 Depth=1
	s_or_b32 exec_lo, exec_lo, s3
	v_add_co_u32 v3, vcc_lo, 0xffffffc6, v65
	v_add_co_ci_u32_e32 v4, vcc_lo, -1, v66, vcc_lo
	s_delay_alu instid0(VALU_DEP_1) | instskip(SKIP_1) | instid1(SALU_CYCLE_1)
	v_cmp_gt_i64_e32 vcc_lo, s[4:5], v[3:4]
	s_and_b32 s17, s2, vcc_lo
	s_and_saveexec_b32 s3, s17
	s_cbranch_execz .LBB65_20
; %bb.19:                               ;   in Loop: Header=BB65_3 Depth=1
	v_add_co_u32 v3, vcc_lo, v38, v25
	v_add_co_ci_u32_e32 v4, vcc_lo, v39, v26, vcc_lo
	v_add_co_u32 v5, vcc_lo, v40, v25
	v_add_co_ci_u32_e32 v6, vcc_lo, v41, v26, vcc_lo
	global_load_b32 v22, v[3:4], off
	global_load_b32 v14, v[5:6], off
.LBB65_20:                              ;   in Loop: Header=BB65_3 Depth=1
	s_or_b32 exec_lo, exec_lo, s3
	v_add_co_u32 v3, vcc_lo, 0xffffffc7, v65
	v_add_co_ci_u32_e32 v4, vcc_lo, -1, v66, vcc_lo
	s_delay_alu instid0(VALU_DEP_1) | instskip(SKIP_1) | instid1(SALU_CYCLE_1)
	v_cmp_gt_i64_e32 vcc_lo, s[4:5], v[3:4]
	s_and_b32 s17, s2, vcc_lo
	s_and_saveexec_b32 s3, s17
	s_cbranch_execz .LBB65_22
; %bb.21:                               ;   in Loop: Header=BB65_3 Depth=1
	v_add_co_u32 v3, vcc_lo, v34, v25
	v_add_co_ci_u32_e32 v4, vcc_lo, v35, v26, vcc_lo
	v_add_co_u32 v5, vcc_lo, v36, v25
	v_add_co_ci_u32_e32 v6, vcc_lo, v37, v26, vcc_lo
	global_load_b32 v23, v[3:4], off
	global_load_b32 v15, v[5:6], off
.LBB65_22:                              ;   in Loop: Header=BB65_3 Depth=1
	s_or_b32 exec_lo, exec_lo, s3
	v_add_co_u32 v3, vcc_lo, 0xffffffc8, v65
	v_add_co_ci_u32_e32 v4, vcc_lo, -1, v66, vcc_lo
	s_delay_alu instid0(VALU_DEP_1) | instskip(SKIP_1) | instid1(SALU_CYCLE_1)
	v_cmp_gt_i64_e32 vcc_lo, s[4:5], v[3:4]
	s_and_b32 s17, s2, vcc_lo
	s_and_saveexec_b32 s3, s17
	s_cbranch_execz .LBB65_24
; %bb.23:                               ;   in Loop: Header=BB65_3 Depth=1
	v_add_co_u32 v3, vcc_lo, v30, v25
	v_add_co_ci_u32_e32 v4, vcc_lo, v31, v26, vcc_lo
	v_add_co_u32 v5, vcc_lo, v32, v25
	v_add_co_ci_u32_e32 v6, vcc_lo, v33, v26, vcc_lo
	global_load_b32 v24, v[3:4], off
	global_load_b32 v16, v[5:6], off
.LBB65_24:                              ;   in Loop: Header=BB65_3 Depth=1
	s_or_b32 exec_lo, exec_lo, s3
	s_waitcnt vmcnt(1)
	ds_bpermute_b32 v1, v2, v67
	ds_bpermute_b32 v3, v2, v67 offset:4
	ds_bpermute_b32 v4, v2, v67 offset:8
	;; [unrolled: 1-line block ×3, first 2 shown]
	s_waitcnt vmcnt(0)
	ds_bpermute_b32 v5, v2, v68
	ds_bpermute_b32 v7, v2, v68 offset:4
	ds_bpermute_b32 v8, v2, v67 offset:16
	;; [unrolled: 1-line block ×5, first 2 shown]
	s_waitcnt lgkmcnt(9)
	v_sub_f32_e32 v1, v9, v1
	s_waitcnt lgkmcnt(7)
	v_dual_add_f32 v9, v49, v17 :: v_dual_sub_f32 v4, v11, v4
	s_waitcnt lgkmcnt(6)
	v_dual_sub_f32 v6, v12, v6 :: v_dual_sub_f32 v3, v10, v3
	v_mul_f32_e32 v1, v17, v1
	ds_bpermute_b32 v10, v2, v68 offset:16
	v_mul_f32_e32 v4, v19, v4
	v_dual_mul_f32 v6, v20, v6 :: v_dual_mul_f32 v3, v18, v3
	s_waitcnt lgkmcnt(6)
	v_fma_f32 v53, v1, v5, v64
	ds_bpermute_b32 v17, v2, v67 offset:24
	ds_bpermute_b32 v5, v2, v68 offset:20
	;; [unrolled: 1-line block ×4, first 2 shown]
	s_waitcnt lgkmcnt(9)
	v_fmac_f32_e32 v53, v3, v7
	v_add_f32_e32 v3, v18, v9
	s_waitcnt lgkmcnt(7)
	v_dual_sub_f32 v7, v13, v8 :: v_dual_sub_f32 v8, v14, v71
	s_waitcnt lgkmcnt(6)
	s_delay_alu instid0(VALU_DEP_1) | instskip(SKIP_3) | instid1(VALU_DEP_1)
	v_dual_mul_f32 v8, v22, v8 :: v_dual_fmac_f32 v53, v4, v69
	v_add_f32_e32 v4, v19, v3
	ds_bpermute_b32 v3, v2, v67 offset:28
	v_dual_mul_f32 v7, v21, v7 :: v_dual_add_f32 v4, v20, v4
	v_add_f32_e32 v4, v21, v4
	s_delay_alu instid0(VALU_DEP_1) | instskip(SKIP_2) | instid1(VALU_DEP_2)
	v_add_f32_e32 v4, v22, v4
	s_waitcnt lgkmcnt(4)
	v_dual_fmac_f32 v53, v6, v70 :: v_dual_sub_f32 v6, v15, v17
	v_add_f32_e32 v4, v23, v4
	s_delay_alu instid0(VALU_DEP_2) | instskip(SKIP_1) | instid1(VALU_DEP_1)
	v_fmac_f32_e32 v53, v7, v10
	s_waitcnt lgkmcnt(3)
	v_dual_mul_f32 v6, v23, v6 :: v_dual_fmac_f32 v53, v8, v5
	s_waitcnt lgkmcnt(2)
	s_delay_alu instid0(VALU_DEP_1)
	v_fmac_f32_e32 v53, v6, v11
	s_branch .LBB65_40
.LBB65_25:                              ;   in Loop: Header=BB65_3 Depth=1
                                        ; implicit-def: $vgpr1
                                        ; implicit-def: $vgpr9_vgpr10_vgpr11_vgpr12_vgpr13_vgpr14_vgpr15_vgpr16
                                        ; implicit-def: $vgpr17_vgpr18_vgpr19_vgpr20_vgpr21_vgpr22_vgpr23_vgpr24
                                        ; implicit-def: $vgpr3
                                        ; implicit-def: $vgpr4
                                        ; implicit-def: $vgpr53
	s_cbranch_execz .LBB65_40
; %bb.26:                               ;   in Loop: Header=BB65_3 Depth=1
	s_load_b32 s3, s[30:31], 0x0
	v_mov_b32_e32 v67, 0
	v_mov_b32_e32 v53, 0
	s_waitcnt lgkmcnt(0)
	s_cmp_lt_u32 s14, s3
	s_cselect_b32 s3, 12, 18
	s_delay_alu instid0(SALU_CYCLE_1)
	s_add_u32 s18, s30, s3
	s_addc_u32 s19, s31, 0
	s_mov_b32 s3, exec_lo
	global_load_u16 v1, v2, s[18:19]
	s_waitcnt vmcnt(0)
	v_mad_u32_u24 v1, v27, v1, v29
	s_delay_alu instid0(VALU_DEP_1) | instskip(NEXT) | instid1(VALU_DEP_1)
	v_and_b32_e32 v1, 31, v1
	v_cmpx_gt_u32_e32 8, v1
	s_cbranch_execz .LBB65_30
; %bb.27:                               ;   in Loop: Header=BB65_3 Depth=1
	v_add_co_u32 v1, vcc_lo, v65, v1
	v_add_co_ci_u32_e32 v4, vcc_lo, 0, v66, vcc_lo
	v_mov_b32_e32 v53, 0
	s_delay_alu instid0(VALU_DEP_3) | instskip(NEXT) | instid1(VALU_DEP_3)
	v_add_co_u32 v3, vcc_lo, 0xffffffc1, v1
	v_add_co_ci_u32_e32 v4, vcc_lo, -1, v4, vcc_lo
	v_mov_b32_e32 v67, 0
	s_mov_b32 s17, exec_lo
	s_delay_alu instid0(VALU_DEP_2)
	v_cmpx_gt_i64_e64 s[4:5], v[3:4]
	s_cbranch_execz .LBB65_29
; %bb.28:                               ;   in Loop: Header=BB65_3 Depth=1
	v_lshlrev_b64 v[3:4], 2, v[3:4]
	s_delay_alu instid0(VALU_DEP_1) | instskip(NEXT) | instid1(VALU_DEP_2)
	v_add_co_u32 v5, vcc_lo, s24, v3
	v_add_co_ci_u32_e32 v6, vcc_lo, s25, v4, vcc_lo
	v_add_co_u32 v3, vcc_lo, s26, v3
	v_add_co_ci_u32_e32 v4, vcc_lo, s27, v4, vcc_lo
	global_load_b32 v53, v[5:6], off
	global_load_b32 v67, v[3:4], off
.LBB65_29:                              ;   in Loop: Header=BB65_3 Depth=1
	s_or_b32 exec_lo, exec_lo, s17
.LBB65_30:                              ;   in Loop: Header=BB65_3 Depth=1
	s_delay_alu instid0(SALU_CYCLE_1)
	s_or_b32 exec_lo, exec_lo, s3
	s_mov_b32 s22, s16
	s_mov_b32 s23, s16
	;; [unrolled: 1-line block ×7, first 2 shown]
	v_dual_mov_b32 v9, s16 :: v_dual_mov_b32 v10, s17
	v_dual_mov_b32 v15, s22 :: v_dual_mov_b32 v16, s23
	v_dual_mov_b32 v11, s18 :: v_dual_mov_b32 v12, s19
	v_dual_mov_b32 v13, s20 :: v_dual_mov_b32 v14, s21
	s_delay_alu instid0(VALU_DEP_3) | instskip(NEXT) | instid1(VALU_DEP_3)
	v_dual_mov_b32 v24, v16 :: v_dual_mov_b32 v23, v15
	v_dual_mov_b32 v20, v12 :: v_dual_mov_b32 v19, v11
	s_delay_alu instid0(VALU_DEP_3)
	v_dual_mov_b32 v22, v14 :: v_dual_mov_b32 v21, v13
	v_dual_mov_b32 v18, v10 :: v_dual_mov_b32 v17, v9
	s_and_saveexec_b32 s3, s2
	s_cbranch_execnz .LBB65_42
; %bb.31:                               ;   in Loop: Header=BB65_3 Depth=1
	s_or_b32 exec_lo, exec_lo, s3
	s_and_saveexec_b32 s3, s2
	s_cbranch_execnz .LBB65_43
.LBB65_32:                              ;   in Loop: Header=BB65_3 Depth=1
	s_or_b32 exec_lo, exec_lo, s3
	s_and_saveexec_b32 s3, s2
	s_cbranch_execnz .LBB65_44
.LBB65_33:                              ;   in Loop: Header=BB65_3 Depth=1
	s_or_b32 exec_lo, exec_lo, s3
	s_and_saveexec_b32 s3, s2
	s_cbranch_execnz .LBB65_45
.LBB65_34:                              ;   in Loop: Header=BB65_3 Depth=1
	s_or_b32 exec_lo, exec_lo, s3
	s_and_saveexec_b32 s3, s2
	s_cbranch_execnz .LBB65_46
.LBB65_35:                              ;   in Loop: Header=BB65_3 Depth=1
	s_or_b32 exec_lo, exec_lo, s3
	s_and_saveexec_b32 s3, s2
	s_cbranch_execnz .LBB65_47
.LBB65_36:                              ;   in Loop: Header=BB65_3 Depth=1
	s_or_b32 exec_lo, exec_lo, s3
	s_and_saveexec_b32 s3, s2
	s_cbranch_execnz .LBB65_48
.LBB65_37:                              ;   in Loop: Header=BB65_3 Depth=1
	s_or_b32 exec_lo, exec_lo, s3
	s_and_saveexec_b32 s3, s2
	s_cbranch_execz .LBB65_39
.LBB65_38:                              ;   in Loop: Header=BB65_3 Depth=1
	v_add_co_u32 v3, vcc_lo, v30, v25
	v_add_co_ci_u32_e32 v4, vcc_lo, v31, v26, vcc_lo
	v_add_co_u32 v5, vcc_lo, v32, v25
	v_add_co_ci_u32_e32 v6, vcc_lo, v33, v26, vcc_lo
	global_load_b32 v24, v[3:4], off
	global_load_b32 v16, v[5:6], off
.LBB65_39:                              ;   in Loop: Header=BB65_3 Depth=1
	s_or_b32 exec_lo, exec_lo, s3
	s_waitcnt vmcnt(1)
	ds_bpermute_b32 v1, v2, v53
	ds_bpermute_b32 v3, v2, v53 offset:4
	ds_bpermute_b32 v4, v2, v53 offset:8
	s_waitcnt vmcnt(0)
	ds_bpermute_b32 v5, v2, v67
	ds_bpermute_b32 v6, v2, v53 offset:12
	ds_bpermute_b32 v7, v2, v67 offset:4
	;; [unrolled: 1-line block ×5, first 2 shown]
	s_waitcnt lgkmcnt(8)
	v_sub_f32_e32 v1, v9, v1
	ds_bpermute_b32 v9, v2, v67 offset:12
	s_waitcnt lgkmcnt(7)
	v_dual_sub_f32 v4, v11, v4 :: v_dual_sub_f32 v3, v10, v3
	v_add_f32_e32 v10, v49, v17
	v_mul_f32_e32 v1, v17, v1
	ds_bpermute_b32 v17, v2, v67 offset:16
	v_dual_mul_f32 v4, v19, v4 :: v_dual_mul_f32 v3, v18, v3
	ds_bpermute_b32 v11, v2, v67 offset:20
	s_waitcnt lgkmcnt(8)
	v_fmac_f32_e32 v64, v1, v5
	ds_bpermute_b32 v5, v2, v53 offset:24
	s_waitcnt lgkmcnt(6)
	v_dual_sub_f32 v1, v12, v6 :: v_dual_sub_f32 v6, v13, v8
	s_waitcnt lgkmcnt(4)
	v_sub_f32_e32 v8, v14, v66
	v_dual_fmac_f32 v64, v3, v7 :: v_dual_add_f32 v3, v18, v10
	s_delay_alu instid0(VALU_DEP_2) | instskip(NEXT) | instid1(VALU_DEP_2)
	v_dual_mul_f32 v1, v20, v1 :: v_dual_mul_f32 v8, v22, v8
	v_dual_fmac_f32 v64, v4, v65 :: v_dual_add_f32 v7, v19, v3
	ds_bpermute_b32 v4, v2, v67 offset:24
	v_mul_f32_e32 v6, v21, v6
	ds_bpermute_b32 v3, v2, v53 offset:28
	s_waitcnt lgkmcnt(5)
	v_dual_fmac_f32 v64, v1, v9 :: v_dual_add_f32 v7, v20, v7
	ds_bpermute_b32 v1, v2, v67 offset:28
	s_waitcnt lgkmcnt(5)
	v_fmac_f32_e32 v64, v6, v17
	s_waitcnt lgkmcnt(3)
	v_dual_sub_f32 v5, v15, v5 :: v_dual_add_f32 v6, v21, v7
	s_delay_alu instid0(VALU_DEP_1) | instskip(SKIP_1) | instid1(VALU_DEP_1)
	v_dual_fmac_f32 v64, v8, v11 :: v_dual_mul_f32 v5, v23, v5
	s_waitcnt lgkmcnt(2)
	v_fmac_f32_e32 v64, v5, v4
	s_delay_alu instid0(VALU_DEP_1) | instskip(NEXT) | instid1(VALU_DEP_1)
	v_dual_add_f32 v6, v22, v6 :: v_dual_mov_b32 v53, v64
	v_add_f32_e32 v4, v23, v6
.LBB65_40:                              ;   in Loop: Header=BB65_3 Depth=1
	v_add_co_u32 v30, vcc_lo, v30, s34
	v_add_co_ci_u32_e32 v31, vcc_lo, s35, v31, vcc_lo
	v_add_co_u32 v32, vcc_lo, v32, s34
	v_add_co_ci_u32_e32 v33, vcc_lo, s35, v33, vcc_lo
	;; [unrolled: 2-line block ×12, first 2 shown]
	v_add_co_u32 v56, vcc_lo, v56, s34
	s_waitcnt lgkmcnt(0)
	v_sub_f32_e32 v3, v16, v3
	v_add_co_ci_u32_e32 v57, vcc_lo, s35, v57, vcc_lo
	v_add_co_u32 v58, vcc_lo, v58, s34
	s_add_u32 s38, s38, s28
	v_add_co_ci_u32_e32 v59, vcc_lo, s35, v59, vcc_lo
	v_mul_f32_e32 v3, v24, v3
	s_addc_u32 s39, s39, 0
	v_add_co_u32 v60, vcc_lo, v60, s34
	v_cmp_lt_i64_e64 s3, s[38:39], s[4:5]
	v_add_co_ci_u32_e32 v61, vcc_lo, s35, v61, vcc_lo
	v_add_co_u32 v62, vcc_lo, v62, s34
	v_add_f32_e32 v49, v4, v24
	v_fmac_f32_e32 v53, v3, v1
	v_add_co_ci_u32_e32 v63, vcc_lo, s35, v63, vcc_lo
	s_add_u32 s36, s36, s28
	s_addc_u32 s37, s37, 0
	s_and_b32 vcc_lo, exec_lo, s3
	s_cbranch_vccz .LBB65_50
; %bb.41:                               ;   in Loop: Header=BB65_3 Depth=1
	v_mov_b32_e32 v64, v53
	s_branch .LBB65_3
.LBB65_42:                              ;   in Loop: Header=BB65_3 Depth=1
	v_add_co_u32 v3, vcc_lo, v60, v25
	v_add_co_ci_u32_e32 v4, vcc_lo, v61, v26, vcc_lo
	v_mov_b32_e32 v8, v2
	v_mov_b32_e32 v5, v2
	;; [unrolled: 1-line block ×3, first 2 shown]
	global_load_b32 v1, v[3:4], off
	v_add_co_u32 v3, vcc_lo, v62, v25
	v_add_co_ci_u32_e32 v4, vcc_lo, v63, v26, vcc_lo
	v_mov_b32_e32 v7, v2
	v_mov_b32_e32 v15, v2
	global_load_b32 v9, v[3:4], off
	v_mov_b32_e32 v3, v2
	v_mov_b32_e32 v4, v2
	s_waitcnt vmcnt(1)
	v_dual_mov_b32 v11, v2 :: v_dual_mov_b32 v24, v8
	v_dual_mov_b32 v10, v2 :: v_dual_mov_b32 v23, v7
	;; [unrolled: 1-line block ×5, first 2 shown]
	v_mov_b32_e32 v16, v2
	v_mov_b32_e32 v22, v6
	v_dual_mov_b32 v18, v2 :: v_dual_mov_b32 v17, v1
	s_or_b32 exec_lo, exec_lo, s3
	s_and_saveexec_b32 s3, s2
	s_cbranch_execz .LBB65_32
.LBB65_43:                              ;   in Loop: Header=BB65_3 Depth=1
	v_add_co_u32 v3, vcc_lo, v56, v25
	v_add_co_ci_u32_e32 v4, vcc_lo, v57, v26, vcc_lo
	v_add_co_u32 v5, vcc_lo, v58, v25
	v_add_co_ci_u32_e32 v6, vcc_lo, v59, v26, vcc_lo
	global_load_b32 v18, v[3:4], off
	global_load_b32 v10, v[5:6], off
	s_or_b32 exec_lo, exec_lo, s3
	s_and_saveexec_b32 s3, s2
	s_cbranch_execz .LBB65_33
.LBB65_44:                              ;   in Loop: Header=BB65_3 Depth=1
	v_add_co_u32 v3, vcc_lo, v51, v25
	v_add_co_ci_u32_e32 v4, vcc_lo, v52, v26, vcc_lo
	v_add_co_u32 v5, vcc_lo, v54, v25
	v_add_co_ci_u32_e32 v6, vcc_lo, v55, v26, vcc_lo
	global_load_b32 v19, v[3:4], off
	global_load_b32 v11, v[5:6], off
	s_or_b32 exec_lo, exec_lo, s3
	s_and_saveexec_b32 s3, s2
	s_cbranch_execz .LBB65_34
.LBB65_45:                              ;   in Loop: Header=BB65_3 Depth=1
	v_add_co_u32 v3, vcc_lo, v46, v25
	v_add_co_ci_u32_e32 v4, vcc_lo, v47, v26, vcc_lo
	v_add_co_u32 v5, vcc_lo, v48, v25
	v_add_co_ci_u32_e32 v6, vcc_lo, v50, v26, vcc_lo
	global_load_b32 v20, v[3:4], off
	global_load_b32 v12, v[5:6], off
	s_or_b32 exec_lo, exec_lo, s3
	s_and_saveexec_b32 s3, s2
	s_cbranch_execz .LBB65_35
.LBB65_46:                              ;   in Loop: Header=BB65_3 Depth=1
	v_add_co_u32 v3, vcc_lo, v42, v25
	v_add_co_ci_u32_e32 v4, vcc_lo, v43, v26, vcc_lo
	v_add_co_u32 v5, vcc_lo, v44, v25
	v_add_co_ci_u32_e32 v6, vcc_lo, v45, v26, vcc_lo
	global_load_b32 v21, v[3:4], off
	global_load_b32 v13, v[5:6], off
	s_or_b32 exec_lo, exec_lo, s3
	s_and_saveexec_b32 s3, s2
	s_cbranch_execz .LBB65_36
.LBB65_47:                              ;   in Loop: Header=BB65_3 Depth=1
	v_add_co_u32 v3, vcc_lo, v38, v25
	v_add_co_ci_u32_e32 v4, vcc_lo, v39, v26, vcc_lo
	v_add_co_u32 v5, vcc_lo, v40, v25
	v_add_co_ci_u32_e32 v6, vcc_lo, v41, v26, vcc_lo
	global_load_b32 v22, v[3:4], off
	global_load_b32 v14, v[5:6], off
	s_or_b32 exec_lo, exec_lo, s3
	s_and_saveexec_b32 s3, s2
	s_cbranch_execz .LBB65_37
.LBB65_48:                              ;   in Loop: Header=BB65_3 Depth=1
	v_add_co_u32 v3, vcc_lo, v34, v25
	v_add_co_ci_u32_e32 v4, vcc_lo, v35, v26, vcc_lo
	v_add_co_u32 v5, vcc_lo, v36, v25
	v_add_co_ci_u32_e32 v6, vcc_lo, v37, v26, vcc_lo
	global_load_b32 v23, v[3:4], off
	global_load_b32 v15, v[5:6], off
	s_or_b32 exec_lo, exec_lo, s3
	s_and_saveexec_b32 s3, s2
	s_cbranch_execnz .LBB65_38
	s_branch .LBB65_39
.LBB65_49:
	s_mov_b32 s29, -1
                                        ; implicit-def: $vgpr49
                                        ; implicit-def: $vgpr53
.LBB65_50:
	s_delay_alu instid0(SALU_CYCLE_1)
	s_and_not1_b32 vcc_lo, exec_lo, s29
	s_cbranch_vccnz .LBB65_82
; %bb.51:
	v_mov_b32_e32 v49, 0
	v_mov_b32_e32 v53, 0
	s_and_not1_b32 vcc_lo, exec_lo, s15
	s_mov_b32 s16, 0
	s_cbranch_vccnz .LBB65_82
; %bb.52:
	s_load_b32 s2, s[0:1], 0x44
	v_and_b32_e32 v50, 0x3ff, v0
	v_bfe_u32 v51, v0, 10, 10
	v_mov_b32_e32 v2, 0
	s_add_u32 s28, s0, 64
	s_addc_u32 s29, s1, 0
	v_add_nc_u32_e32 v1, s33, v50
	v_lshlrev_b32_e32 v3, 5, v51
	v_lshlrev_b32_e32 v52, 3, v51
	s_delay_alu instid0(VALU_DEP_3)
	v_lshlrev_b64 v[19:20], 2, v[1:2]
	s_waitcnt lgkmcnt(0)
	s_lshl_b32 s15, s2, 6
	s_add_u32 s30, s12, 63
	s_addc_u32 s31, 0, 0
	s_lshl_b64 s[2:3], s[12:13], 2
	s_mul_i32 s17, s7, s15
	v_add_co_u32 v1, s2, v3, s2
	s_delay_alu instid0(VALU_DEP_1) | instskip(SKIP_1) | instid1(VALU_DEP_2)
	v_add_co_ci_u32_e64 v3, null, 0, s3, s2
	s_mul_hi_u32 s2, s6, s15
	v_add_co_u32 v7, vcc_lo, v1, 4
	s_delay_alu instid0(VALU_DEP_2) | instskip(SKIP_3) | instid1(VALU_DEP_4)
	v_add_co_ci_u32_e32 v4, vcc_lo, 0, v3, vcc_lo
	v_add_co_u32 v8, vcc_lo, v1, 8
	v_add_co_ci_u32_e32 v5, vcc_lo, 0, v3, vcc_lo
	v_add_co_u32 v11, vcc_lo, v1, 12
	v_mul_lo_u32 v9, s6, v4
	v_add_co_ci_u32_e32 v4, vcc_lo, 0, v3, vcc_lo
	v_add_co_u32 v14, vcc_lo, v1, 16
	v_mul_lo_u32 v12, s6, v5
	v_add_co_ci_u32_e32 v5, vcc_lo, 0, v3, vcc_lo
	s_delay_alu instid0(VALU_DEP_3) | instskip(SKIP_1) | instid1(VALU_DEP_3)
	v_mad_u64_u32 v[27:28], null, s6, v14, s[8:9]
	v_mul_lo_u32 v43, s7, v14
	v_mul_lo_u32 v17, s6, v5
	v_mad_u64_u32 v[41:42], null, s6, v14, s[10:11]
	v_add_co_u32 v18, vcc_lo, v1, 20
	v_mul_lo_u32 v15, s6, v4
	v_add_co_ci_u32_e32 v4, vcc_lo, 0, v3, vcc_lo
	s_delay_alu instid0(VALU_DEP_3) | instskip(SKIP_1) | instid1(VALU_DEP_3)
	v_mad_u64_u32 v[29:30], null, s6, v18, s[8:9]
	v_mul_lo_u32 v53, s7, v18
	v_mul_lo_u32 v49, s6, v4
	v_add3_u32 v28, v43, v28, v17
	v_add3_u32 v42, v43, v42, v17
	v_mad_u64_u32 v[43:44], null, s6, v18, s[10:11]
	v_add_co_u32 v47, vcc_lo, v1, 24
	v_add_co_ci_u32_e32 v5, vcc_lo, 0, v3, vcc_lo
	v_add3_u32 v30, v53, v30, v49
	v_add_co_u32 v1, vcc_lo, v1, 28
	v_add3_u32 v44, v53, v44, v49
	v_mov_b32_e32 v49, 0
	v_add_co_u32 v70, s3, v52, s12
	s_delay_alu instid0(VALU_DEP_1) | instskip(SKIP_2) | instid1(VALU_DEP_4)
	v_add_co_ci_u32_e64 v71, null, 0, 0, s3
	v_mul_lo_u32 v56, s6, v5
	v_add_co_ci_u32_e32 v5, vcc_lo, 0, v3, vcc_lo
	v_mul_lo_u32 v6, s7, v70
	s_delay_alu instid0(VALU_DEP_4) | instskip(SKIP_1) | instid1(VALU_DEP_4)
	v_mul_lo_u32 v35, s6, v71
	v_mad_u64_u32 v[3:4], null, s6, v70, 0
	v_mul_lo_u32 v58, s6, v5
	v_mad_u64_u32 v[21:22], null, s6, v7, s[8:9]
	;; [unrolled: 2-line block ×3, first 2 shown]
	v_add3_u32 v4, v4, v35, v6
	v_mad_u64_u32 v[35:36], null, s6, v7, s[10:11]
	v_mul_lo_u32 v13, s7, v8
	v_mad_u64_u32 v[37:38], null, s6, v8, s[10:11]
	s_delay_alu instid0(VALU_DEP_4)
	v_lshlrev_b64 v[5:6], 2, v[3:4]
	v_add3_u32 v22, v10, v22, v9
	v_mad_u64_u32 v[25:26], null, s6, v11, s[8:9]
	v_add3_u32 v36, v10, v36, v9
	v_add3_u32 v24, v13, v24, v12
	v_add_co_u32 v54, vcc_lo, s8, v5
	v_add_co_ci_u32_e32 v55, vcc_lo, s9, v6, vcc_lo
	v_add_co_u32 v9, vcc_lo, v70, 7
	v_add_co_ci_u32_e32 v7, vcc_lo, 0, v71, vcc_lo
	v_add3_u32 v38, v13, v38, v12
	v_add_co_u32 v12, vcc_lo, v70, 6
	v_mul_lo_u32 v16, s7, v11
	v_mad_u64_u32 v[31:32], null, s6, v47, s[8:9]
	v_mul_lo_u32 v57, s7, v47
	v_mad_u64_u32 v[33:34], null, s6, v1, s[8:9]
	;; [unrolled: 2-line block ×3, first 2 shown]
	v_mad_u64_u32 v[45:46], null, s6, v47, s[10:11]
	v_mad_u64_u32 v[47:48], null, s6, v1, s[10:11]
	v_mul_lo_u32 v1, s7, v9
	v_mul_lo_u32 v11, s6, v7
	v_mad_u64_u32 v[7:8], null, s6, v9, 0
	v_add_co_ci_u32_e32 v10, vcc_lo, 0, v71, vcc_lo
	v_mul_lo_u32 v13, s7, v12
	v_add3_u32 v32, v57, v32, v56
	v_add3_u32 v46, v57, v46, v56
	s_delay_alu instid0(VALU_DEP_4) | instskip(SKIP_4) | instid1(VALU_DEP_3)
	v_mul_lo_u32 v14, s6, v10
	v_mad_u64_u32 v[9:10], null, s6, v12, 0
	v_add3_u32 v8, v8, v11, v1
	v_add_co_u32 v56, vcc_lo, s10, v5
	v_add_co_ci_u32_e32 v57, vcc_lo, s11, v6, vcc_lo
	v_lshlrev_b64 v[5:6], 2, v[7:8]
	v_add3_u32 v10, v10, v14, v13
	v_add_co_u32 v1, vcc_lo, v70, 5
	v_add_co_ci_u32_e32 v11, vcc_lo, 0, v71, vcc_lo
	v_add3_u32 v34, v59, v34, v58
	v_add3_u32 v48, v59, v48, v58
	v_add_co_u32 v58, vcc_lo, s8, v5
	v_lshlrev_b64 v[7:8], 2, v[9:10]
	v_add_co_ci_u32_e32 v59, vcc_lo, s9, v6, vcc_lo
	v_mul_lo_u32 v12, s7, v1
	v_mul_lo_u32 v11, s6, v11
	v_mad_u64_u32 v[9:10], null, s6, v1, 0
	v_add_co_u32 v60, vcc_lo, s10, v5
	v_add_co_ci_u32_e32 v61, vcc_lo, s11, v6, vcc_lo
	v_add_co_u32 v62, vcc_lo, s8, v7
	v_add_co_ci_u32_e32 v63, vcc_lo, s9, v8, vcc_lo
	v_add_co_u32 v1, vcc_lo, v70, 4
	v_add3_u32 v10, v10, v11, v12
	s_add_i32 s3, s2, s17
	v_add_co_u32 v64, s2, s10, v7
	v_add_co_ci_u32_e32 v7, vcc_lo, 0, v71, vcc_lo
	v_add_co_u32 v12, vcc_lo, v70, 3
	v_lshlrev_b64 v[5:6], 2, v[9:10]
	v_add_co_ci_u32_e32 v9, vcc_lo, 0, v71, vcc_lo
	v_add_co_ci_u32_e64 v65, s2, s11, v8, s2
	v_mul_lo_u32 v11, s7, v1
	v_mul_lo_u32 v13, s6, v7
	v_mad_u64_u32 v[7:8], null, s6, v1, 0
	v_mul_lo_u32 v1, s7, v12
	v_mul_lo_u32 v14, s6, v9
	v_mad_u64_u32 v[9:10], null, s6, v12, 0
	v_add_co_u32 v66, vcc_lo, s8, v5
	v_add_co_ci_u32_e32 v67, vcc_lo, s9, v6, vcc_lo
	v_add3_u32 v8, v8, v13, v11
	v_add_co_u32 v68, vcc_lo, s10, v5
	v_add_co_ci_u32_e32 v69, vcc_lo, s11, v6, vcc_lo
	v_add3_u32 v10, v10, v14, v1
	v_add_co_u32 v1, vcc_lo, v70, 2
	v_lshlrev_b64 v[5:6], 2, v[7:8]
	v_add_co_ci_u32_e32 v11, vcc_lo, 0, v71, vcc_lo
	s_delay_alu instid0(VALU_DEP_4) | instskip(NEXT) | instid1(VALU_DEP_4)
	v_lshlrev_b64 v[7:8], 2, v[9:10]
	v_mul_lo_u32 v12, s7, v1
	v_mad_u64_u32 v[9:10], null, s6, v1, 0
	v_add_co_u32 v70, vcc_lo, s8, v5
	v_mul_lo_u32 v11, s6, v11
	v_add_co_ci_u32_e32 v71, vcc_lo, s9, v6, vcc_lo
	v_add_co_u32 v72, vcc_lo, s10, v5
	v_add_co_ci_u32_e32 v73, vcc_lo, s11, v6, vcc_lo
	v_add_co_u32 v74, vcc_lo, s8, v7
	v_add_co_ci_u32_e32 v75, vcc_lo, s9, v8, vcc_lo
	v_add3_u32 v10, v10, v11, v12
	v_add_co_u32 v76, vcc_lo, s10, v7
	v_add_co_ci_u32_e32 v77, vcc_lo, s11, v8, vcc_lo
	v_add_co_u32 v3, vcc_lo, v3, s6
	s_delay_alu instid0(VALU_DEP_4)
	v_lshlrev_b64 v[5:6], 2, v[9:10]
	v_add_co_ci_u32_e32 v4, vcc_lo, s7, v4, vcc_lo
	v_add3_u32 v26, v16, v26, v15
	v_add3_u32 v40, v16, v40, v15
	v_mov_b32_e32 v53, 0
	v_add_co_u32 v78, vcc_lo, s8, v5
	v_lshlrev_b64 v[3:4], 2, v[3:4]
	v_add_co_ci_u32_e32 v79, vcc_lo, s9, v6, vcc_lo
	v_add_co_u32 v80, vcc_lo, s10, v5
	v_add_co_ci_u32_e32 v81, vcc_lo, s11, v6, vcc_lo
	s_delay_alu instid0(VALU_DEP_4) | instskip(SKIP_4) | instid1(SALU_CYCLE_1)
	v_add_co_u32 v82, vcc_lo, s8, v3
	v_add_co_ci_u32_e32 v83, vcc_lo, s9, v4, vcc_lo
	v_add_co_u32 v84, vcc_lo, s10, v3
	v_add_co_ci_u32_e32 v85, vcc_lo, s11, v4, vcc_lo
	s_mul_i32 s2, s6, s15
	s_lshl_b64 s[2:3], s[2:3], 2
	s_branch .LBB65_56
.LBB65_53:                              ;   in Loop: Header=BB65_56 Depth=1
	s_or_b32 exec_lo, exec_lo, s9
.LBB65_54:                              ;   in Loop: Header=BB65_56 Depth=1
	s_delay_alu instid0(SALU_CYCLE_1)
	s_or_b32 exec_lo, exec_lo, s8
	v_add_co_u32 v3, vcc_lo, v54, v19
	v_add_co_ci_u32_e32 v4, vcc_lo, v55, v20, vcc_lo
	s_waitcnt vmcnt(1)
	ds_bpermute_b32 v88, v2, v1
	global_load_b32 v6, v[3:4], off
	v_add_co_u32 v3, vcc_lo, v56, v19
	v_add_co_ci_u32_e32 v4, vcc_lo, v57, v20, vcc_lo
	global_load_b32 v7, v[3:4], off
	v_add_co_u32 v3, vcc_lo, v21, v19
	v_add_co_ci_u32_e32 v4, vcc_lo, v22, v20, vcc_lo
	;; [unrolled: 3-line block ×15, first 2 shown]
	global_load_b32 v4, v[3:4], off
	s_waitcnt vmcnt(16)
	ds_bpermute_b32 v3, v2, v5
	s_waitcnt vmcnt(14) lgkmcnt(1)
	v_sub_f32_e32 v7, v7, v88
	s_delay_alu instid0(VALU_DEP_1) | instskip(SKIP_1) | instid1(VALU_DEP_1)
	v_mul_f32_e32 v7, v6, v7
	s_waitcnt lgkmcnt(0)
	v_fmac_f32_e32 v53, v7, v3
	ds_bpermute_b32 v7, v2, v1 offset:4
	v_add_f32_e32 v3, v49, v6
	ds_bpermute_b32 v6, v2, v5 offset:4
	s_waitcnt vmcnt(13)
	v_add_f32_e32 v3, v3, v8
	s_waitcnt vmcnt(11)
	s_delay_alu instid0(VALU_DEP_1) | instskip(SKIP_2) | instid1(VALU_DEP_1)
	v_add_f32_e32 v3, v3, v11
	s_waitcnt lgkmcnt(1)
	v_sub_f32_e32 v7, v9, v7
	v_mul_f32_e32 v7, v8, v7
	s_waitcnt vmcnt(9)
	v_add_f32_e32 v3, v3, v13
	s_waitcnt lgkmcnt(0)
	s_delay_alu instid0(VALU_DEP_2)
	v_fmac_f32_e32 v53, v7, v6
	ds_bpermute_b32 v7, v2, v1 offset:8
	ds_bpermute_b32 v6, v2, v5 offset:8
	s_waitcnt vmcnt(7)
	v_add_f32_e32 v3, v3, v15
	s_waitcnt lgkmcnt(1)
	v_sub_f32_e32 v7, v12, v7
	s_delay_alu instid0(VALU_DEP_1) | instskip(SKIP_3) | instid1(VALU_DEP_2)
	v_mul_f32_e32 v7, v11, v7
	s_waitcnt vmcnt(5)
	v_add_f32_e32 v3, v3, v17
	s_waitcnt lgkmcnt(0)
	v_fmac_f32_e32 v53, v7, v6
	ds_bpermute_b32 v7, v2, v1 offset:12
	ds_bpermute_b32 v6, v2, v5 offset:12
	s_waitcnt vmcnt(3)
	v_add_f32_e32 v3, v3, v86
	s_waitcnt lgkmcnt(1)
	v_sub_f32_e32 v7, v14, v7
	s_delay_alu instid0(VALU_DEP_1) | instskip(SKIP_1) | instid1(VALU_DEP_1)
	v_mul_f32_e32 v7, v13, v7
	s_waitcnt lgkmcnt(0)
	v_fmac_f32_e32 v53, v7, v6
	ds_bpermute_b32 v7, v2, v1 offset:16
	ds_bpermute_b32 v6, v2, v5 offset:16
	s_waitcnt lgkmcnt(1)
	v_sub_f32_e32 v7, v16, v7
	s_delay_alu instid0(VALU_DEP_1) | instskip(SKIP_1) | instid1(VALU_DEP_1)
	v_mul_f32_e32 v7, v15, v7
	s_waitcnt lgkmcnt(0)
	v_fmac_f32_e32 v53, v7, v6
	ds_bpermute_b32 v7, v2, v1 offset:20
	ds_bpermute_b32 v6, v2, v5 offset:20
	;; [unrolled: 8-line block ×3, first 2 shown]
	ds_bpermute_b32 v6, v2, v5 offset:24
	ds_bpermute_b32 v5, v2, v5 offset:28
	s_waitcnt vmcnt(2) lgkmcnt(3)
	v_sub_f32_e32 v7, v87, v7
	s_waitcnt vmcnt(0) lgkmcnt(2)
	v_sub_f32_e32 v1, v4, v1
	s_delay_alu instid0(VALU_DEP_2) | instskip(NEXT) | instid1(VALU_DEP_2)
	v_mul_f32_e32 v7, v86, v7
	v_mul_f32_e32 v1, v10, v1
	s_waitcnt lgkmcnt(0)
	s_delay_alu instid0(VALU_DEP_1) | instskip(NEXT) | instid1(VALU_DEP_1)
	v_dual_fmac_f32 v53, v7, v6 :: v_dual_mul_f32 v4, v1, v5
	v_mov_b32_e32 v1, v53
.LBB65_55:                              ;   in Loop: Header=BB65_56 Depth=1
	v_add_co_u32 v21, vcc_lo, v21, s2
	v_add_co_ci_u32_e32 v22, vcc_lo, s3, v22, vcc_lo
	v_add_co_u32 v23, vcc_lo, v23, s2
	v_add_co_ci_u32_e32 v24, vcc_lo, s3, v24, vcc_lo
	;; [unrolled: 2-line block ×27, first 2 shown]
	v_add_co_u32 v80, vcc_lo, v80, s2
	s_add_u32 s12, s12, s15
	v_add_co_ci_u32_e32 v81, vcc_lo, s3, v81, vcc_lo
	s_addc_u32 s13, s13, 0
	v_add_co_u32 v82, vcc_lo, v82, s2
	v_cmp_ge_i64_e64 s8, s[12:13], s[4:5]
	v_add_co_ci_u32_e32 v83, vcc_lo, s3, v83, vcc_lo
	v_add_co_u32 v84, vcc_lo, v84, s2
	v_add_f32_e32 v53, v1, v4
	v_add_f32_e32 v49, v3, v10
	v_add_co_ci_u32_e32 v85, vcc_lo, s3, v85, vcc_lo
	s_add_u32 s30, s30, s15
	s_addc_u32 s31, s31, 0
	s_and_b32 vcc_lo, exec_lo, s8
	s_cbranch_vccnz .LBB65_82
.LBB65_56:                              ; =>This Inner Loop Header: Depth=1
	v_cmp_ge_i64_e64 s8, s[30:31], s[4:5]
	v_add_co_u32 v86, s9, v52, s30
	s_delay_alu instid0(VALU_DEP_1) | instskip(NEXT) | instid1(VALU_DEP_3)
	v_add_co_ci_u32_e64 v87, null, 0, s31, s9
	s_and_b32 vcc_lo, exec_lo, s8
	s_cbranch_vccz .LBB65_78
; %bb.57:                               ;   in Loop: Header=BB65_56 Depth=1
	s_load_b32 s8, s[28:29], 0xc
	v_dual_mov_b32 v89, 0 :: v_dual_mov_b32 v88, 0
	s_waitcnt lgkmcnt(0)
	s_and_b32 s8, s8, 0xffff
	s_delay_alu instid0(SALU_CYCLE_1) | instskip(SKIP_1) | instid1(VALU_DEP_1)
	v_mad_u32_u24 v1, v51, s8, v50
	s_mov_b32 s8, exec_lo
	v_and_b32_e32 v1, 31, v1
	s_delay_alu instid0(VALU_DEP_1)
	v_cmpx_gt_u32_e32 8, v1
	s_cbranch_execz .LBB65_61
; %bb.58:                               ;   in Loop: Header=BB65_56 Depth=1
	v_add_co_u32 v1, vcc_lo, v86, v1
	v_add_co_ci_u32_e32 v4, vcc_lo, 0, v87, vcc_lo
	v_dual_mov_b32 v88, 0 :: v_dual_mov_b32 v89, 0
	s_delay_alu instid0(VALU_DEP_3) | instskip(NEXT) | instid1(VALU_DEP_3)
	v_add_co_u32 v3, vcc_lo, 0xffffffc1, v1
	v_add_co_ci_u32_e32 v4, vcc_lo, -1, v4, vcc_lo
	s_mov_b32 s9, exec_lo
	s_delay_alu instid0(VALU_DEP_1)
	v_cmpx_gt_i64_e64 s[4:5], v[3:4]
	s_cbranch_execz .LBB65_60
; %bb.59:                               ;   in Loop: Header=BB65_56 Depth=1
	v_lshlrev_b64 v[3:4], 2, v[3:4]
	s_delay_alu instid0(VALU_DEP_1) | instskip(NEXT) | instid1(VALU_DEP_2)
	v_add_co_u32 v5, vcc_lo, s24, v3
	v_add_co_ci_u32_e32 v6, vcc_lo, s25, v4, vcc_lo
	v_add_co_u32 v3, vcc_lo, s26, v3
	v_add_co_ci_u32_e32 v4, vcc_lo, s27, v4, vcc_lo
	global_load_b32 v88, v[5:6], off
	global_load_b32 v89, v[3:4], off
.LBB65_60:                              ;   in Loop: Header=BB65_56 Depth=1
	s_or_b32 exec_lo, exec_lo, s9
.LBB65_61:                              ;   in Loop: Header=BB65_56 Depth=1
	s_delay_alu instid0(SALU_CYCLE_1)
	s_or_b32 exec_lo, exec_lo, s8
	v_add_co_u32 v3, vcc_lo, 0xffffffc1, v86
	s_mov_b32 s17, s16
	s_mov_b32 s18, s16
	;; [unrolled: 1-line block ×7, first 2 shown]
	v_add_co_ci_u32_e32 v4, vcc_lo, -1, v87, vcc_lo
	v_dual_mov_b32 v11, s16 :: v_dual_mov_b32 v12, s17
	v_dual_mov_b32 v13, s18 :: v_dual_mov_b32 v14, s19
	;; [unrolled: 1-line block ×4, first 2 shown]
	v_cmp_gt_i64_e32 vcc_lo, s[4:5], v[3:4]
	v_dual_mov_b32 v3, v11 :: v_dual_mov_b32 v4, v12
	v_dual_mov_b32 v5, v13 :: v_dual_mov_b32 v6, v14
	;; [unrolled: 1-line block ×4, first 2 shown]
	s_and_saveexec_b32 s8, vcc_lo
	s_cbranch_execz .LBB65_63
; %bb.62:                               ;   in Loop: Header=BB65_56 Depth=1
	v_add_co_u32 v3, vcc_lo, v54, v19
	v_add_co_ci_u32_e32 v4, vcc_lo, v55, v20, vcc_lo
	v_mov_b32_e32 v8, v2
	v_mov_b32_e32 v5, v2
	;; [unrolled: 1-line block ×3, first 2 shown]
	global_load_b32 v1, v[3:4], off
	v_add_co_u32 v3, vcc_lo, v56, v19
	v_add_co_ci_u32_e32 v4, vcc_lo, v57, v20, vcc_lo
	v_mov_b32_e32 v7, v2
	v_mov_b32_e32 v17, v2
	global_load_b32 v11, v[3:4], off
	v_mov_b32_e32 v3, v2
	v_mov_b32_e32 v4, v2
	s_waitcnt vmcnt(1)
	v_dual_mov_b32 v13, v2 :: v_dual_mov_b32 v10, v8
	v_dual_mov_b32 v12, v2 :: v_dual_mov_b32 v9, v7
	v_mov_b32_e32 v8, v6
	v_dual_mov_b32 v14, v2 :: v_dual_mov_b32 v7, v5
	v_dual_mov_b32 v15, v2 :: v_dual_mov_b32 v6, v4
	;; [unrolled: 1-line block ×3, first 2 shown]
	v_mov_b32_e32 v4, v2
	v_dual_mov_b32 v18, v2 :: v_dual_mov_b32 v3, v1
.LBB65_63:                              ;   in Loop: Header=BB65_56 Depth=1
	s_or_b32 exec_lo, exec_lo, s8
	v_add_co_u32 v90, vcc_lo, 0xffffffc2, v86
	v_add_co_ci_u32_e32 v91, vcc_lo, -1, v87, vcc_lo
	s_mov_b32 s8, exec_lo
	s_delay_alu instid0(VALU_DEP_1)
	v_cmpx_gt_i64_e64 s[4:5], v[90:91]
	s_cbranch_execz .LBB65_65
; %bb.64:                               ;   in Loop: Header=BB65_56 Depth=1
	v_add_co_u32 v90, vcc_lo, v82, v19
	v_add_co_ci_u32_e32 v91, vcc_lo, v83, v20, vcc_lo
	v_add_co_u32 v92, vcc_lo, v84, v19
	v_add_co_ci_u32_e32 v93, vcc_lo, v85, v20, vcc_lo
	global_load_b32 v4, v[90:91], off
	global_load_b32 v12, v[92:93], off
.LBB65_65:                              ;   in Loop: Header=BB65_56 Depth=1
	s_or_b32 exec_lo, exec_lo, s8
	v_add_co_u32 v90, vcc_lo, 0xffffffc3, v86
	v_add_co_ci_u32_e32 v91, vcc_lo, -1, v87, vcc_lo
	s_mov_b32 s8, exec_lo
	s_delay_alu instid0(VALU_DEP_1)
	v_cmpx_gt_i64_e64 s[4:5], v[90:91]
	s_cbranch_execz .LBB65_67
; %bb.66:                               ;   in Loop: Header=BB65_56 Depth=1
	v_add_co_u32 v90, vcc_lo, v78, v19
	v_add_co_ci_u32_e32 v91, vcc_lo, v79, v20, vcc_lo
	v_add_co_u32 v92, vcc_lo, v80, v19
	v_add_co_ci_u32_e32 v93, vcc_lo, v81, v20, vcc_lo
	global_load_b32 v5, v[90:91], off
	global_load_b32 v13, v[92:93], off
.LBB65_67:                              ;   in Loop: Header=BB65_56 Depth=1
	;; [unrolled: 15-line block ×7, first 2 shown]
	s_or_b32 exec_lo, exec_lo, s8
	s_waitcnt vmcnt(1)
	ds_bpermute_b32 v90, v2, v88
	s_waitcnt vmcnt(0)
	ds_bpermute_b32 v1, v2, v89
	s_waitcnt lgkmcnt(1)
	v_sub_f32_e32 v11, v11, v90
	ds_bpermute_b32 v90, v2, v88 offset:4
	s_waitcnt lgkmcnt(0)
	v_sub_f32_e32 v12, v12, v90
	s_delay_alu instid0(VALU_DEP_1) | instskip(SKIP_1) | instid1(VALU_DEP_2)
	v_dual_mul_f32 v12, v4, v12 :: v_dual_mul_f32 v11, v3, v11
	v_add_f32_e32 v3, v49, v3
	v_fma_f32 v1, v11, v1, v53
	ds_bpermute_b32 v11, v2, v89 offset:4
	v_add_f32_e32 v3, v4, v3
	ds_bpermute_b32 v4, v2, v89 offset:8
	v_add_f32_e32 v3, v5, v3
	s_delay_alu instid0(VALU_DEP_1) | instskip(NEXT) | instid1(VALU_DEP_1)
	v_add_f32_e32 v3, v6, v3
	v_add_f32_e32 v3, v7, v3
	s_waitcnt lgkmcnt(1)
	v_fmac_f32_e32 v1, v12, v11
	ds_bpermute_b32 v11, v2, v88 offset:8
	v_add_f32_e32 v3, v8, v3
	s_delay_alu instid0(VALU_DEP_1) | instskip(SKIP_2) | instid1(VALU_DEP_1)
	v_add_f32_e32 v3, v9, v3
	s_waitcnt lgkmcnt(0)
	v_sub_f32_e32 v11, v13, v11
	v_mul_f32_e32 v11, v5, v11
	ds_bpermute_b32 v5, v2, v88 offset:12
	v_fmac_f32_e32 v1, v11, v4
	ds_bpermute_b32 v4, v2, v89 offset:12
	s_waitcnt lgkmcnt(1)
	v_sub_f32_e32 v5, v14, v5
	s_delay_alu instid0(VALU_DEP_1) | instskip(SKIP_1) | instid1(VALU_DEP_1)
	v_mul_f32_e32 v5, v6, v5
	s_waitcnt lgkmcnt(0)
	v_fmac_f32_e32 v1, v5, v4
	ds_bpermute_b32 v5, v2, v88 offset:16
	ds_bpermute_b32 v4, v2, v89 offset:16
	s_waitcnt lgkmcnt(1)
	v_sub_f32_e32 v5, v15, v5
	s_delay_alu instid0(VALU_DEP_1) | instskip(SKIP_1) | instid1(VALU_DEP_1)
	v_mul_f32_e32 v5, v7, v5
	s_waitcnt lgkmcnt(0)
	v_fmac_f32_e32 v1, v5, v4
	ds_bpermute_b32 v5, v2, v88 offset:20
	;; [unrolled: 8-line block ×4, first 2 shown]
	ds_bpermute_b32 v4, v2, v89 offset:28
	s_waitcnt lgkmcnt(1)
	v_sub_f32_e32 v5, v18, v5
	s_delay_alu instid0(VALU_DEP_1) | instskip(SKIP_1) | instid1(VALU_DEP_1)
	v_mul_f32_e32 v5, v10, v5
	s_waitcnt lgkmcnt(0)
	v_mul_f32_e32 v4, v5, v4
	s_branch .LBB65_55
.LBB65_78:                              ;   in Loop: Header=BB65_56 Depth=1
                                        ; implicit-def: $vgpr10
                                        ; implicit-def: $vgpr4
                                        ; implicit-def: $vgpr3
                                        ; implicit-def: $vgpr1
	s_cbranch_execz .LBB65_55
; %bb.79:                               ;   in Loop: Header=BB65_56 Depth=1
	s_load_b32 s8, s[28:29], 0x0
	v_mov_b32_e32 v5, 0
	s_waitcnt lgkmcnt(0)
	s_cmp_lt_u32 s14, s8
	s_cselect_b32 s8, 12, 18
	s_delay_alu instid0(SALU_CYCLE_1)
	s_add_u32 s8, s28, s8
	s_addc_u32 s9, s29, 0
	global_load_u16 v1, v2, s[8:9]
	s_mov_b32 s8, exec_lo
	s_waitcnt vmcnt(0)
	v_mad_u32_u24 v1, v51, v1, v50
	s_delay_alu instid0(VALU_DEP_1) | instskip(SKIP_1) | instid1(VALU_DEP_2)
	v_and_b32_e32 v3, 31, v1
	v_mov_b32_e32 v1, 0
	v_cmpx_gt_u32_e32 8, v3
	s_cbranch_execz .LBB65_54
; %bb.80:                               ;   in Loop: Header=BB65_56 Depth=1
	v_add_co_u32 v1, vcc_lo, v86, v3
	v_add_co_ci_u32_e32 v4, vcc_lo, 0, v87, vcc_lo
	v_mov_b32_e32 v5, 0
	s_delay_alu instid0(VALU_DEP_3) | instskip(NEXT) | instid1(VALU_DEP_3)
	v_add_co_u32 v3, vcc_lo, 0xffffffc1, v1
	v_add_co_ci_u32_e32 v4, vcc_lo, -1, v4, vcc_lo
	v_mov_b32_e32 v1, 0
	s_mov_b32 s9, exec_lo
	s_delay_alu instid0(VALU_DEP_2)
	v_cmpx_gt_i64_e64 s[4:5], v[3:4]
	s_cbranch_execz .LBB65_53
; %bb.81:                               ;   in Loop: Header=BB65_56 Depth=1
	v_lshlrev_b64 v[3:4], 2, v[3:4]
	s_delay_alu instid0(VALU_DEP_1) | instskip(NEXT) | instid1(VALU_DEP_2)
	v_add_co_u32 v5, vcc_lo, s24, v3
	v_add_co_ci_u32_e32 v6, vcc_lo, s25, v4, vcc_lo
	v_add_co_u32 v3, vcc_lo, s26, v3
	v_add_co_ci_u32_e32 v4, vcc_lo, s27, v4, vcc_lo
	global_load_b32 v1, v[5:6], off
	global_load_b32 v5, v[3:4], off
	s_branch .LBB65_53
.LBB65_82:
	v_and_b32_e32 v1, 0x3ff, v0
	v_bfe_u32 v2, v0, 10, 10
	s_mov_b32 s15, 0
	s_mov_b32 s2, exec_lo
	s_delay_alu instid0(VALU_DEP_2) | instskip(NEXT) | instid1(VALU_DEP_2)
	v_lshrrev_b32_e32 v3, 5, v1
	v_mad_u32_u24 v0, v2, 33, v1
	s_delay_alu instid0(VALU_DEP_2) | instskip(NEXT) | instid1(VALU_DEP_2)
	v_add_nc_u32_e32 v4, v3, v2
	v_lshl_add_u32 v0, v0, 2, 0
	ds_store_b32 v0, v53
	ds_store_b32 v0, v49 offset:1056
	s_waitcnt lgkmcnt(0)
	s_barrier
	buffer_gl0_inv
	v_cmpx_gt_u32_e32 32, v4
	s_cbranch_execz .LBB65_92
; %bb.83:
	v_mbcnt_lo_u32_b32 v6, -1, 0
	s_load_b128 s[8:11], s[0:1], 0x30
	v_add_co_u32 v4, s1, v3, v2
	s_delay_alu instid0(VALU_DEP_1) | instskip(NEXT) | instid1(VALU_DEP_3)
	v_add_co_ci_u32_e64 v5, null, 0, 0, s1
	v_xor_b32_e32 v7, 4, v6
	v_and_b32_e32 v0, 31, v1
	s_lshl_b64 s[4:5], s[14:15], 5
	v_cmp_eq_u32_e64 s0, 0, v1
	v_xor_b32_e32 v8, 2, v6
	v_xor_b32_e32 v9, 1, v6
	v_cmp_gt_u32_e64 s1, 8, v0
	v_mul_u32_u24_e32 v11, 33, v0
	v_add_co_u32 v0, vcc_lo, v4, s4
	v_add_co_ci_u32_e32 v1, vcc_lo, s5, v5, vcc_lo
	v_cmp_gt_i32_e32 vcc_lo, 32, v7
	s_delay_alu instid0(VALU_DEP_4)
	v_add3_u32 v11, v11, v2, v3
	s_waitcnt lgkmcnt(0)
	s_cmp_lg_u64 s[8:9], 0
	v_cndmask_b32_e32 v7, v6, v7, vcc_lo
	v_cmp_gt_i32_e32 vcc_lo, 32, v8
	s_cselect_b32 s3, -1, 0
	s_cmp_lg_u64 s[10:11], 0
	v_cndmask_b32_e32 v8, v6, v8, vcc_lo
	v_cmp_gt_i32_e32 vcc_lo, 32, v9
	v_cndmask_b32_e32 v12, v6, v9, vcc_lo
	v_lshlrev_b64 v[9:10], 2, v[0:1]
	v_lshlrev_b32_e32 v6, 2, v7
	v_lshlrev_b32_e32 v7, 2, v8
	s_delay_alu instid0(VALU_DEP_4) | instskip(NEXT) | instid1(VALU_DEP_4)
	v_lshlrev_b32_e32 v8, 2, v12
	v_add_co_u32 v0, vcc_lo, s10, v9
	v_add_co_ci_u32_e32 v1, vcc_lo, s11, v10, vcc_lo
	v_add_co_u32 v2, vcc_lo, s8, v9
	v_add_co_ci_u32_e32 v3, vcc_lo, s9, v10, vcc_lo
	v_lshl_add_u32 v9, v11, 2, 0
	s_cselect_b32 s8, -1, 0
                                        ; implicit-def: $vgpr10
                                        ; implicit-def: $vgpr11
	s_branch .LBB65_85
.LBB65_84:                              ;   in Loop: Header=BB65_85 Depth=1
	s_or_b32 exec_lo, exec_lo, s2
	v_add_co_u32 v4, vcc_lo, v4, 8
	v_add_co_ci_u32_e32 v5, vcc_lo, 0, v5, vcc_lo
	v_add_co_u32 v0, vcc_lo, v0, 32
	s_delay_alu instid0(VALU_DEP_3) | instskip(SKIP_2) | instid1(VALU_DEP_3)
	v_add_nc_u32_e32 v12, -8, v4
	v_add_co_ci_u32_e32 v1, vcc_lo, 0, v1, vcc_lo
	v_add_co_u32 v2, s2, v2, 32
	v_cmp_lt_u32_e32 vcc_lo, 23, v12
	v_add_co_ci_u32_e64 v3, s2, 0, v3, s2
	v_add_nc_u32_e32 v9, 32, v9
	s_or_b32 s15, vcc_lo, s15
	s_delay_alu instid0(SALU_CYCLE_1)
	s_and_not1_b32 exec_lo, exec_lo, s15
	s_cbranch_execz .LBB65_92
.LBB65_85:                              ; =>This Inner Loop Header: Depth=1
	s_and_saveexec_b32 s2, s1
	s_cbranch_execz .LBB65_87
; %bb.86:                               ;   in Loop: Header=BB65_85 Depth=1
	ds_load_b32 v10, v9
	ds_load_b32 v11, v9 offset:1056
.LBB65_87:                              ;   in Loop: Header=BB65_85 Depth=1
	s_or_b32 exec_lo, exec_lo, s2
	s_waitcnt lgkmcnt(1)
	ds_bpermute_b32 v12, v6, v10
	s_waitcnt lgkmcnt(1)
	ds_bpermute_b32 v13, v6, v11
	s_waitcnt lgkmcnt(0)
	v_dual_add_f32 v10, v10, v12 :: v_dual_add_f32 v11, v11, v13
	ds_bpermute_b32 v12, v7, v10
	ds_bpermute_b32 v13, v7, v11
	s_waitcnt lgkmcnt(0)
	v_dual_add_f32 v12, v10, v12 :: v_dual_add_f32 v13, v11, v13
	v_add_co_u32 v10, vcc_lo, s4, v4
	v_add_co_ci_u32_e32 v11, vcc_lo, s5, v5, vcc_lo
	ds_bpermute_b32 v14, v8, v12
	ds_bpermute_b32 v15, v8, v13
	v_cmp_gt_i64_e32 vcc_lo, s[6:7], v[10:11]
	s_and_b32 s9, s0, vcc_lo
	s_waitcnt lgkmcnt(0)
	v_dual_add_f32 v10, v12, v14 :: v_dual_add_f32 v11, v13, v15
	s_and_saveexec_b32 s2, s9
	s_cbranch_execz .LBB65_84
; %bb.88:                               ;   in Loop: Header=BB65_85 Depth=1
	s_and_not1_b32 vcc_lo, exec_lo, s3
	s_cbranch_vccnz .LBB65_90
; %bb.89:                               ;   in Loop: Header=BB65_85 Depth=1
	global_store_b32 v[2:3], v10, off
.LBB65_90:                              ;   in Loop: Header=BB65_85 Depth=1
	s_and_not1_b32 vcc_lo, exec_lo, s8
	s_cbranch_vccnz .LBB65_84
; %bb.91:                               ;   in Loop: Header=BB65_85 Depth=1
	global_store_b32 v[0:1], v11, off
	s_branch .LBB65_84
.LBB65_92:
	s_nop 0
	s_sendmsg sendmsg(MSG_DEALLOC_VGPRS)
	s_endpgm
	.section	.rodata,"a",@progbits
	.p2align	6, 0x0
	.amdhsa_kernel _ZN2at6native12_GLOBAL__N_135GammaBetaBackwardCUDAKernelTemplateIffLj32ELj8ELj64ELb0ELb0ELb0EEEvllPKT_S5_PKT0_S8_PS3_S9_
		.amdhsa_group_segment_fixed_size 0
		.amdhsa_private_segment_fixed_size 0
		.amdhsa_kernarg_size 320
		.amdhsa_user_sgpr_count 14
		.amdhsa_user_sgpr_dispatch_ptr 0
		.amdhsa_user_sgpr_queue_ptr 0
		.amdhsa_user_sgpr_kernarg_segment_ptr 1
		.amdhsa_user_sgpr_dispatch_id 0
		.amdhsa_user_sgpr_private_segment_size 0
		.amdhsa_wavefront_size32 1
		.amdhsa_uses_dynamic_stack 0
		.amdhsa_enable_private_segment 0
		.amdhsa_system_sgpr_workgroup_id_x 1
		.amdhsa_system_sgpr_workgroup_id_y 1
		.amdhsa_system_sgpr_workgroup_id_z 0
		.amdhsa_system_sgpr_workgroup_info 0
		.amdhsa_system_vgpr_workitem_id 1
		.amdhsa_next_free_vgpr 94
		.amdhsa_next_free_sgpr 40
		.amdhsa_reserve_vcc 1
		.amdhsa_float_round_mode_32 0
		.amdhsa_float_round_mode_16_64 0
		.amdhsa_float_denorm_mode_32 3
		.amdhsa_float_denorm_mode_16_64 3
		.amdhsa_dx10_clamp 1
		.amdhsa_ieee_mode 1
		.amdhsa_fp16_overflow 0
		.amdhsa_workgroup_processor_mode 1
		.amdhsa_memory_ordered 1
		.amdhsa_forward_progress 0
		.amdhsa_shared_vgpr_count 0
		.amdhsa_exception_fp_ieee_invalid_op 0
		.amdhsa_exception_fp_denorm_src 0
		.amdhsa_exception_fp_ieee_div_zero 0
		.amdhsa_exception_fp_ieee_overflow 0
		.amdhsa_exception_fp_ieee_underflow 0
		.amdhsa_exception_fp_ieee_inexact 0
		.amdhsa_exception_int_div_zero 0
	.end_amdhsa_kernel
	.section	.text._ZN2at6native12_GLOBAL__N_135GammaBetaBackwardCUDAKernelTemplateIffLj32ELj8ELj64ELb0ELb0ELb0EEEvllPKT_S5_PKT0_S8_PS3_S9_,"axG",@progbits,_ZN2at6native12_GLOBAL__N_135GammaBetaBackwardCUDAKernelTemplateIffLj32ELj8ELj64ELb0ELb0ELb0EEEvllPKT_S5_PKT0_S8_PS3_S9_,comdat
.Lfunc_end65:
	.size	_ZN2at6native12_GLOBAL__N_135GammaBetaBackwardCUDAKernelTemplateIffLj32ELj8ELj64ELb0ELb0ELb0EEEvllPKT_S5_PKT0_S8_PS3_S9_, .Lfunc_end65-_ZN2at6native12_GLOBAL__N_135GammaBetaBackwardCUDAKernelTemplateIffLj32ELj8ELj64ELb0ELb0ELb0EEEvllPKT_S5_PKT0_S8_PS3_S9_
                                        ; -- End function
	.section	.AMDGPU.csdata,"",@progbits
; Kernel info:
; codeLenInByte = 8168
; NumSgprs: 42
; NumVgprs: 94
; ScratchSize: 0
; MemoryBound: 0
; FloatMode: 240
; IeeeMode: 1
; LDSByteSize: 0 bytes/workgroup (compile time only)
; SGPRBlocks: 5
; VGPRBlocks: 11
; NumSGPRsForWavesPerEU: 42
; NumVGPRsForWavesPerEU: 94
; Occupancy: 16
; WaveLimiterHint : 0
; COMPUTE_PGM_RSRC2:SCRATCH_EN: 0
; COMPUTE_PGM_RSRC2:USER_SGPR: 14
; COMPUTE_PGM_RSRC2:TRAP_HANDLER: 0
; COMPUTE_PGM_RSRC2:TGID_X_EN: 1
; COMPUTE_PGM_RSRC2:TGID_Y_EN: 1
; COMPUTE_PGM_RSRC2:TGID_Z_EN: 0
; COMPUTE_PGM_RSRC2:TIDIG_COMP_CNT: 1
	.section	.text._ZN2at6native12_GLOBAL__N_135GammaBetaBackwardCUDAKernelTemplateIffLj32ELj16ELj128ELb0ELb1ELb0EEEvllPKT_S5_PKT0_S8_PS3_S9_,"axG",@progbits,_ZN2at6native12_GLOBAL__N_135GammaBetaBackwardCUDAKernelTemplateIffLj32ELj16ELj128ELb0ELb1ELb0EEEvllPKT_S5_PKT0_S8_PS3_S9_,comdat
	.globl	_ZN2at6native12_GLOBAL__N_135GammaBetaBackwardCUDAKernelTemplateIffLj32ELj16ELj128ELb0ELb1ELb0EEEvllPKT_S5_PKT0_S8_PS3_S9_ ; -- Begin function _ZN2at6native12_GLOBAL__N_135GammaBetaBackwardCUDAKernelTemplateIffLj32ELj16ELj128ELb0ELb1ELb0EEEvllPKT_S5_PKT0_S8_PS3_S9_
	.p2align	8
	.type	_ZN2at6native12_GLOBAL__N_135GammaBetaBackwardCUDAKernelTemplateIffLj32ELj16ELj128ELb0ELb1ELb0EEEvllPKT_S5_PKT0_S8_PS3_S9_,@function
_ZN2at6native12_GLOBAL__N_135GammaBetaBackwardCUDAKernelTemplateIffLj32ELj16ELj128ELb0ELb1ELb0EEEvllPKT_S5_PKT0_S8_PS3_S9_: ; @_ZN2at6native12_GLOBAL__N_135GammaBetaBackwardCUDAKernelTemplateIffLj32ELj16ELj128ELb0ELb1ELb0EEEvllPKT_S5_PKT0_S8_PS3_S9_
; %bb.0:
	s_load_b128 s[20:23], s[0:1], 0x0
	s_mov_b32 s3, 0
	s_lshl_b32 s2, s15, 7
	v_bfe_u32 v7, v0, 10, 10
	s_waitcnt lgkmcnt(0)
	v_cmp_lt_i64_e64 s4, s[2:3], s[20:21]
	s_delay_alu instid0(VALU_DEP_1)
	s_and_b32 vcc_lo, exec_lo, s4
	s_cbranch_vccnz .LBB66_2
; %bb.1:
	v_bfe_u32 v2, v0, 10, 10
	s_mov_b32 s5, 0
	s_mov_b32 s4, s3
	s_branch .LBB66_3
.LBB66_2:
	s_mov_b32 s4, -1
                                        ; implicit-def: $sgpr5
                                        ; implicit-def: $vgpr2
.LBB66_3:
	s_load_b128 s[16:19], s[0:1], 0x30
	v_dual_mov_b32 v17, s5 :: v_dual_and_b32 v6, 0x3ff, v0
	v_mov_b32_e32 v0, s5
	s_and_not1_b32 vcc_lo, exec_lo, s4
	s_cbranch_vccnz .LBB66_11
; %bb.4:
	s_clause 0x2
	s_load_b32 s12, s[0:1], 0x4c
	s_load_b32 s15, s[0:1], 0x44
	s_load_b256 s[4:11], s[0:1], 0x10
	v_dual_mov_b32 v1, 0 :: v_dual_lshlrev_b32 v0, 3, v7
	v_dual_mov_b32 v8, 8 :: v_dual_mov_b32 v9, 4
	v_dual_mov_b32 v10, 12 :: v_dual_mov_b32 v11, 16
	s_delay_alu instid0(VALU_DEP_3) | instskip(NEXT) | instid1(VALU_DEP_1)
	v_add_co_u32 v2, s0, v0, s2
	v_add_co_ci_u32_e64 v3, null, 0, 0, s0
	v_lshl_add_u32 v0, s14, 5, v6
	s_delay_alu instid0(VALU_DEP_3) | instskip(SKIP_1) | instid1(VALU_DEP_4)
	v_mul_lo_u32 v17, s23, v2
	v_mad_u64_u32 v[4:5], null, s22, v2, 0
	v_mul_lo_u32 v18, s22, v3
	v_dual_mov_b32 v12, 20 :: v_dual_mov_b32 v13, 24
	s_waitcnt lgkmcnt(0)
	s_and_b32 s0, s12, 0xffff
	s_lshl_b32 s12, s15, 7
	v_mad_u32_u24 v15, v7, s0, v6
	v_mov_b32_e32 v14, 28
	s_mul_i32 s1, s23, s12
	v_add3_u32 v5, v5, v18, v17
	s_mul_hi_u32 s15, s22, s12
	v_and_b32_e32 v19, 31, v15
	v_lshlrev_b64 v[15:16], 2, v[0:1]
	v_mov_b32_e32 v0, 0
	v_lshlrev_b64 v[17:18], 2, v[4:5]
	s_mov_b32 s13, 0
	v_add_co_u32 v2, vcc_lo, v2, v19
	v_add_co_ci_u32_e32 v3, vcc_lo, 0, v3, vcc_lo
	s_delay_alu instid0(VALU_DEP_3) | instskip(SKIP_1) | instid1(VALU_DEP_3)
	v_add_co_u32 v15, vcc_lo, v17, v15
	v_mov_b32_e32 v17, 0
	v_lshlrev_b64 v[4:5], 2, v[2:3]
	v_cmp_gt_u32_e64 s0, 8, v19
	v_add_co_ci_u32_e32 v16, vcc_lo, v18, v16, vcc_lo
	s_add_i32 s27, s15, s1
	s_mul_i32 s26, s22, s12
	s_lshl_b64 s[24:25], s[12:13], 2
	s_lshl_b64 s[26:27], s[26:27], 2
	;; [unrolled: 1-line block ×3, first 2 shown]
	s_branch .LBB66_7
.LBB66_5:                               ;   in Loop: Header=BB66_7 Depth=1
	s_or_b32 exec_lo, exec_lo, s13
.LBB66_6:                               ;   in Loop: Header=BB66_7 Depth=1
	s_delay_alu instid0(SALU_CYCLE_1)
	s_or_b32 exec_lo, exec_lo, s1
	v_add_co_u32 v20, vcc_lo, s4, v15
	v_add_co_ci_u32_e32 v21, vcc_lo, s5, v16, vcc_lo
	v_add_co_u32 v22, vcc_lo, s6, v15
	v_add_co_ci_u32_e32 v23, vcc_lo, s7, v16, vcc_lo
	global_load_b32 v30, v[20:21], off
	v_add_co_u32 v20, vcc_lo, v20, s22
	v_add_co_ci_u32_e32 v21, vcc_lo, s23, v21, vcc_lo
	v_add_co_u32 v24, vcc_lo, v22, s22
	v_add_co_ci_u32_e32 v25, vcc_lo, s23, v23, vcc_lo
	s_delay_alu instid0(VALU_DEP_4) | instskip(NEXT) | instid1(VALU_DEP_4)
	v_add_co_u32 v26, vcc_lo, v20, s22
	v_add_co_ci_u32_e32 v27, vcc_lo, s23, v21, vcc_lo
	s_delay_alu instid0(VALU_DEP_4) | instskip(NEXT) | instid1(VALU_DEP_4)
	v_add_co_u32 v28, vcc_lo, v24, s22
	v_add_co_ci_u32_e32 v29, vcc_lo, s23, v25, vcc_lo
	global_load_b32 v31, v[22:23], off
	global_load_b32 v32, v[20:21], off
	;; [unrolled: 1-line block ×5, first 2 shown]
	v_add_co_u32 v20, vcc_lo, v28, s22
	v_add_co_ci_u32_e32 v21, vcc_lo, s23, v29, vcc_lo
	v_add_co_u32 v22, vcc_lo, v26, s22
	v_add_co_ci_u32_e32 v23, vcc_lo, s23, v27, vcc_lo
	global_load_b32 v36, v[20:21], off
	v_add_co_u32 v24, vcc_lo, v22, s22
	v_add_co_ci_u32_e32 v25, vcc_lo, s23, v23, vcc_lo
	v_add_co_u32 v20, vcc_lo, v20, s22
	v_add_co_ci_u32_e32 v21, vcc_lo, s23, v21, vcc_lo
	s_delay_alu instid0(VALU_DEP_4) | instskip(NEXT) | instid1(VALU_DEP_4)
	v_add_co_u32 v26, vcc_lo, v24, s22
	v_add_co_ci_u32_e32 v27, vcc_lo, s23, v25, vcc_lo
	s_delay_alu instid0(VALU_DEP_4) | instskip(NEXT) | instid1(VALU_DEP_4)
	v_add_co_u32 v28, vcc_lo, v20, s22
	v_add_co_ci_u32_e32 v29, vcc_lo, s23, v21, vcc_lo
	s_clause 0x1
	global_load_b32 v37, v[22:23], off
	global_load_b32 v24, v[24:25], off
	;; [unrolled: 1-line block ×5, first 2 shown]
	v_add_co_u32 v20, vcc_lo, v28, s22
	v_add_co_ci_u32_e32 v21, vcc_lo, s23, v29, vcc_lo
	v_add_co_u32 v22, vcc_lo, v26, s22
	v_add_co_ci_u32_e32 v23, vcc_lo, s23, v27, vcc_lo
	global_load_b32 v26, v[20:21], off
	v_add_co_u32 v20, vcc_lo, v20, s22
	v_add_co_ci_u32_e32 v21, vcc_lo, s23, v21, vcc_lo
	global_load_b32 v27, v[22:23], off
	global_load_b32 v28, v[20:21], off
	v_add_co_u32 v20, vcc_lo, v22, s22
	v_add_co_ci_u32_e32 v21, vcc_lo, s23, v23, vcc_lo
	s_waitcnt vmcnt(16)
	ds_bpermute_b32 v22, v9, v19
	s_waitcnt vmcnt(15)
	ds_bpermute_b32 v23, v1, v18
	ds_bpermute_b32 v29, v8, v19
	global_load_b32 v20, v[20:21], off
	ds_bpermute_b32 v21, v1, v19
	ds_bpermute_b32 v40, v9, v18
	ds_bpermute_b32 v41, v10, v19
	ds_bpermute_b32 v42, v11, v19
	ds_bpermute_b32 v43, v12, v19
	v_add_co_u32 v4, vcc_lo, v4, s24
	s_add_u32 s2, s2, s12
	v_add_co_ci_u32_e32 v5, vcc_lo, s25, v5, vcc_lo
	s_addc_u32 s3, s3, 0
	v_add_co_u32 v2, vcc_lo, v2, s12
	v_add_co_ci_u32_e32 v3, vcc_lo, 0, v3, vcc_lo
	v_cmp_lt_i64_e64 s1, s[2:3], s[20:21]
	v_add_co_u32 v15, vcc_lo, v15, s26
	v_add_co_ci_u32_e32 v16, vcc_lo, s27, v16, vcc_lo
	s_delay_alu instid0(VALU_DEP_3)
	s_and_b32 vcc_lo, exec_lo, s1
	s_waitcnt vmcnt(15)
	v_add_f32_e32 v17, v17, v30
	s_waitcnt vmcnt(14) lgkmcnt(4)
	v_sub_f32_e32 v21, v31, v21
	ds_bpermute_b32 v31, v8, v18
	s_waitcnt vmcnt(12)
	v_sub_f32_e32 v22, v33, v22
	ds_bpermute_b32 v33, v10, v18
	v_mul_f32_e32 v21, v30, v21
	ds_bpermute_b32 v30, v12, v18
	v_dual_fmac_f32 v0, v21, v23 :: v_dual_mul_f32 v21, v32, v22
	s_waitcnt vmcnt(10)
	v_sub_f32_e32 v22, v35, v29
	ds_bpermute_b32 v23, v11, v18
	ds_bpermute_b32 v29, v13, v19
	v_add_f32_e32 v17, v17, v32
	s_waitcnt lgkmcnt(8)
	v_dual_fmac_f32 v0, v21, v40 :: v_dual_mul_f32 v21, v34, v22
	s_waitcnt vmcnt(9) lgkmcnt(7)
	v_sub_f32_e32 v22, v36, v41
	ds_bpermute_b32 v19, v14, v19
	v_add_f32_e32 v17, v17, v34
	s_waitcnt lgkmcnt(5)
	v_fmac_f32_e32 v0, v21, v31
	s_waitcnt vmcnt(8)
	v_mul_f32_e32 v21, v37, v22
	s_waitcnt vmcnt(6)
	v_sub_f32_e32 v22, v25, v42
	ds_bpermute_b32 v25, v13, v18
	ds_bpermute_b32 v18, v14, v18
	s_waitcnt lgkmcnt(6)
	v_dual_fmac_f32 v0, v21, v33 :: v_dual_mul_f32 v21, v24, v22
	s_waitcnt vmcnt(4)
	v_sub_f32_e32 v22, v39, v43
	s_waitcnt lgkmcnt(4)
	s_delay_alu instid0(VALU_DEP_1) | instskip(SKIP_2) | instid1(VALU_DEP_2)
	v_dual_fmac_f32 v0, v21, v23 :: v_dual_mul_f32 v21, v38, v22
	s_waitcnt vmcnt(3) lgkmcnt(3)
	v_sub_f32_e32 v22, v26, v29
	v_fmac_f32_e32 v0, v21, v30
	s_waitcnt vmcnt(2)
	s_delay_alu instid0(VALU_DEP_2) | instskip(SKIP_1) | instid1(VALU_DEP_1)
	v_mul_f32_e32 v21, v27, v22
	s_waitcnt vmcnt(1) lgkmcnt(1)
	v_dual_sub_f32 v19, v28, v19 :: v_dual_fmac_f32 v0, v21, v25
	s_waitcnt vmcnt(0)
	s_delay_alu instid0(VALU_DEP_1) | instskip(SKIP_1) | instid1(VALU_DEP_1)
	v_mul_f32_e32 v19, v20, v19
	s_waitcnt lgkmcnt(0)
	v_dual_add_f32 v17, v17, v37 :: v_dual_fmac_f32 v0, v19, v18
	s_delay_alu instid0(VALU_DEP_1) | instskip(NEXT) | instid1(VALU_DEP_1)
	v_add_f32_e32 v17, v17, v24
	v_add_f32_e32 v17, v17, v38
	s_delay_alu instid0(VALU_DEP_1) | instskip(NEXT) | instid1(VALU_DEP_1)
	v_add_f32_e32 v17, v17, v27
	v_add_f32_e32 v17, v17, v20
	s_cbranch_vccz .LBB66_10
.LBB66_7:                               ; =>This Inner Loop Header: Depth=1
	v_dual_mov_b32 v18, 0 :: v_dual_mov_b32 v19, 0
	s_and_saveexec_b32 s1, s0
	s_cbranch_execz .LBB66_6
; %bb.8:                                ;   in Loop: Header=BB66_7 Depth=1
	v_dual_mov_b32 v19, 0 :: v_dual_mov_b32 v18, 0
	s_mov_b32 s13, exec_lo
	v_cmpx_gt_i64_e64 s[20:21], v[2:3]
	s_cbranch_execz .LBB66_5
; %bb.9:                                ;   in Loop: Header=BB66_7 Depth=1
	v_add_co_u32 v18, vcc_lo, s8, v4
	v_add_co_ci_u32_e32 v19, vcc_lo, s9, v5, vcc_lo
	v_add_co_u32 v20, vcc_lo, s10, v4
	v_add_co_ci_u32_e32 v21, vcc_lo, s11, v5, vcc_lo
	global_load_b32 v19, v[18:19], off
	global_load_b32 v18, v[20:21], off
	s_branch .LBB66_5
.LBB66_10:
	v_mov_b32_e32 v2, v7
.LBB66_11:
	s_delay_alu instid0(VALU_DEP_2) | instskip(NEXT) | instid1(VALU_DEP_2)
	v_lshrrev_b32_e32 v3, 5, v6
	v_mad_u32_u24 v4, v2, 33, v6
	s_mov_b32 s15, 0
	s_mov_b32 s0, exec_lo
	s_delay_alu instid0(VALU_DEP_2) | instskip(NEXT) | instid1(VALU_DEP_2)
	v_add_nc_u32_e32 v1, v3, v2
	v_lshl_add_u32 v4, v4, 2, 0
	ds_store_b32 v4, v0
	ds_store_b32 v4, v17 offset:2112
	s_waitcnt lgkmcnt(0)
	s_barrier
	buffer_gl0_inv
	v_cmpx_gt_u32_e32 32, v1
	s_cbranch_execz .LBB66_21
; %bb.12:
	v_mbcnt_lo_u32_b32 v4, -1, 0
	s_lshl_b64 s[4:5], s[14:15], 5
	v_cmp_eq_u32_e64 s1, 0, v6
	s_cmp_lg_u64 s[16:17], 0
	s_cselect_b32 s2, -1, 0
	v_xor_b32_e32 v5, 4, v4
	v_and_b32_e32 v0, 31, v6
	v_xor_b32_e32 v8, 2, v4
	v_or_b32_e32 v6, s4, v3
	v_xor_b32_e32 v9, 1, v4
	s_cmp_lg_u64 s[18:19], 0
	v_cmp_gt_u32_e64 s0, 16, v0
	v_mul_u32_u24_e32 v11, 33, v0
	v_xor_b32_e32 v0, 8, v4
	s_delay_alu instid0(VALU_DEP_2) | instskip(NEXT) | instid1(VALU_DEP_2)
	v_add3_u32 v11, v11, v2, v3
	v_cmp_gt_i32_e32 vcc_lo, 32, v0
	v_cndmask_b32_e32 v0, v4, v0, vcc_lo
	v_cmp_gt_i32_e32 vcc_lo, 32, v5
	v_cndmask_b32_e32 v7, v4, v5, vcc_lo
	v_cmp_gt_i32_e32 vcc_lo, 32, v8
	v_add_co_u32 v5, s3, v6, v2
	s_delay_alu instid0(VALU_DEP_1)
	v_add_co_ci_u32_e64 v6, null, s5, 0, s3
	v_cndmask_b32_e32 v8, v4, v8, vcc_lo
	v_cmp_gt_i32_e32 vcc_lo, 32, v9
	s_cselect_b32 s3, -1, 0
	v_cndmask_b32_e32 v12, v4, v9, vcc_lo
	v_lshlrev_b64 v[9:10], 2, v[5:6]
	v_lshlrev_b32_e32 v5, 2, v7
	v_lshlrev_b32_e32 v4, 2, v0
	;; [unrolled: 1-line block ×3, first 2 shown]
	v_add_nc_u32_e32 v8, -16, v1
	v_lshlrev_b32_e32 v7, 2, v12
	v_add_co_u32 v0, vcc_lo, s18, v9
	v_add_co_ci_u32_e32 v1, vcc_lo, s19, v10, vcc_lo
	v_add_co_u32 v2, vcc_lo, s16, v9
	v_add_co_ci_u32_e32 v3, vcc_lo, s17, v10, vcc_lo
	v_lshl_add_u32 v9, v11, 2, 0
                                        ; implicit-def: $vgpr10
                                        ; implicit-def: $vgpr11
	s_branch .LBB66_14
.LBB66_13:                              ;   in Loop: Header=BB66_14 Depth=1
	s_or_b32 exec_lo, exec_lo, s4
	v_add_co_u32 v0, vcc_lo, v0, 64
	v_add_co_u32 v8, s4, v8, 16
	v_add_co_ci_u32_e32 v1, vcc_lo, 0, v1, vcc_lo
	v_add_co_u32 v2, vcc_lo, v2, 64
	s_xor_b32 s4, s4, -1
	v_add_co_ci_u32_e32 v3, vcc_lo, 0, v3, vcc_lo
	v_add_nc_u32_e32 v9, 64, v9
	s_and_b32 s4, exec_lo, s4
	s_delay_alu instid0(SALU_CYCLE_1) | instskip(NEXT) | instid1(SALU_CYCLE_1)
	s_or_b32 s15, s4, s15
	s_and_not1_b32 exec_lo, exec_lo, s15
	s_cbranch_execz .LBB66_21
.LBB66_14:                              ; =>This Inner Loop Header: Depth=1
	s_and_saveexec_b32 s4, s0
	s_cbranch_execz .LBB66_16
; %bb.15:                               ;   in Loop: Header=BB66_14 Depth=1
	ds_load_b32 v10, v9
	ds_load_b32 v11, v9 offset:2112
.LBB66_16:                              ;   in Loop: Header=BB66_14 Depth=1
	s_or_b32 exec_lo, exec_lo, s4
	s_waitcnt lgkmcnt(1)
	ds_bpermute_b32 v12, v4, v10
	s_waitcnt lgkmcnt(1)
	ds_bpermute_b32 v13, v4, v11
	s_waitcnt lgkmcnt(0)
	v_dual_add_f32 v10, v10, v12 :: v_dual_add_f32 v11, v11, v13
	ds_bpermute_b32 v12, v5, v10
	ds_bpermute_b32 v13, v5, v11
	s_waitcnt lgkmcnt(0)
	v_dual_add_f32 v10, v10, v12 :: v_dual_add_f32 v11, v11, v13
	ds_bpermute_b32 v12, v6, v10
	ds_bpermute_b32 v13, v6, v11
	s_waitcnt lgkmcnt(0)
	v_dual_add_f32 v10, v10, v12 :: v_dual_add_f32 v11, v11, v13
	ds_bpermute_b32 v12, v7, v10
	ds_bpermute_b32 v13, v7, v11
	s_waitcnt lgkmcnt(0)
	v_dual_add_f32 v10, v10, v12 :: v_dual_add_f32 v11, v11, v13
	s_and_saveexec_b32 s4, s1
	s_cbranch_execz .LBB66_13
; %bb.17:                               ;   in Loop: Header=BB66_14 Depth=1
	s_and_not1_b32 vcc_lo, exec_lo, s2
	s_cbranch_vccnz .LBB66_19
; %bb.18:                               ;   in Loop: Header=BB66_14 Depth=1
	global_store_b32 v[2:3], v10, off
.LBB66_19:                              ;   in Loop: Header=BB66_14 Depth=1
	s_and_not1_b32 vcc_lo, exec_lo, s3
	s_cbranch_vccnz .LBB66_13
; %bb.20:                               ;   in Loop: Header=BB66_14 Depth=1
	global_store_b32 v[0:1], v11, off
	s_branch .LBB66_13
.LBB66_21:
	s_nop 0
	s_sendmsg sendmsg(MSG_DEALLOC_VGPRS)
	s_endpgm
	.section	.rodata,"a",@progbits
	.p2align	6, 0x0
	.amdhsa_kernel _ZN2at6native12_GLOBAL__N_135GammaBetaBackwardCUDAKernelTemplateIffLj32ELj16ELj128ELb0ELb1ELb0EEEvllPKT_S5_PKT0_S8_PS3_S9_
		.amdhsa_group_segment_fixed_size 0
		.amdhsa_private_segment_fixed_size 0
		.amdhsa_kernarg_size 320
		.amdhsa_user_sgpr_count 14
		.amdhsa_user_sgpr_dispatch_ptr 0
		.amdhsa_user_sgpr_queue_ptr 0
		.amdhsa_user_sgpr_kernarg_segment_ptr 1
		.amdhsa_user_sgpr_dispatch_id 0
		.amdhsa_user_sgpr_private_segment_size 0
		.amdhsa_wavefront_size32 1
		.amdhsa_uses_dynamic_stack 0
		.amdhsa_enable_private_segment 0
		.amdhsa_system_sgpr_workgroup_id_x 1
		.amdhsa_system_sgpr_workgroup_id_y 1
		.amdhsa_system_sgpr_workgroup_id_z 0
		.amdhsa_system_sgpr_workgroup_info 0
		.amdhsa_system_vgpr_workitem_id 1
		.amdhsa_next_free_vgpr 44
		.amdhsa_next_free_sgpr 28
		.amdhsa_reserve_vcc 1
		.amdhsa_float_round_mode_32 0
		.amdhsa_float_round_mode_16_64 0
		.amdhsa_float_denorm_mode_32 3
		.amdhsa_float_denorm_mode_16_64 3
		.amdhsa_dx10_clamp 1
		.amdhsa_ieee_mode 1
		.amdhsa_fp16_overflow 0
		.amdhsa_workgroup_processor_mode 1
		.amdhsa_memory_ordered 1
		.amdhsa_forward_progress 0
		.amdhsa_shared_vgpr_count 0
		.amdhsa_exception_fp_ieee_invalid_op 0
		.amdhsa_exception_fp_denorm_src 0
		.amdhsa_exception_fp_ieee_div_zero 0
		.amdhsa_exception_fp_ieee_overflow 0
		.amdhsa_exception_fp_ieee_underflow 0
		.amdhsa_exception_fp_ieee_inexact 0
		.amdhsa_exception_int_div_zero 0
	.end_amdhsa_kernel
	.section	.text._ZN2at6native12_GLOBAL__N_135GammaBetaBackwardCUDAKernelTemplateIffLj32ELj16ELj128ELb0ELb1ELb0EEEvllPKT_S5_PKT0_S8_PS3_S9_,"axG",@progbits,_ZN2at6native12_GLOBAL__N_135GammaBetaBackwardCUDAKernelTemplateIffLj32ELj16ELj128ELb0ELb1ELb0EEEvllPKT_S5_PKT0_S8_PS3_S9_,comdat
.Lfunc_end66:
	.size	_ZN2at6native12_GLOBAL__N_135GammaBetaBackwardCUDAKernelTemplateIffLj32ELj16ELj128ELb0ELb1ELb0EEEvllPKT_S5_PKT0_S8_PS3_S9_, .Lfunc_end66-_ZN2at6native12_GLOBAL__N_135GammaBetaBackwardCUDAKernelTemplateIffLj32ELj16ELj128ELb0ELb1ELb0EEEvllPKT_S5_PKT0_S8_PS3_S9_
                                        ; -- End function
	.section	.AMDGPU.csdata,"",@progbits
; Kernel info:
; codeLenInByte = 1768
; NumSgprs: 30
; NumVgprs: 44
; ScratchSize: 0
; MemoryBound: 0
; FloatMode: 240
; IeeeMode: 1
; LDSByteSize: 0 bytes/workgroup (compile time only)
; SGPRBlocks: 3
; VGPRBlocks: 5
; NumSGPRsForWavesPerEU: 30
; NumVGPRsForWavesPerEU: 44
; Occupancy: 16
; WaveLimiterHint : 0
; COMPUTE_PGM_RSRC2:SCRATCH_EN: 0
; COMPUTE_PGM_RSRC2:USER_SGPR: 14
; COMPUTE_PGM_RSRC2:TRAP_HANDLER: 0
; COMPUTE_PGM_RSRC2:TGID_X_EN: 1
; COMPUTE_PGM_RSRC2:TGID_Y_EN: 1
; COMPUTE_PGM_RSRC2:TGID_Z_EN: 0
; COMPUTE_PGM_RSRC2:TIDIG_COMP_CNT: 1
	.section	.text._ZN2at6native12_GLOBAL__N_135GammaBetaBackwardCUDAKernelTemplateIffLj32ELj16ELj128ELb0ELb0ELb0EEEvllPKT_S5_PKT0_S8_PS3_S9_,"axG",@progbits,_ZN2at6native12_GLOBAL__N_135GammaBetaBackwardCUDAKernelTemplateIffLj32ELj16ELj128ELb0ELb0ELb0EEEvllPKT_S5_PKT0_S8_PS3_S9_,comdat
	.globl	_ZN2at6native12_GLOBAL__N_135GammaBetaBackwardCUDAKernelTemplateIffLj32ELj16ELj128ELb0ELb0ELb0EEEvllPKT_S5_PKT0_S8_PS3_S9_ ; -- Begin function _ZN2at6native12_GLOBAL__N_135GammaBetaBackwardCUDAKernelTemplateIffLj32ELj16ELj128ELb0ELb0ELb0EEEvllPKT_S5_PKT0_S8_PS3_S9_
	.p2align	8
	.type	_ZN2at6native12_GLOBAL__N_135GammaBetaBackwardCUDAKernelTemplateIffLj32ELj16ELj128ELb0ELb0ELb0EEEvllPKT_S5_PKT0_S8_PS3_S9_,@function
_ZN2at6native12_GLOBAL__N_135GammaBetaBackwardCUDAKernelTemplateIffLj32ELj16ELj128ELb0ELb0ELb0EEEvllPKT_S5_PKT0_S8_PS3_S9_: ; @_ZN2at6native12_GLOBAL__N_135GammaBetaBackwardCUDAKernelTemplateIffLj32ELj16ELj128ELb0ELb0ELb0EEEvllPKT_S5_PKT0_S8_PS3_S9_
; %bb.0:
	s_clause 0x1
	s_load_b256 s[4:11], s[0:1], 0x0
	s_load_b128 s[24:27], s[0:1], 0x20
	s_mov_b32 s29, 0
	s_lshl_b32 s12, s15, 7
	s_mov_b32 s13, s29
	s_lshl_b32 s33, s14, 5
	s_delay_alu instid0(SALU_CYCLE_1) | instskip(SKIP_3) | instid1(VALU_DEP_2)
	s_or_b32 s28, s33, 31
	s_waitcnt lgkmcnt(0)
	v_cmp_lt_i64_e64 s15, s[12:13], s[4:5]
	v_cmp_ge_i64_e64 s2, s[28:29], s[6:7]
	v_cndmask_b32_e64 v1, 0, 1, s15
	s_delay_alu instid0(VALU_DEP_2) | instskip(NEXT) | instid1(VALU_DEP_1)
	s_and_b32 vcc_lo, exec_lo, s2
	v_cmp_ne_u32_e64 s2, 1, v1
	s_cbranch_vccz .LBB67_49
; %bb.1:
	v_mov_b32_e32 v49, 0
	v_mov_b32_e32 v53, 0
	s_delay_alu instid0(VALU_DEP_3)
	s_and_b32 vcc_lo, exec_lo, s2
	s_cbranch_vccnz .LBB67_50
; %bb.2:
	v_bfe_u32 v27, v0, 10, 10
	s_load_b32 s3, s[0:1], 0x44
	v_dual_mov_b32 v2, 0 :: v_dual_and_b32 v29, 0x3ff, v0
	s_add_u32 s30, s0, 64
	s_delay_alu instid0(VALU_DEP_2) | instskip(NEXT) | instid1(VALU_DEP_2)
	v_dual_mov_b32 v49, 0 :: v_dual_lshlrev_b32 v28, 3, v27
	v_dual_mov_b32 v64, 0 :: v_dual_add_nc_u32 v1, s33, v29
	s_addc_u32 s31, s1, 0
	s_delay_alu instid0(VALU_DEP_2) | instskip(NEXT) | instid1(VALU_DEP_1)
	v_add_co_u32 v9, s2, v28, s12
	v_add_co_ci_u32_e64 v10, null, 0, 0, s2
	s_delay_alu instid0(VALU_DEP_3) | instskip(NEXT) | instid1(VALU_DEP_3)
	v_cmp_gt_i64_e64 s2, s[6:7], v[1:2]
	v_add_co_u32 v5, vcc_lo, v9, 7
	s_delay_alu instid0(VALU_DEP_3) | instskip(SKIP_1) | instid1(VALU_DEP_3)
	v_add_co_ci_u32_e32 v3, vcc_lo, 0, v10, vcc_lo
	v_add_co_u32 v8, vcc_lo, v9, 6
	v_mul_lo_u32 v6, s7, v5
	s_delay_alu instid0(VALU_DEP_3)
	v_mul_lo_u32 v7, s6, v3
	v_mad_u64_u32 v[3:4], null, s6, v5, 0
	v_add_co_ci_u32_e32 v5, vcc_lo, 0, v10, vcc_lo
	v_lshlrev_b64 v[25:26], 2, v[1:2]
	v_mul_lo_u32 v1, s7, v8
	s_waitcnt lgkmcnt(0)
	s_lshl_b32 s28, s3, 7
	s_mov_b32 s16, 0
	s_delay_alu instid0(VALU_DEP_4) | instskip(SKIP_3) | instid1(VALU_DEP_3)
	v_add3_u32 v4, v4, v7, v6
	v_mul_lo_u32 v7, s6, v5
	v_mad_u64_u32 v[5:6], null, s6, v8, 0
	s_mul_i32 s3, s7, s28
	v_lshlrev_b64 v[3:4], 2, v[3:4]
	s_mul_hi_u32 s17, s6, s28
	s_mul_i32 s18, s6, s28
	s_add_i32 s19, s17, s3
	s_mov_b64 s[38:39], s[12:13]
	s_delay_alu instid0(VALU_DEP_2) | instskip(SKIP_4) | instid1(VALU_DEP_1)
	v_add3_u32 v6, v6, v7, v1
	v_add_co_u32 v30, vcc_lo, s8, v3
	v_add_co_ci_u32_e32 v31, vcc_lo, s9, v4, vcc_lo
	v_add_co_u32 v1, vcc_lo, v9, 5
	v_add_co_u32 v32, s3, s10, v3
	v_add_co_ci_u32_e64 v33, s3, s11, v4, s3
	v_lshlrev_b64 v[3:4], 2, v[5:6]
	v_add_co_ci_u32_e32 v5, vcc_lo, 0, v10, vcc_lo
	v_add_co_u32 v12, vcc_lo, v9, 4
	v_mul_lo_u32 v11, s7, v1
	s_delay_alu instid0(VALU_DEP_3) | instskip(SKIP_4) | instid1(VALU_DEP_3)
	v_mul_lo_u32 v13, s6, v5
	v_mad_u64_u32 v[5:6], null, s6, v1, 0
	v_add_co_ci_u32_e32 v7, vcc_lo, 0, v10, vcc_lo
	v_mul_lo_u32 v1, s7, v12
	v_add_co_u32 v34, vcc_lo, s8, v3
	v_mul_lo_u32 v14, s6, v7
	v_mad_u64_u32 v[7:8], null, s6, v12, 0
	v_add3_u32 v6, v6, v13, v11
	v_add_co_ci_u32_e32 v35, vcc_lo, s9, v4, vcc_lo
	v_add_co_u32 v36, vcc_lo, s10, v3
	v_add_co_ci_u32_e32 v37, vcc_lo, s11, v4, vcc_lo
	s_delay_alu instid0(VALU_DEP_4) | instskip(SKIP_3) | instid1(VALU_DEP_4)
	v_lshlrev_b64 v[3:4], 2, v[5:6]
	v_add3_u32 v8, v8, v14, v1
	v_add_co_u32 v1, vcc_lo, v9, 3
	v_add_co_ci_u32_e32 v11, vcc_lo, 0, v10, vcc_lo
	v_add_co_u32 v38, vcc_lo, s8, v3
	s_delay_alu instid0(VALU_DEP_4)
	v_lshlrev_b64 v[5:6], 2, v[7:8]
	v_add_co_ci_u32_e32 v39, vcc_lo, s9, v4, vcc_lo
	v_mul_lo_u32 v12, s7, v1
	v_mul_lo_u32 v11, s6, v11
	v_mad_u64_u32 v[7:8], null, s6, v1, 0
	v_add_co_u32 v40, vcc_lo, s10, v3
	v_add_co_ci_u32_e32 v41, vcc_lo, s11, v4, vcc_lo
	v_add_co_u32 v42, vcc_lo, s8, v5
	v_add_co_ci_u32_e32 v43, vcc_lo, s9, v6, vcc_lo
	v_add_co_u32 v1, vcc_lo, v9, 2
	v_add3_u32 v8, v8, v11, v12
	v_add_co_ci_u32_e32 v11, vcc_lo, 0, v10, vcc_lo
	v_add_co_u32 v44, vcc_lo, s10, v5
	v_add_co_ci_u32_e32 v45, vcc_lo, s11, v6, vcc_lo
	v_mul_lo_u32 v12, s7, v1
	s_delay_alu instid0(VALU_DEP_4)
	v_mul_lo_u32 v11, s6, v11
	v_mad_u64_u32 v[5:6], null, s6, v1, 0
	v_lshlrev_b64 v[3:4], 2, v[7:8]
	v_mul_lo_u32 v1, s7, v9
	v_mul_lo_u32 v10, s6, v10
	v_mad_u64_u32 v[7:8], null, s6, v9, 0
	s_lshl_b64 s[34:35], s[18:19], 2
	s_delay_alu instid0(VALU_DEP_4)
	v_add_co_u32 v46, vcc_lo, s8, v3
	v_add3_u32 v6, v6, v11, v12
	v_add_co_ci_u32_e32 v47, vcc_lo, s9, v4, vcc_lo
	v_add_co_u32 v48, vcc_lo, s10, v3
	v_add3_u32 v8, v8, v10, v1
	v_add_co_ci_u32_e32 v50, vcc_lo, s11, v4, vcc_lo
	v_lshlrev_b64 v[3:4], 2, v[5:6]
	v_add_co_u32 v5, vcc_lo, v7, s6
	s_delay_alu instid0(VALU_DEP_4) | instskip(SKIP_1) | instid1(VALU_DEP_3)
	v_add_co_ci_u32_e32 v6, vcc_lo, s7, v8, vcc_lo
	s_add_u32 s36, s12, 0x7f
	v_add_co_u32 v51, vcc_lo, s8, v3
	s_delay_alu instid0(VALU_DEP_2) | instskip(SKIP_3) | instid1(VALU_DEP_4)
	v_lshlrev_b64 v[5:6], 2, v[5:6]
	v_add_co_ci_u32_e32 v52, vcc_lo, s9, v4, vcc_lo
	v_add_co_u32 v54, vcc_lo, s10, v3
	v_add_co_ci_u32_e32 v55, vcc_lo, s11, v4, vcc_lo
	v_add_co_u32 v56, vcc_lo, s8, v5
	v_lshlrev_b64 v[3:4], 2, v[7:8]
	v_add_co_ci_u32_e32 v57, vcc_lo, s9, v6, vcc_lo
	v_add_co_u32 v58, vcc_lo, s10, v5
	v_add_co_ci_u32_e32 v59, vcc_lo, s11, v6, vcc_lo
	s_delay_alu instid0(VALU_DEP_4)
	v_add_co_u32 v60, vcc_lo, s8, v3
	v_add_co_ci_u32_e32 v61, vcc_lo, s9, v4, vcc_lo
	v_add_co_u32 v62, vcc_lo, s10, v3
	v_add_co_ci_u32_e32 v63, vcc_lo, s11, v4, vcc_lo
	s_addc_u32 s37, 0, 0
.LBB67_3:                               ; =>This Inner Loop Header: Depth=1
	s_delay_alu instid0(SALU_CYCLE_1) | instskip(SKIP_1) | instid1(VALU_DEP_1)
	v_cmp_ge_i64_e64 s3, s[36:37], s[4:5]
	v_add_co_u32 v65, s17, v28, s36
	v_add_co_ci_u32_e64 v66, null, 0, s37, s17
	s_delay_alu instid0(VALU_DEP_3)
	s_and_b32 vcc_lo, exec_lo, s3
	s_cbranch_vccz .LBB67_25
; %bb.4:                                ;   in Loop: Header=BB67_3 Depth=1
	s_load_b32 s3, s[30:31], 0xc
	v_dual_mov_b32 v67, 0 :: v_dual_mov_b32 v68, 0
	s_waitcnt lgkmcnt(0)
	s_and_b32 s3, s3, 0xffff
	s_delay_alu instid0(SALU_CYCLE_1) | instskip(SKIP_1) | instid1(VALU_DEP_1)
	v_mad_u32_u24 v1, v27, s3, v29
	s_mov_b32 s3, exec_lo
	v_and_b32_e32 v1, 31, v1
	s_delay_alu instid0(VALU_DEP_1)
	v_cmpx_gt_u32_e32 8, v1
	s_cbranch_execz .LBB67_8
; %bb.5:                                ;   in Loop: Header=BB67_3 Depth=1
	v_add_co_u32 v1, vcc_lo, v65, v1
	v_add_co_ci_u32_e32 v4, vcc_lo, 0, v66, vcc_lo
	v_dual_mov_b32 v67, 0 :: v_dual_mov_b32 v68, 0
	s_delay_alu instid0(VALU_DEP_3) | instskip(NEXT) | instid1(VALU_DEP_3)
	v_add_co_u32 v3, vcc_lo, 0xffffff81, v1
	v_add_co_ci_u32_e32 v4, vcc_lo, -1, v4, vcc_lo
	s_mov_b32 s17, exec_lo
	s_delay_alu instid0(VALU_DEP_1)
	v_cmpx_gt_i64_e64 s[4:5], v[3:4]
	s_cbranch_execz .LBB67_7
; %bb.6:                                ;   in Loop: Header=BB67_3 Depth=1
	v_lshlrev_b64 v[3:4], 2, v[3:4]
	s_delay_alu instid0(VALU_DEP_1) | instskip(NEXT) | instid1(VALU_DEP_2)
	v_add_co_u32 v5, vcc_lo, s24, v3
	v_add_co_ci_u32_e32 v6, vcc_lo, s25, v4, vcc_lo
	v_add_co_u32 v3, vcc_lo, s26, v3
	v_add_co_ci_u32_e32 v4, vcc_lo, s27, v4, vcc_lo
	global_load_b32 v67, v[5:6], off
	global_load_b32 v68, v[3:4], off
.LBB67_7:                               ;   in Loop: Header=BB67_3 Depth=1
	s_or_b32 exec_lo, exec_lo, s17
.LBB67_8:                               ;   in Loop: Header=BB67_3 Depth=1
	s_delay_alu instid0(SALU_CYCLE_1)
	s_or_b32 exec_lo, exec_lo, s3
	v_add_co_u32 v3, vcc_lo, 0xffffff81, v65
	v_add_co_ci_u32_e32 v4, vcc_lo, -1, v66, vcc_lo
	s_mov_b32 s22, s16
	s_mov_b32 s23, s16
	;; [unrolled: 1-line block ×7, first 2 shown]
	v_dual_mov_b32 v9, s16 :: v_dual_mov_b32 v10, s17
	v_dual_mov_b32 v15, s22 :: v_dual_mov_b32 v16, s23
	;; [unrolled: 1-line block ×4, first 2 shown]
	v_cmp_gt_i64_e32 vcc_lo, s[4:5], v[3:4]
	s_delay_alu instid0(VALU_DEP_4) | instskip(NEXT) | instid1(VALU_DEP_3)
	v_dual_mov_b32 v24, v16 :: v_dual_mov_b32 v23, v15
	v_dual_mov_b32 v21, v13 :: v_dual_mov_b32 v22, v14
	;; [unrolled: 1-line block ×4, first 2 shown]
	s_and_b32 s17, s2, vcc_lo
	s_delay_alu instid0(SALU_CYCLE_1)
	s_and_saveexec_b32 s3, s17
	s_cbranch_execz .LBB67_10
; %bb.9:                                ;   in Loop: Header=BB67_3 Depth=1
	v_add_co_u32 v3, vcc_lo, v60, v25
	v_add_co_ci_u32_e32 v4, vcc_lo, v61, v26, vcc_lo
	v_mov_b32_e32 v8, v2
	v_mov_b32_e32 v5, v2
	v_mov_b32_e32 v6, v2
	global_load_b32 v1, v[3:4], off
	v_add_co_u32 v3, vcc_lo, v62, v25
	v_add_co_ci_u32_e32 v4, vcc_lo, v63, v26, vcc_lo
	v_mov_b32_e32 v7, v2
	v_mov_b32_e32 v15, v2
	global_load_b32 v9, v[3:4], off
	v_mov_b32_e32 v3, v2
	v_mov_b32_e32 v4, v2
	s_waitcnt vmcnt(1)
	v_dual_mov_b32 v11, v2 :: v_dual_mov_b32 v24, v8
	v_dual_mov_b32 v10, v2 :: v_dual_mov_b32 v23, v7
	;; [unrolled: 1-line block ×5, first 2 shown]
	v_mov_b32_e32 v16, v2
	v_mov_b32_e32 v22, v6
	v_dual_mov_b32 v18, v2 :: v_dual_mov_b32 v17, v1
.LBB67_10:                              ;   in Loop: Header=BB67_3 Depth=1
	s_or_b32 exec_lo, exec_lo, s3
	v_add_co_u32 v3, vcc_lo, 0xffffff82, v65
	v_add_co_ci_u32_e32 v4, vcc_lo, -1, v66, vcc_lo
	s_delay_alu instid0(VALU_DEP_1) | instskip(SKIP_1) | instid1(SALU_CYCLE_1)
	v_cmp_gt_i64_e32 vcc_lo, s[4:5], v[3:4]
	s_and_b32 s17, s2, vcc_lo
	s_and_saveexec_b32 s3, s17
	s_cbranch_execz .LBB67_12
; %bb.11:                               ;   in Loop: Header=BB67_3 Depth=1
	v_add_co_u32 v3, vcc_lo, v56, v25
	v_add_co_ci_u32_e32 v4, vcc_lo, v57, v26, vcc_lo
	v_add_co_u32 v5, vcc_lo, v58, v25
	v_add_co_ci_u32_e32 v6, vcc_lo, v59, v26, vcc_lo
	global_load_b32 v18, v[3:4], off
	global_load_b32 v10, v[5:6], off
.LBB67_12:                              ;   in Loop: Header=BB67_3 Depth=1
	s_or_b32 exec_lo, exec_lo, s3
	v_add_co_u32 v3, vcc_lo, 0xffffff83, v65
	v_add_co_ci_u32_e32 v4, vcc_lo, -1, v66, vcc_lo
	s_delay_alu instid0(VALU_DEP_1) | instskip(SKIP_1) | instid1(SALU_CYCLE_1)
	v_cmp_gt_i64_e32 vcc_lo, s[4:5], v[3:4]
	s_and_b32 s17, s2, vcc_lo
	s_and_saveexec_b32 s3, s17
	s_cbranch_execz .LBB67_14
; %bb.13:                               ;   in Loop: Header=BB67_3 Depth=1
	v_add_co_u32 v3, vcc_lo, v51, v25
	v_add_co_ci_u32_e32 v4, vcc_lo, v52, v26, vcc_lo
	v_add_co_u32 v5, vcc_lo, v54, v25
	v_add_co_ci_u32_e32 v6, vcc_lo, v55, v26, vcc_lo
	global_load_b32 v19, v[3:4], off
	global_load_b32 v11, v[5:6], off
.LBB67_14:                              ;   in Loop: Header=BB67_3 Depth=1
	;; [unrolled: 16-line block ×7, first 2 shown]
	s_or_b32 exec_lo, exec_lo, s3
	s_waitcnt vmcnt(1)
	ds_bpermute_b32 v1, v2, v67
	ds_bpermute_b32 v3, v2, v67 offset:4
	ds_bpermute_b32 v4, v2, v67 offset:8
	;; [unrolled: 1-line block ×3, first 2 shown]
	s_waitcnt vmcnt(0)
	ds_bpermute_b32 v5, v2, v68
	ds_bpermute_b32 v7, v2, v68 offset:4
	ds_bpermute_b32 v8, v2, v67 offset:16
	;; [unrolled: 1-line block ×5, first 2 shown]
	s_waitcnt lgkmcnt(9)
	v_sub_f32_e32 v1, v9, v1
	s_waitcnt lgkmcnt(7)
	v_dual_add_f32 v9, v49, v17 :: v_dual_sub_f32 v4, v11, v4
	s_waitcnt lgkmcnt(6)
	v_dual_sub_f32 v6, v12, v6 :: v_dual_sub_f32 v3, v10, v3
	v_mul_f32_e32 v1, v17, v1
	ds_bpermute_b32 v10, v2, v68 offset:16
	v_mul_f32_e32 v4, v19, v4
	v_dual_mul_f32 v6, v20, v6 :: v_dual_mul_f32 v3, v18, v3
	s_waitcnt lgkmcnt(6)
	v_fma_f32 v53, v1, v5, v64
	ds_bpermute_b32 v17, v2, v67 offset:24
	ds_bpermute_b32 v5, v2, v68 offset:20
	;; [unrolled: 1-line block ×4, first 2 shown]
	s_waitcnt lgkmcnt(9)
	v_fmac_f32_e32 v53, v3, v7
	v_add_f32_e32 v3, v18, v9
	s_waitcnt lgkmcnt(7)
	v_dual_sub_f32 v7, v13, v8 :: v_dual_sub_f32 v8, v14, v71
	s_waitcnt lgkmcnt(6)
	s_delay_alu instid0(VALU_DEP_1) | instskip(SKIP_3) | instid1(VALU_DEP_1)
	v_dual_mul_f32 v8, v22, v8 :: v_dual_fmac_f32 v53, v4, v69
	v_add_f32_e32 v4, v19, v3
	ds_bpermute_b32 v3, v2, v67 offset:28
	v_dual_mul_f32 v7, v21, v7 :: v_dual_add_f32 v4, v20, v4
	v_add_f32_e32 v4, v21, v4
	s_delay_alu instid0(VALU_DEP_1) | instskip(SKIP_2) | instid1(VALU_DEP_2)
	v_add_f32_e32 v4, v22, v4
	s_waitcnt lgkmcnt(4)
	v_dual_fmac_f32 v53, v6, v70 :: v_dual_sub_f32 v6, v15, v17
	v_add_f32_e32 v4, v23, v4
	s_delay_alu instid0(VALU_DEP_2) | instskip(SKIP_1) | instid1(VALU_DEP_1)
	v_fmac_f32_e32 v53, v7, v10
	s_waitcnt lgkmcnt(3)
	v_dual_mul_f32 v6, v23, v6 :: v_dual_fmac_f32 v53, v8, v5
	s_waitcnt lgkmcnt(2)
	s_delay_alu instid0(VALU_DEP_1)
	v_fmac_f32_e32 v53, v6, v11
	s_branch .LBB67_40
.LBB67_25:                              ;   in Loop: Header=BB67_3 Depth=1
                                        ; implicit-def: $vgpr1
                                        ; implicit-def: $vgpr9_vgpr10_vgpr11_vgpr12_vgpr13_vgpr14_vgpr15_vgpr16
                                        ; implicit-def: $vgpr17_vgpr18_vgpr19_vgpr20_vgpr21_vgpr22_vgpr23_vgpr24
                                        ; implicit-def: $vgpr3
                                        ; implicit-def: $vgpr4
                                        ; implicit-def: $vgpr53
	s_cbranch_execz .LBB67_40
; %bb.26:                               ;   in Loop: Header=BB67_3 Depth=1
	s_load_b32 s3, s[30:31], 0x0
	v_mov_b32_e32 v67, 0
	v_mov_b32_e32 v53, 0
	s_waitcnt lgkmcnt(0)
	s_cmp_lt_u32 s14, s3
	s_cselect_b32 s3, 12, 18
	s_delay_alu instid0(SALU_CYCLE_1)
	s_add_u32 s18, s30, s3
	s_addc_u32 s19, s31, 0
	s_mov_b32 s3, exec_lo
	global_load_u16 v1, v2, s[18:19]
	s_waitcnt vmcnt(0)
	v_mad_u32_u24 v1, v27, v1, v29
	s_delay_alu instid0(VALU_DEP_1) | instskip(NEXT) | instid1(VALU_DEP_1)
	v_and_b32_e32 v1, 31, v1
	v_cmpx_gt_u32_e32 8, v1
	s_cbranch_execz .LBB67_30
; %bb.27:                               ;   in Loop: Header=BB67_3 Depth=1
	v_add_co_u32 v1, vcc_lo, v65, v1
	v_add_co_ci_u32_e32 v4, vcc_lo, 0, v66, vcc_lo
	v_mov_b32_e32 v53, 0
	s_delay_alu instid0(VALU_DEP_3) | instskip(NEXT) | instid1(VALU_DEP_3)
	v_add_co_u32 v3, vcc_lo, 0xffffff81, v1
	v_add_co_ci_u32_e32 v4, vcc_lo, -1, v4, vcc_lo
	v_mov_b32_e32 v67, 0
	s_mov_b32 s17, exec_lo
	s_delay_alu instid0(VALU_DEP_2)
	v_cmpx_gt_i64_e64 s[4:5], v[3:4]
	s_cbranch_execz .LBB67_29
; %bb.28:                               ;   in Loop: Header=BB67_3 Depth=1
	v_lshlrev_b64 v[3:4], 2, v[3:4]
	s_delay_alu instid0(VALU_DEP_1) | instskip(NEXT) | instid1(VALU_DEP_2)
	v_add_co_u32 v5, vcc_lo, s24, v3
	v_add_co_ci_u32_e32 v6, vcc_lo, s25, v4, vcc_lo
	v_add_co_u32 v3, vcc_lo, s26, v3
	v_add_co_ci_u32_e32 v4, vcc_lo, s27, v4, vcc_lo
	global_load_b32 v53, v[5:6], off
	global_load_b32 v67, v[3:4], off
.LBB67_29:                              ;   in Loop: Header=BB67_3 Depth=1
	s_or_b32 exec_lo, exec_lo, s17
.LBB67_30:                              ;   in Loop: Header=BB67_3 Depth=1
	s_delay_alu instid0(SALU_CYCLE_1)
	s_or_b32 exec_lo, exec_lo, s3
	s_mov_b32 s22, s16
	s_mov_b32 s23, s16
	;; [unrolled: 1-line block ×7, first 2 shown]
	v_dual_mov_b32 v9, s16 :: v_dual_mov_b32 v10, s17
	v_dual_mov_b32 v15, s22 :: v_dual_mov_b32 v16, s23
	;; [unrolled: 1-line block ×4, first 2 shown]
	s_delay_alu instid0(VALU_DEP_3) | instskip(NEXT) | instid1(VALU_DEP_3)
	v_dual_mov_b32 v24, v16 :: v_dual_mov_b32 v23, v15
	v_dual_mov_b32 v20, v12 :: v_dual_mov_b32 v19, v11
	s_delay_alu instid0(VALU_DEP_3)
	v_dual_mov_b32 v22, v14 :: v_dual_mov_b32 v21, v13
	v_dual_mov_b32 v18, v10 :: v_dual_mov_b32 v17, v9
	s_and_saveexec_b32 s3, s2
	s_cbranch_execnz .LBB67_42
; %bb.31:                               ;   in Loop: Header=BB67_3 Depth=1
	s_or_b32 exec_lo, exec_lo, s3
	s_and_saveexec_b32 s3, s2
	s_cbranch_execnz .LBB67_43
.LBB67_32:                              ;   in Loop: Header=BB67_3 Depth=1
	s_or_b32 exec_lo, exec_lo, s3
	s_and_saveexec_b32 s3, s2
	s_cbranch_execnz .LBB67_44
.LBB67_33:                              ;   in Loop: Header=BB67_3 Depth=1
	s_or_b32 exec_lo, exec_lo, s3
	s_and_saveexec_b32 s3, s2
	s_cbranch_execnz .LBB67_45
.LBB67_34:                              ;   in Loop: Header=BB67_3 Depth=1
	s_or_b32 exec_lo, exec_lo, s3
	s_and_saveexec_b32 s3, s2
	s_cbranch_execnz .LBB67_46
.LBB67_35:                              ;   in Loop: Header=BB67_3 Depth=1
	s_or_b32 exec_lo, exec_lo, s3
	s_and_saveexec_b32 s3, s2
	s_cbranch_execnz .LBB67_47
.LBB67_36:                              ;   in Loop: Header=BB67_3 Depth=1
	s_or_b32 exec_lo, exec_lo, s3
	s_and_saveexec_b32 s3, s2
	s_cbranch_execnz .LBB67_48
.LBB67_37:                              ;   in Loop: Header=BB67_3 Depth=1
	s_or_b32 exec_lo, exec_lo, s3
	s_and_saveexec_b32 s3, s2
	s_cbranch_execz .LBB67_39
.LBB67_38:                              ;   in Loop: Header=BB67_3 Depth=1
	v_add_co_u32 v3, vcc_lo, v30, v25
	v_add_co_ci_u32_e32 v4, vcc_lo, v31, v26, vcc_lo
	v_add_co_u32 v5, vcc_lo, v32, v25
	v_add_co_ci_u32_e32 v6, vcc_lo, v33, v26, vcc_lo
	global_load_b32 v24, v[3:4], off
	global_load_b32 v16, v[5:6], off
.LBB67_39:                              ;   in Loop: Header=BB67_3 Depth=1
	s_or_b32 exec_lo, exec_lo, s3
	s_waitcnt vmcnt(1)
	ds_bpermute_b32 v1, v2, v53
	ds_bpermute_b32 v3, v2, v53 offset:4
	ds_bpermute_b32 v4, v2, v53 offset:8
	s_waitcnt vmcnt(0)
	ds_bpermute_b32 v5, v2, v67
	ds_bpermute_b32 v6, v2, v53 offset:12
	ds_bpermute_b32 v7, v2, v67 offset:4
	ds_bpermute_b32 v8, v2, v53 offset:16
	ds_bpermute_b32 v65, v2, v67 offset:8
	ds_bpermute_b32 v66, v2, v53 offset:20
	s_waitcnt lgkmcnt(8)
	v_sub_f32_e32 v1, v9, v1
	ds_bpermute_b32 v9, v2, v67 offset:12
	s_waitcnt lgkmcnt(7)
	v_dual_sub_f32 v4, v11, v4 :: v_dual_sub_f32 v3, v10, v3
	v_add_f32_e32 v10, v49, v17
	v_mul_f32_e32 v1, v17, v1
	ds_bpermute_b32 v17, v2, v67 offset:16
	v_dual_mul_f32 v4, v19, v4 :: v_dual_mul_f32 v3, v18, v3
	ds_bpermute_b32 v11, v2, v67 offset:20
	s_waitcnt lgkmcnt(8)
	v_fmac_f32_e32 v64, v1, v5
	ds_bpermute_b32 v5, v2, v53 offset:24
	s_waitcnt lgkmcnt(6)
	v_dual_sub_f32 v1, v12, v6 :: v_dual_sub_f32 v6, v13, v8
	s_waitcnt lgkmcnt(4)
	v_sub_f32_e32 v8, v14, v66
	v_dual_fmac_f32 v64, v3, v7 :: v_dual_add_f32 v3, v18, v10
	s_delay_alu instid0(VALU_DEP_2) | instskip(NEXT) | instid1(VALU_DEP_2)
	v_dual_mul_f32 v1, v20, v1 :: v_dual_mul_f32 v8, v22, v8
	v_dual_fmac_f32 v64, v4, v65 :: v_dual_add_f32 v7, v19, v3
	ds_bpermute_b32 v4, v2, v67 offset:24
	v_mul_f32_e32 v6, v21, v6
	ds_bpermute_b32 v3, v2, v53 offset:28
	s_waitcnt lgkmcnt(5)
	v_dual_fmac_f32 v64, v1, v9 :: v_dual_add_f32 v7, v20, v7
	ds_bpermute_b32 v1, v2, v67 offset:28
	s_waitcnt lgkmcnt(5)
	v_fmac_f32_e32 v64, v6, v17
	s_waitcnt lgkmcnt(3)
	v_dual_sub_f32 v5, v15, v5 :: v_dual_add_f32 v6, v21, v7
	s_delay_alu instid0(VALU_DEP_1) | instskip(SKIP_1) | instid1(VALU_DEP_1)
	v_dual_fmac_f32 v64, v8, v11 :: v_dual_mul_f32 v5, v23, v5
	s_waitcnt lgkmcnt(2)
	v_fmac_f32_e32 v64, v5, v4
	s_delay_alu instid0(VALU_DEP_1) | instskip(NEXT) | instid1(VALU_DEP_1)
	v_dual_add_f32 v6, v22, v6 :: v_dual_mov_b32 v53, v64
	v_add_f32_e32 v4, v23, v6
.LBB67_40:                              ;   in Loop: Header=BB67_3 Depth=1
	v_add_co_u32 v30, vcc_lo, v30, s34
	v_add_co_ci_u32_e32 v31, vcc_lo, s35, v31, vcc_lo
	v_add_co_u32 v32, vcc_lo, v32, s34
	v_add_co_ci_u32_e32 v33, vcc_lo, s35, v33, vcc_lo
	;; [unrolled: 2-line block ×12, first 2 shown]
	v_add_co_u32 v56, vcc_lo, v56, s34
	s_waitcnt lgkmcnt(0)
	v_sub_f32_e32 v3, v16, v3
	v_add_co_ci_u32_e32 v57, vcc_lo, s35, v57, vcc_lo
	v_add_co_u32 v58, vcc_lo, v58, s34
	s_add_u32 s38, s38, s28
	v_add_co_ci_u32_e32 v59, vcc_lo, s35, v59, vcc_lo
	v_mul_f32_e32 v3, v24, v3
	s_addc_u32 s39, s39, 0
	v_add_co_u32 v60, vcc_lo, v60, s34
	v_cmp_lt_i64_e64 s3, s[38:39], s[4:5]
	v_add_co_ci_u32_e32 v61, vcc_lo, s35, v61, vcc_lo
	v_add_co_u32 v62, vcc_lo, v62, s34
	v_add_f32_e32 v49, v4, v24
	v_fmac_f32_e32 v53, v3, v1
	v_add_co_ci_u32_e32 v63, vcc_lo, s35, v63, vcc_lo
	s_add_u32 s36, s36, s28
	s_addc_u32 s37, s37, 0
	s_and_b32 vcc_lo, exec_lo, s3
	s_cbranch_vccz .LBB67_50
; %bb.41:                               ;   in Loop: Header=BB67_3 Depth=1
	v_mov_b32_e32 v64, v53
	s_branch .LBB67_3
.LBB67_42:                              ;   in Loop: Header=BB67_3 Depth=1
	v_add_co_u32 v3, vcc_lo, v60, v25
	v_add_co_ci_u32_e32 v4, vcc_lo, v61, v26, vcc_lo
	v_mov_b32_e32 v8, v2
	v_mov_b32_e32 v5, v2
	;; [unrolled: 1-line block ×3, first 2 shown]
	global_load_b32 v1, v[3:4], off
	v_add_co_u32 v3, vcc_lo, v62, v25
	v_add_co_ci_u32_e32 v4, vcc_lo, v63, v26, vcc_lo
	v_mov_b32_e32 v7, v2
	v_mov_b32_e32 v15, v2
	global_load_b32 v9, v[3:4], off
	v_mov_b32_e32 v3, v2
	v_mov_b32_e32 v4, v2
	s_waitcnt vmcnt(1)
	v_dual_mov_b32 v11, v2 :: v_dual_mov_b32 v24, v8
	v_dual_mov_b32 v10, v2 :: v_dual_mov_b32 v23, v7
	v_dual_mov_b32 v12, v2 :: v_dual_mov_b32 v21, v5
	v_dual_mov_b32 v13, v2 :: v_dual_mov_b32 v20, v4
	v_dual_mov_b32 v14, v2 :: v_dual_mov_b32 v19, v3
	v_mov_b32_e32 v16, v2
	v_mov_b32_e32 v22, v6
	v_dual_mov_b32 v18, v2 :: v_dual_mov_b32 v17, v1
	s_or_b32 exec_lo, exec_lo, s3
	s_and_saveexec_b32 s3, s2
	s_cbranch_execz .LBB67_32
.LBB67_43:                              ;   in Loop: Header=BB67_3 Depth=1
	v_add_co_u32 v3, vcc_lo, v56, v25
	v_add_co_ci_u32_e32 v4, vcc_lo, v57, v26, vcc_lo
	v_add_co_u32 v5, vcc_lo, v58, v25
	v_add_co_ci_u32_e32 v6, vcc_lo, v59, v26, vcc_lo
	global_load_b32 v18, v[3:4], off
	global_load_b32 v10, v[5:6], off
	s_or_b32 exec_lo, exec_lo, s3
	s_and_saveexec_b32 s3, s2
	s_cbranch_execz .LBB67_33
.LBB67_44:                              ;   in Loop: Header=BB67_3 Depth=1
	v_add_co_u32 v3, vcc_lo, v51, v25
	v_add_co_ci_u32_e32 v4, vcc_lo, v52, v26, vcc_lo
	v_add_co_u32 v5, vcc_lo, v54, v25
	v_add_co_ci_u32_e32 v6, vcc_lo, v55, v26, vcc_lo
	global_load_b32 v19, v[3:4], off
	global_load_b32 v11, v[5:6], off
	s_or_b32 exec_lo, exec_lo, s3
	s_and_saveexec_b32 s3, s2
	s_cbranch_execz .LBB67_34
.LBB67_45:                              ;   in Loop: Header=BB67_3 Depth=1
	v_add_co_u32 v3, vcc_lo, v46, v25
	v_add_co_ci_u32_e32 v4, vcc_lo, v47, v26, vcc_lo
	v_add_co_u32 v5, vcc_lo, v48, v25
	v_add_co_ci_u32_e32 v6, vcc_lo, v50, v26, vcc_lo
	global_load_b32 v20, v[3:4], off
	global_load_b32 v12, v[5:6], off
	s_or_b32 exec_lo, exec_lo, s3
	s_and_saveexec_b32 s3, s2
	s_cbranch_execz .LBB67_35
.LBB67_46:                              ;   in Loop: Header=BB67_3 Depth=1
	v_add_co_u32 v3, vcc_lo, v42, v25
	v_add_co_ci_u32_e32 v4, vcc_lo, v43, v26, vcc_lo
	v_add_co_u32 v5, vcc_lo, v44, v25
	v_add_co_ci_u32_e32 v6, vcc_lo, v45, v26, vcc_lo
	global_load_b32 v21, v[3:4], off
	global_load_b32 v13, v[5:6], off
	s_or_b32 exec_lo, exec_lo, s3
	s_and_saveexec_b32 s3, s2
	s_cbranch_execz .LBB67_36
.LBB67_47:                              ;   in Loop: Header=BB67_3 Depth=1
	v_add_co_u32 v3, vcc_lo, v38, v25
	v_add_co_ci_u32_e32 v4, vcc_lo, v39, v26, vcc_lo
	v_add_co_u32 v5, vcc_lo, v40, v25
	v_add_co_ci_u32_e32 v6, vcc_lo, v41, v26, vcc_lo
	global_load_b32 v22, v[3:4], off
	global_load_b32 v14, v[5:6], off
	s_or_b32 exec_lo, exec_lo, s3
	s_and_saveexec_b32 s3, s2
	s_cbranch_execz .LBB67_37
.LBB67_48:                              ;   in Loop: Header=BB67_3 Depth=1
	v_add_co_u32 v3, vcc_lo, v34, v25
	v_add_co_ci_u32_e32 v4, vcc_lo, v35, v26, vcc_lo
	v_add_co_u32 v5, vcc_lo, v36, v25
	v_add_co_ci_u32_e32 v6, vcc_lo, v37, v26, vcc_lo
	global_load_b32 v23, v[3:4], off
	global_load_b32 v15, v[5:6], off
	s_or_b32 exec_lo, exec_lo, s3
	s_and_saveexec_b32 s3, s2
	s_cbranch_execnz .LBB67_38
	s_branch .LBB67_39
.LBB67_49:
	s_mov_b32 s29, -1
                                        ; implicit-def: $vgpr49
                                        ; implicit-def: $vgpr53
.LBB67_50:
	s_delay_alu instid0(SALU_CYCLE_1)
	s_and_not1_b32 vcc_lo, exec_lo, s29
	s_cbranch_vccnz .LBB67_82
; %bb.51:
	v_mov_b32_e32 v49, 0
	v_mov_b32_e32 v53, 0
	s_and_not1_b32 vcc_lo, exec_lo, s15
	s_mov_b32 s16, 0
	s_cbranch_vccnz .LBB67_82
; %bb.52:
	s_load_b32 s2, s[0:1], 0x44
	v_and_b32_e32 v50, 0x3ff, v0
	v_bfe_u32 v51, v0, 10, 10
	v_mov_b32_e32 v2, 0
	s_add_u32 s28, s0, 64
	s_addc_u32 s29, s1, 0
	v_add_nc_u32_e32 v1, s33, v50
	v_lshlrev_b32_e32 v3, 5, v51
	v_lshlrev_b32_e32 v52, 3, v51
	s_delay_alu instid0(VALU_DEP_3)
	v_lshlrev_b64 v[19:20], 2, v[1:2]
	s_waitcnt lgkmcnt(0)
	s_lshl_b32 s15, s2, 7
	s_add_u32 s30, s12, 0x7f
	s_addc_u32 s31, 0, 0
	s_lshl_b64 s[2:3], s[12:13], 2
	s_mul_i32 s17, s7, s15
	v_add_co_u32 v1, s2, v3, s2
	s_delay_alu instid0(VALU_DEP_1) | instskip(SKIP_1) | instid1(VALU_DEP_2)
	v_add_co_ci_u32_e64 v3, null, 0, s3, s2
	s_mul_hi_u32 s2, s6, s15
	v_add_co_u32 v7, vcc_lo, v1, 4
	s_delay_alu instid0(VALU_DEP_2) | instskip(SKIP_3) | instid1(VALU_DEP_4)
	v_add_co_ci_u32_e32 v4, vcc_lo, 0, v3, vcc_lo
	v_add_co_u32 v8, vcc_lo, v1, 8
	v_add_co_ci_u32_e32 v5, vcc_lo, 0, v3, vcc_lo
	v_add_co_u32 v11, vcc_lo, v1, 12
	v_mul_lo_u32 v9, s6, v4
	v_add_co_ci_u32_e32 v4, vcc_lo, 0, v3, vcc_lo
	v_add_co_u32 v14, vcc_lo, v1, 16
	v_mul_lo_u32 v12, s6, v5
	v_add_co_ci_u32_e32 v5, vcc_lo, 0, v3, vcc_lo
	s_delay_alu instid0(VALU_DEP_3) | instskip(SKIP_1) | instid1(VALU_DEP_3)
	v_mad_u64_u32 v[27:28], null, s6, v14, s[8:9]
	v_mul_lo_u32 v43, s7, v14
	v_mul_lo_u32 v17, s6, v5
	v_mad_u64_u32 v[41:42], null, s6, v14, s[10:11]
	v_add_co_u32 v18, vcc_lo, v1, 20
	v_mul_lo_u32 v15, s6, v4
	v_add_co_ci_u32_e32 v4, vcc_lo, 0, v3, vcc_lo
	s_delay_alu instid0(VALU_DEP_3) | instskip(SKIP_1) | instid1(VALU_DEP_3)
	v_mad_u64_u32 v[29:30], null, s6, v18, s[8:9]
	v_mul_lo_u32 v53, s7, v18
	v_mul_lo_u32 v49, s6, v4
	v_add3_u32 v28, v43, v28, v17
	v_add3_u32 v42, v43, v42, v17
	v_mad_u64_u32 v[43:44], null, s6, v18, s[10:11]
	v_add_co_u32 v47, vcc_lo, v1, 24
	v_add_co_ci_u32_e32 v5, vcc_lo, 0, v3, vcc_lo
	v_add3_u32 v30, v53, v30, v49
	v_add_co_u32 v1, vcc_lo, v1, 28
	v_add3_u32 v44, v53, v44, v49
	v_mov_b32_e32 v49, 0
	v_add_co_u32 v70, s3, v52, s12
	s_delay_alu instid0(VALU_DEP_1) | instskip(SKIP_2) | instid1(VALU_DEP_4)
	v_add_co_ci_u32_e64 v71, null, 0, 0, s3
	v_mul_lo_u32 v56, s6, v5
	v_add_co_ci_u32_e32 v5, vcc_lo, 0, v3, vcc_lo
	v_mul_lo_u32 v6, s7, v70
	s_delay_alu instid0(VALU_DEP_4) | instskip(SKIP_1) | instid1(VALU_DEP_4)
	v_mul_lo_u32 v35, s6, v71
	v_mad_u64_u32 v[3:4], null, s6, v70, 0
	v_mul_lo_u32 v58, s6, v5
	v_mad_u64_u32 v[21:22], null, s6, v7, s[8:9]
	;; [unrolled: 2-line block ×3, first 2 shown]
	v_add3_u32 v4, v4, v35, v6
	v_mad_u64_u32 v[35:36], null, s6, v7, s[10:11]
	v_mul_lo_u32 v13, s7, v8
	v_mad_u64_u32 v[37:38], null, s6, v8, s[10:11]
	s_delay_alu instid0(VALU_DEP_4)
	v_lshlrev_b64 v[5:6], 2, v[3:4]
	v_add3_u32 v22, v10, v22, v9
	v_mad_u64_u32 v[25:26], null, s6, v11, s[8:9]
	v_add3_u32 v36, v10, v36, v9
	v_add3_u32 v24, v13, v24, v12
	v_add_co_u32 v54, vcc_lo, s8, v5
	v_add_co_ci_u32_e32 v55, vcc_lo, s9, v6, vcc_lo
	v_add_co_u32 v9, vcc_lo, v70, 7
	v_add_co_ci_u32_e32 v7, vcc_lo, 0, v71, vcc_lo
	v_add3_u32 v38, v13, v38, v12
	v_add_co_u32 v12, vcc_lo, v70, 6
	v_mul_lo_u32 v16, s7, v11
	v_mad_u64_u32 v[31:32], null, s6, v47, s[8:9]
	v_mul_lo_u32 v57, s7, v47
	v_mad_u64_u32 v[33:34], null, s6, v1, s[8:9]
	;; [unrolled: 2-line block ×3, first 2 shown]
	v_mad_u64_u32 v[45:46], null, s6, v47, s[10:11]
	v_mad_u64_u32 v[47:48], null, s6, v1, s[10:11]
	v_mul_lo_u32 v1, s7, v9
	v_mul_lo_u32 v11, s6, v7
	v_mad_u64_u32 v[7:8], null, s6, v9, 0
	v_add_co_ci_u32_e32 v10, vcc_lo, 0, v71, vcc_lo
	v_mul_lo_u32 v13, s7, v12
	v_add3_u32 v32, v57, v32, v56
	v_add3_u32 v46, v57, v46, v56
	s_delay_alu instid0(VALU_DEP_4) | instskip(SKIP_4) | instid1(VALU_DEP_3)
	v_mul_lo_u32 v14, s6, v10
	v_mad_u64_u32 v[9:10], null, s6, v12, 0
	v_add3_u32 v8, v8, v11, v1
	v_add_co_u32 v56, vcc_lo, s10, v5
	v_add_co_ci_u32_e32 v57, vcc_lo, s11, v6, vcc_lo
	v_lshlrev_b64 v[5:6], 2, v[7:8]
	v_add3_u32 v10, v10, v14, v13
	v_add_co_u32 v1, vcc_lo, v70, 5
	v_add_co_ci_u32_e32 v11, vcc_lo, 0, v71, vcc_lo
	v_add3_u32 v34, v59, v34, v58
	v_add3_u32 v48, v59, v48, v58
	v_add_co_u32 v58, vcc_lo, s8, v5
	v_lshlrev_b64 v[7:8], 2, v[9:10]
	v_add_co_ci_u32_e32 v59, vcc_lo, s9, v6, vcc_lo
	v_mul_lo_u32 v12, s7, v1
	v_mul_lo_u32 v11, s6, v11
	v_mad_u64_u32 v[9:10], null, s6, v1, 0
	v_add_co_u32 v60, vcc_lo, s10, v5
	v_add_co_ci_u32_e32 v61, vcc_lo, s11, v6, vcc_lo
	v_add_co_u32 v62, vcc_lo, s8, v7
	v_add_co_ci_u32_e32 v63, vcc_lo, s9, v8, vcc_lo
	v_add_co_u32 v1, vcc_lo, v70, 4
	v_add3_u32 v10, v10, v11, v12
	s_add_i32 s3, s2, s17
	v_add_co_u32 v64, s2, s10, v7
	v_add_co_ci_u32_e32 v7, vcc_lo, 0, v71, vcc_lo
	v_add_co_u32 v12, vcc_lo, v70, 3
	v_lshlrev_b64 v[5:6], 2, v[9:10]
	v_add_co_ci_u32_e32 v9, vcc_lo, 0, v71, vcc_lo
	v_add_co_ci_u32_e64 v65, s2, s11, v8, s2
	v_mul_lo_u32 v11, s7, v1
	v_mul_lo_u32 v13, s6, v7
	v_mad_u64_u32 v[7:8], null, s6, v1, 0
	v_mul_lo_u32 v1, s7, v12
	v_mul_lo_u32 v14, s6, v9
	v_mad_u64_u32 v[9:10], null, s6, v12, 0
	v_add_co_u32 v66, vcc_lo, s8, v5
	v_add_co_ci_u32_e32 v67, vcc_lo, s9, v6, vcc_lo
	v_add3_u32 v8, v8, v13, v11
	v_add_co_u32 v68, vcc_lo, s10, v5
	v_add_co_ci_u32_e32 v69, vcc_lo, s11, v6, vcc_lo
	v_add3_u32 v10, v10, v14, v1
	v_add_co_u32 v1, vcc_lo, v70, 2
	v_lshlrev_b64 v[5:6], 2, v[7:8]
	v_add_co_ci_u32_e32 v11, vcc_lo, 0, v71, vcc_lo
	s_delay_alu instid0(VALU_DEP_4) | instskip(NEXT) | instid1(VALU_DEP_4)
	v_lshlrev_b64 v[7:8], 2, v[9:10]
	v_mul_lo_u32 v12, s7, v1
	v_mad_u64_u32 v[9:10], null, s6, v1, 0
	v_add_co_u32 v70, vcc_lo, s8, v5
	v_mul_lo_u32 v11, s6, v11
	v_add_co_ci_u32_e32 v71, vcc_lo, s9, v6, vcc_lo
	v_add_co_u32 v72, vcc_lo, s10, v5
	v_add_co_ci_u32_e32 v73, vcc_lo, s11, v6, vcc_lo
	v_add_co_u32 v74, vcc_lo, s8, v7
	v_add_co_ci_u32_e32 v75, vcc_lo, s9, v8, vcc_lo
	v_add3_u32 v10, v10, v11, v12
	v_add_co_u32 v76, vcc_lo, s10, v7
	v_add_co_ci_u32_e32 v77, vcc_lo, s11, v8, vcc_lo
	v_add_co_u32 v3, vcc_lo, v3, s6
	s_delay_alu instid0(VALU_DEP_4)
	v_lshlrev_b64 v[5:6], 2, v[9:10]
	v_add_co_ci_u32_e32 v4, vcc_lo, s7, v4, vcc_lo
	v_add3_u32 v26, v16, v26, v15
	v_add3_u32 v40, v16, v40, v15
	v_mov_b32_e32 v53, 0
	v_add_co_u32 v78, vcc_lo, s8, v5
	v_lshlrev_b64 v[3:4], 2, v[3:4]
	v_add_co_ci_u32_e32 v79, vcc_lo, s9, v6, vcc_lo
	v_add_co_u32 v80, vcc_lo, s10, v5
	v_add_co_ci_u32_e32 v81, vcc_lo, s11, v6, vcc_lo
	s_delay_alu instid0(VALU_DEP_4) | instskip(SKIP_4) | instid1(SALU_CYCLE_1)
	v_add_co_u32 v82, vcc_lo, s8, v3
	v_add_co_ci_u32_e32 v83, vcc_lo, s9, v4, vcc_lo
	v_add_co_u32 v84, vcc_lo, s10, v3
	v_add_co_ci_u32_e32 v85, vcc_lo, s11, v4, vcc_lo
	s_mul_i32 s2, s6, s15
	s_lshl_b64 s[2:3], s[2:3], 2
	s_branch .LBB67_56
.LBB67_53:                              ;   in Loop: Header=BB67_56 Depth=1
	s_or_b32 exec_lo, exec_lo, s9
.LBB67_54:                              ;   in Loop: Header=BB67_56 Depth=1
	s_delay_alu instid0(SALU_CYCLE_1)
	s_or_b32 exec_lo, exec_lo, s8
	v_add_co_u32 v3, vcc_lo, v54, v19
	v_add_co_ci_u32_e32 v4, vcc_lo, v55, v20, vcc_lo
	s_waitcnt vmcnt(1)
	ds_bpermute_b32 v88, v2, v1
	global_load_b32 v6, v[3:4], off
	v_add_co_u32 v3, vcc_lo, v56, v19
	v_add_co_ci_u32_e32 v4, vcc_lo, v57, v20, vcc_lo
	global_load_b32 v7, v[3:4], off
	v_add_co_u32 v3, vcc_lo, v21, v19
	v_add_co_ci_u32_e32 v4, vcc_lo, v22, v20, vcc_lo
	;; [unrolled: 3-line block ×15, first 2 shown]
	global_load_b32 v4, v[3:4], off
	s_waitcnt vmcnt(16)
	ds_bpermute_b32 v3, v2, v5
	s_waitcnt vmcnt(14) lgkmcnt(1)
	v_sub_f32_e32 v7, v7, v88
	s_delay_alu instid0(VALU_DEP_1) | instskip(SKIP_1) | instid1(VALU_DEP_1)
	v_mul_f32_e32 v7, v6, v7
	s_waitcnt lgkmcnt(0)
	v_fmac_f32_e32 v53, v7, v3
	ds_bpermute_b32 v7, v2, v1 offset:4
	v_add_f32_e32 v3, v49, v6
	ds_bpermute_b32 v6, v2, v5 offset:4
	s_waitcnt vmcnt(13)
	v_add_f32_e32 v3, v3, v8
	s_waitcnt vmcnt(11)
	s_delay_alu instid0(VALU_DEP_1) | instskip(SKIP_2) | instid1(VALU_DEP_1)
	v_add_f32_e32 v3, v3, v11
	s_waitcnt lgkmcnt(1)
	v_sub_f32_e32 v7, v9, v7
	v_mul_f32_e32 v7, v8, v7
	s_waitcnt vmcnt(9)
	v_add_f32_e32 v3, v3, v13
	s_waitcnt lgkmcnt(0)
	s_delay_alu instid0(VALU_DEP_2)
	v_fmac_f32_e32 v53, v7, v6
	ds_bpermute_b32 v7, v2, v1 offset:8
	ds_bpermute_b32 v6, v2, v5 offset:8
	s_waitcnt vmcnt(7)
	v_add_f32_e32 v3, v3, v15
	s_waitcnt lgkmcnt(1)
	v_sub_f32_e32 v7, v12, v7
	s_delay_alu instid0(VALU_DEP_1) | instskip(SKIP_3) | instid1(VALU_DEP_2)
	v_mul_f32_e32 v7, v11, v7
	s_waitcnt vmcnt(5)
	v_add_f32_e32 v3, v3, v17
	s_waitcnt lgkmcnt(0)
	v_fmac_f32_e32 v53, v7, v6
	ds_bpermute_b32 v7, v2, v1 offset:12
	ds_bpermute_b32 v6, v2, v5 offset:12
	s_waitcnt vmcnt(3)
	v_add_f32_e32 v3, v3, v86
	s_waitcnt lgkmcnt(1)
	v_sub_f32_e32 v7, v14, v7
	s_delay_alu instid0(VALU_DEP_1) | instskip(SKIP_1) | instid1(VALU_DEP_1)
	v_mul_f32_e32 v7, v13, v7
	s_waitcnt lgkmcnt(0)
	v_fmac_f32_e32 v53, v7, v6
	ds_bpermute_b32 v7, v2, v1 offset:16
	ds_bpermute_b32 v6, v2, v5 offset:16
	s_waitcnt lgkmcnt(1)
	v_sub_f32_e32 v7, v16, v7
	s_delay_alu instid0(VALU_DEP_1) | instskip(SKIP_1) | instid1(VALU_DEP_1)
	v_mul_f32_e32 v7, v15, v7
	s_waitcnt lgkmcnt(0)
	v_fmac_f32_e32 v53, v7, v6
	ds_bpermute_b32 v7, v2, v1 offset:20
	ds_bpermute_b32 v6, v2, v5 offset:20
	;; [unrolled: 8-line block ×3, first 2 shown]
	ds_bpermute_b32 v6, v2, v5 offset:24
	ds_bpermute_b32 v5, v2, v5 offset:28
	s_waitcnt vmcnt(2) lgkmcnt(3)
	v_sub_f32_e32 v7, v87, v7
	s_waitcnt vmcnt(0) lgkmcnt(2)
	v_sub_f32_e32 v1, v4, v1
	s_delay_alu instid0(VALU_DEP_2) | instskip(NEXT) | instid1(VALU_DEP_2)
	v_mul_f32_e32 v7, v86, v7
	v_mul_f32_e32 v1, v10, v1
	s_waitcnt lgkmcnt(0)
	s_delay_alu instid0(VALU_DEP_1) | instskip(NEXT) | instid1(VALU_DEP_1)
	v_dual_fmac_f32 v53, v7, v6 :: v_dual_mul_f32 v4, v1, v5
	v_mov_b32_e32 v1, v53
.LBB67_55:                              ;   in Loop: Header=BB67_56 Depth=1
	v_add_co_u32 v21, vcc_lo, v21, s2
	v_add_co_ci_u32_e32 v22, vcc_lo, s3, v22, vcc_lo
	v_add_co_u32 v23, vcc_lo, v23, s2
	v_add_co_ci_u32_e32 v24, vcc_lo, s3, v24, vcc_lo
	;; [unrolled: 2-line block ×27, first 2 shown]
	v_add_co_u32 v80, vcc_lo, v80, s2
	s_add_u32 s12, s12, s15
	v_add_co_ci_u32_e32 v81, vcc_lo, s3, v81, vcc_lo
	s_addc_u32 s13, s13, 0
	v_add_co_u32 v82, vcc_lo, v82, s2
	v_cmp_ge_i64_e64 s8, s[12:13], s[4:5]
	v_add_co_ci_u32_e32 v83, vcc_lo, s3, v83, vcc_lo
	v_add_co_u32 v84, vcc_lo, v84, s2
	v_add_f32_e32 v53, v1, v4
	v_add_f32_e32 v49, v3, v10
	v_add_co_ci_u32_e32 v85, vcc_lo, s3, v85, vcc_lo
	s_add_u32 s30, s30, s15
	s_addc_u32 s31, s31, 0
	s_and_b32 vcc_lo, exec_lo, s8
	s_cbranch_vccnz .LBB67_82
.LBB67_56:                              ; =>This Inner Loop Header: Depth=1
	v_cmp_ge_i64_e64 s8, s[30:31], s[4:5]
	v_add_co_u32 v86, s9, v52, s30
	s_delay_alu instid0(VALU_DEP_1) | instskip(NEXT) | instid1(VALU_DEP_3)
	v_add_co_ci_u32_e64 v87, null, 0, s31, s9
	s_and_b32 vcc_lo, exec_lo, s8
	s_cbranch_vccz .LBB67_78
; %bb.57:                               ;   in Loop: Header=BB67_56 Depth=1
	s_load_b32 s8, s[28:29], 0xc
	v_dual_mov_b32 v89, 0 :: v_dual_mov_b32 v88, 0
	s_waitcnt lgkmcnt(0)
	s_and_b32 s8, s8, 0xffff
	s_delay_alu instid0(SALU_CYCLE_1) | instskip(SKIP_1) | instid1(VALU_DEP_1)
	v_mad_u32_u24 v1, v51, s8, v50
	s_mov_b32 s8, exec_lo
	v_and_b32_e32 v1, 31, v1
	s_delay_alu instid0(VALU_DEP_1)
	v_cmpx_gt_u32_e32 8, v1
	s_cbranch_execz .LBB67_61
; %bb.58:                               ;   in Loop: Header=BB67_56 Depth=1
	v_add_co_u32 v1, vcc_lo, v86, v1
	v_add_co_ci_u32_e32 v4, vcc_lo, 0, v87, vcc_lo
	v_dual_mov_b32 v88, 0 :: v_dual_mov_b32 v89, 0
	s_delay_alu instid0(VALU_DEP_3) | instskip(NEXT) | instid1(VALU_DEP_3)
	v_add_co_u32 v3, vcc_lo, 0xffffff81, v1
	v_add_co_ci_u32_e32 v4, vcc_lo, -1, v4, vcc_lo
	s_mov_b32 s9, exec_lo
	s_delay_alu instid0(VALU_DEP_1)
	v_cmpx_gt_i64_e64 s[4:5], v[3:4]
	s_cbranch_execz .LBB67_60
; %bb.59:                               ;   in Loop: Header=BB67_56 Depth=1
	v_lshlrev_b64 v[3:4], 2, v[3:4]
	s_delay_alu instid0(VALU_DEP_1) | instskip(NEXT) | instid1(VALU_DEP_2)
	v_add_co_u32 v5, vcc_lo, s24, v3
	v_add_co_ci_u32_e32 v6, vcc_lo, s25, v4, vcc_lo
	v_add_co_u32 v3, vcc_lo, s26, v3
	v_add_co_ci_u32_e32 v4, vcc_lo, s27, v4, vcc_lo
	global_load_b32 v88, v[5:6], off
	global_load_b32 v89, v[3:4], off
.LBB67_60:                              ;   in Loop: Header=BB67_56 Depth=1
	s_or_b32 exec_lo, exec_lo, s9
.LBB67_61:                              ;   in Loop: Header=BB67_56 Depth=1
	s_delay_alu instid0(SALU_CYCLE_1)
	s_or_b32 exec_lo, exec_lo, s8
	v_add_co_u32 v3, vcc_lo, 0xffffff81, v86
	s_mov_b32 s17, s16
	s_mov_b32 s18, s16
	s_mov_b32 s19, s16
	s_mov_b32 s20, s16
	s_mov_b32 s21, s16
	s_mov_b32 s22, s16
	s_mov_b32 s23, s16
	v_add_co_ci_u32_e32 v4, vcc_lo, -1, v87, vcc_lo
	v_dual_mov_b32 v11, s16 :: v_dual_mov_b32 v12, s17
	v_dual_mov_b32 v13, s18 :: v_dual_mov_b32 v14, s19
	;; [unrolled: 1-line block ×4, first 2 shown]
	v_cmp_gt_i64_e32 vcc_lo, s[4:5], v[3:4]
	v_dual_mov_b32 v3, v11 :: v_dual_mov_b32 v4, v12
	v_dual_mov_b32 v5, v13 :: v_dual_mov_b32 v6, v14
	;; [unrolled: 1-line block ×4, first 2 shown]
	s_and_saveexec_b32 s8, vcc_lo
	s_cbranch_execz .LBB67_63
; %bb.62:                               ;   in Loop: Header=BB67_56 Depth=1
	v_add_co_u32 v3, vcc_lo, v54, v19
	v_add_co_ci_u32_e32 v4, vcc_lo, v55, v20, vcc_lo
	v_mov_b32_e32 v8, v2
	v_mov_b32_e32 v5, v2
	;; [unrolled: 1-line block ×3, first 2 shown]
	global_load_b32 v1, v[3:4], off
	v_add_co_u32 v3, vcc_lo, v56, v19
	v_add_co_ci_u32_e32 v4, vcc_lo, v57, v20, vcc_lo
	v_mov_b32_e32 v7, v2
	v_mov_b32_e32 v17, v2
	global_load_b32 v11, v[3:4], off
	v_mov_b32_e32 v3, v2
	v_mov_b32_e32 v4, v2
	s_waitcnt vmcnt(1)
	v_dual_mov_b32 v13, v2 :: v_dual_mov_b32 v10, v8
	v_dual_mov_b32 v12, v2 :: v_dual_mov_b32 v9, v7
	v_mov_b32_e32 v8, v6
	v_dual_mov_b32 v14, v2 :: v_dual_mov_b32 v7, v5
	v_dual_mov_b32 v15, v2 :: v_dual_mov_b32 v6, v4
	v_dual_mov_b32 v16, v2 :: v_dual_mov_b32 v5, v3
	v_mov_b32_e32 v4, v2
	v_dual_mov_b32 v18, v2 :: v_dual_mov_b32 v3, v1
.LBB67_63:                              ;   in Loop: Header=BB67_56 Depth=1
	s_or_b32 exec_lo, exec_lo, s8
	v_add_co_u32 v90, vcc_lo, 0xffffff82, v86
	v_add_co_ci_u32_e32 v91, vcc_lo, -1, v87, vcc_lo
	s_mov_b32 s8, exec_lo
	s_delay_alu instid0(VALU_DEP_1)
	v_cmpx_gt_i64_e64 s[4:5], v[90:91]
	s_cbranch_execz .LBB67_65
; %bb.64:                               ;   in Loop: Header=BB67_56 Depth=1
	v_add_co_u32 v90, vcc_lo, v82, v19
	v_add_co_ci_u32_e32 v91, vcc_lo, v83, v20, vcc_lo
	v_add_co_u32 v92, vcc_lo, v84, v19
	v_add_co_ci_u32_e32 v93, vcc_lo, v85, v20, vcc_lo
	global_load_b32 v4, v[90:91], off
	global_load_b32 v12, v[92:93], off
.LBB67_65:                              ;   in Loop: Header=BB67_56 Depth=1
	s_or_b32 exec_lo, exec_lo, s8
	v_add_co_u32 v90, vcc_lo, 0xffffff83, v86
	v_add_co_ci_u32_e32 v91, vcc_lo, -1, v87, vcc_lo
	s_mov_b32 s8, exec_lo
	s_delay_alu instid0(VALU_DEP_1)
	v_cmpx_gt_i64_e64 s[4:5], v[90:91]
	s_cbranch_execz .LBB67_67
; %bb.66:                               ;   in Loop: Header=BB67_56 Depth=1
	v_add_co_u32 v90, vcc_lo, v78, v19
	v_add_co_ci_u32_e32 v91, vcc_lo, v79, v20, vcc_lo
	v_add_co_u32 v92, vcc_lo, v80, v19
	v_add_co_ci_u32_e32 v93, vcc_lo, v81, v20, vcc_lo
	global_load_b32 v5, v[90:91], off
	global_load_b32 v13, v[92:93], off
.LBB67_67:                              ;   in Loop: Header=BB67_56 Depth=1
	;; [unrolled: 15-line block ×7, first 2 shown]
	s_or_b32 exec_lo, exec_lo, s8
	s_waitcnt vmcnt(1)
	ds_bpermute_b32 v90, v2, v88
	s_waitcnt vmcnt(0)
	ds_bpermute_b32 v1, v2, v89
	s_waitcnt lgkmcnt(1)
	v_sub_f32_e32 v11, v11, v90
	ds_bpermute_b32 v90, v2, v88 offset:4
	s_waitcnt lgkmcnt(0)
	v_sub_f32_e32 v12, v12, v90
	s_delay_alu instid0(VALU_DEP_1) | instskip(SKIP_1) | instid1(VALU_DEP_2)
	v_dual_mul_f32 v12, v4, v12 :: v_dual_mul_f32 v11, v3, v11
	v_add_f32_e32 v3, v49, v3
	v_fma_f32 v1, v11, v1, v53
	ds_bpermute_b32 v11, v2, v89 offset:4
	v_add_f32_e32 v3, v4, v3
	ds_bpermute_b32 v4, v2, v89 offset:8
	v_add_f32_e32 v3, v5, v3
	s_delay_alu instid0(VALU_DEP_1) | instskip(NEXT) | instid1(VALU_DEP_1)
	v_add_f32_e32 v3, v6, v3
	v_add_f32_e32 v3, v7, v3
	s_waitcnt lgkmcnt(1)
	v_fmac_f32_e32 v1, v12, v11
	ds_bpermute_b32 v11, v2, v88 offset:8
	v_add_f32_e32 v3, v8, v3
	s_delay_alu instid0(VALU_DEP_1) | instskip(SKIP_2) | instid1(VALU_DEP_1)
	v_add_f32_e32 v3, v9, v3
	s_waitcnt lgkmcnt(0)
	v_sub_f32_e32 v11, v13, v11
	v_mul_f32_e32 v11, v5, v11
	ds_bpermute_b32 v5, v2, v88 offset:12
	v_fmac_f32_e32 v1, v11, v4
	ds_bpermute_b32 v4, v2, v89 offset:12
	s_waitcnt lgkmcnt(1)
	v_sub_f32_e32 v5, v14, v5
	s_delay_alu instid0(VALU_DEP_1) | instskip(SKIP_1) | instid1(VALU_DEP_1)
	v_mul_f32_e32 v5, v6, v5
	s_waitcnt lgkmcnt(0)
	v_fmac_f32_e32 v1, v5, v4
	ds_bpermute_b32 v5, v2, v88 offset:16
	ds_bpermute_b32 v4, v2, v89 offset:16
	s_waitcnt lgkmcnt(1)
	v_sub_f32_e32 v5, v15, v5
	s_delay_alu instid0(VALU_DEP_1) | instskip(SKIP_1) | instid1(VALU_DEP_1)
	v_mul_f32_e32 v5, v7, v5
	s_waitcnt lgkmcnt(0)
	v_fmac_f32_e32 v1, v5, v4
	ds_bpermute_b32 v5, v2, v88 offset:20
	;; [unrolled: 8-line block ×4, first 2 shown]
	ds_bpermute_b32 v4, v2, v89 offset:28
	s_waitcnt lgkmcnt(1)
	v_sub_f32_e32 v5, v18, v5
	s_delay_alu instid0(VALU_DEP_1) | instskip(SKIP_1) | instid1(VALU_DEP_1)
	v_mul_f32_e32 v5, v10, v5
	s_waitcnt lgkmcnt(0)
	v_mul_f32_e32 v4, v5, v4
	s_branch .LBB67_55
.LBB67_78:                              ;   in Loop: Header=BB67_56 Depth=1
                                        ; implicit-def: $vgpr10
                                        ; implicit-def: $vgpr4
                                        ; implicit-def: $vgpr3
                                        ; implicit-def: $vgpr1
	s_cbranch_execz .LBB67_55
; %bb.79:                               ;   in Loop: Header=BB67_56 Depth=1
	s_load_b32 s8, s[28:29], 0x0
	v_mov_b32_e32 v5, 0
	s_waitcnt lgkmcnt(0)
	s_cmp_lt_u32 s14, s8
	s_cselect_b32 s8, 12, 18
	s_delay_alu instid0(SALU_CYCLE_1)
	s_add_u32 s8, s28, s8
	s_addc_u32 s9, s29, 0
	global_load_u16 v1, v2, s[8:9]
	s_mov_b32 s8, exec_lo
	s_waitcnt vmcnt(0)
	v_mad_u32_u24 v1, v51, v1, v50
	s_delay_alu instid0(VALU_DEP_1) | instskip(SKIP_1) | instid1(VALU_DEP_2)
	v_and_b32_e32 v3, 31, v1
	v_mov_b32_e32 v1, 0
	v_cmpx_gt_u32_e32 8, v3
	s_cbranch_execz .LBB67_54
; %bb.80:                               ;   in Loop: Header=BB67_56 Depth=1
	v_add_co_u32 v1, vcc_lo, v86, v3
	v_add_co_ci_u32_e32 v4, vcc_lo, 0, v87, vcc_lo
	v_mov_b32_e32 v5, 0
	s_delay_alu instid0(VALU_DEP_3) | instskip(NEXT) | instid1(VALU_DEP_3)
	v_add_co_u32 v3, vcc_lo, 0xffffff81, v1
	v_add_co_ci_u32_e32 v4, vcc_lo, -1, v4, vcc_lo
	v_mov_b32_e32 v1, 0
	s_mov_b32 s9, exec_lo
	s_delay_alu instid0(VALU_DEP_2)
	v_cmpx_gt_i64_e64 s[4:5], v[3:4]
	s_cbranch_execz .LBB67_53
; %bb.81:                               ;   in Loop: Header=BB67_56 Depth=1
	v_lshlrev_b64 v[3:4], 2, v[3:4]
	s_delay_alu instid0(VALU_DEP_1) | instskip(NEXT) | instid1(VALU_DEP_2)
	v_add_co_u32 v5, vcc_lo, s24, v3
	v_add_co_ci_u32_e32 v6, vcc_lo, s25, v4, vcc_lo
	v_add_co_u32 v3, vcc_lo, s26, v3
	v_add_co_ci_u32_e32 v4, vcc_lo, s27, v4, vcc_lo
	global_load_b32 v1, v[5:6], off
	global_load_b32 v5, v[3:4], off
	s_branch .LBB67_53
.LBB67_82:
	v_and_b32_e32 v1, 0x3ff, v0
	v_bfe_u32 v2, v0, 10, 10
	s_mov_b32 s15, 0
	s_mov_b32 s2, exec_lo
	s_delay_alu instid0(VALU_DEP_2) | instskip(NEXT) | instid1(VALU_DEP_2)
	v_lshrrev_b32_e32 v3, 5, v1
	v_mad_u32_u24 v0, v2, 33, v1
	s_delay_alu instid0(VALU_DEP_2) | instskip(NEXT) | instid1(VALU_DEP_2)
	v_add_nc_u32_e32 v4, v3, v2
	v_lshl_add_u32 v0, v0, 2, 0
	ds_store_b32 v0, v53
	ds_store_b32 v0, v49 offset:2112
	s_waitcnt lgkmcnt(0)
	s_barrier
	buffer_gl0_inv
	v_cmpx_gt_u32_e32 32, v4
	s_cbranch_execz .LBB67_92
; %bb.83:
	v_mbcnt_lo_u32_b32 v6, -1, 0
	s_load_b128 s[8:11], s[0:1], 0x30
	v_cmp_eq_u32_e64 s0, 0, v1
	v_add_co_u32 v4, s1, v3, v2
	s_delay_alu instid0(VALU_DEP_3) | instskip(SKIP_4) | instid1(VALU_DEP_3)
	v_xor_b32_e32 v8, 1, v6
	v_and_b32_e32 v0, 31, v1
	v_xor_b32_e32 v1, 8, v6
	v_add_co_ci_u32_e64 v5, null, 0, 0, s1
	s_lshl_b64 s[4:5], s[14:15], 5
	v_cmp_gt_u32_e64 s1, 16, v0
	v_mul_u32_u24_e32 v12, 33, v0
	v_xor_b32_e32 v0, 4, v6
	v_cmp_gt_i32_e32 vcc_lo, 32, v1
	v_xor_b32_e32 v7, 2, v6
	s_delay_alu instid0(VALU_DEP_4)
	v_add3_u32 v12, v12, v2, v3
	v_cndmask_b32_e32 v9, v6, v1, vcc_lo
	v_cmp_gt_i32_e32 vcc_lo, 32, v0
	s_waitcnt lgkmcnt(0)
	s_cmp_lg_u64 s[8:9], 0
	s_cselect_b32 s3, -1, 0
	s_cmp_lg_u64 s[10:11], 0
	v_cndmask_b32_e32 v13, v6, v0, vcc_lo
	v_add_co_u32 v0, vcc_lo, v4, s4
	v_add_co_ci_u32_e32 v1, vcc_lo, s5, v5, vcc_lo
	v_cmp_gt_i32_e32 vcc_lo, 32, v7
	s_delay_alu instid0(VALU_DEP_2) | instskip(SKIP_3) | instid1(VALU_DEP_4)
	v_lshlrev_b64 v[10:11], 2, v[0:1]
	v_cndmask_b32_e32 v14, v6, v7, vcc_lo
	v_cmp_gt_i32_e32 vcc_lo, 32, v8
	v_cndmask_b32_e32 v15, v6, v8, vcc_lo
	v_add_co_u32 v0, vcc_lo, s10, v10
	v_add_co_ci_u32_e32 v1, vcc_lo, s11, v11, vcc_lo
	v_add_co_u32 v2, vcc_lo, s8, v10
	v_lshlrev_b32_e32 v8, 2, v14
	v_lshlrev_b32_e32 v6, 2, v9
	;; [unrolled: 1-line block ×4, first 2 shown]
	v_add_co_ci_u32_e32 v3, vcc_lo, s9, v11, vcc_lo
	v_lshl_add_u32 v10, v12, 2, 0
	s_cselect_b32 s8, -1, 0
                                        ; implicit-def: $vgpr11
                                        ; implicit-def: $vgpr12
	s_branch .LBB67_85
.LBB67_84:                              ;   in Loop: Header=BB67_85 Depth=1
	s_or_b32 exec_lo, exec_lo, s2
	v_add_co_u32 v4, vcc_lo, v4, 16
	v_add_co_ci_u32_e32 v5, vcc_lo, 0, v5, vcc_lo
	v_add_co_u32 v0, vcc_lo, v0, 64
	s_delay_alu instid0(VALU_DEP_3) | instskip(SKIP_2) | instid1(VALU_DEP_3)
	v_add_nc_u32_e32 v13, -16, v4
	v_add_co_ci_u32_e32 v1, vcc_lo, 0, v1, vcc_lo
	v_add_co_u32 v2, s2, v2, 64
	v_cmp_lt_u32_e32 vcc_lo, 15, v13
	v_add_co_ci_u32_e64 v3, s2, 0, v3, s2
	v_add_nc_u32_e32 v10, 64, v10
	s_or_b32 s15, vcc_lo, s15
	s_delay_alu instid0(SALU_CYCLE_1)
	s_and_not1_b32 exec_lo, exec_lo, s15
	s_cbranch_execz .LBB67_92
.LBB67_85:                              ; =>This Inner Loop Header: Depth=1
	s_and_saveexec_b32 s2, s1
	s_cbranch_execz .LBB67_87
; %bb.86:                               ;   in Loop: Header=BB67_85 Depth=1
	ds_load_b32 v11, v10
	ds_load_b32 v12, v10 offset:2112
.LBB67_87:                              ;   in Loop: Header=BB67_85 Depth=1
	s_or_b32 exec_lo, exec_lo, s2
	s_waitcnt lgkmcnt(1)
	ds_bpermute_b32 v13, v6, v11
	s_waitcnt lgkmcnt(1)
	ds_bpermute_b32 v14, v6, v12
	s_waitcnt lgkmcnt(0)
	v_dual_add_f32 v11, v11, v13 :: v_dual_add_f32 v12, v12, v14
	ds_bpermute_b32 v13, v7, v11
	ds_bpermute_b32 v14, v7, v12
	s_waitcnt lgkmcnt(0)
	v_dual_add_f32 v11, v11, v13 :: v_dual_add_f32 v12, v12, v14
	ds_bpermute_b32 v13, v8, v11
	ds_bpermute_b32 v14, v8, v12
	s_waitcnt lgkmcnt(0)
	v_dual_add_f32 v13, v11, v13 :: v_dual_add_f32 v14, v12, v14
	v_add_co_u32 v11, vcc_lo, s4, v4
	v_add_co_ci_u32_e32 v12, vcc_lo, s5, v5, vcc_lo
	ds_bpermute_b32 v15, v9, v13
	ds_bpermute_b32 v16, v9, v14
	v_cmp_gt_i64_e32 vcc_lo, s[6:7], v[11:12]
	s_and_b32 s9, s0, vcc_lo
	s_waitcnt lgkmcnt(0)
	v_dual_add_f32 v11, v13, v15 :: v_dual_add_f32 v12, v14, v16
	s_and_saveexec_b32 s2, s9
	s_cbranch_execz .LBB67_84
; %bb.88:                               ;   in Loop: Header=BB67_85 Depth=1
	s_and_not1_b32 vcc_lo, exec_lo, s3
	s_cbranch_vccnz .LBB67_90
; %bb.89:                               ;   in Loop: Header=BB67_85 Depth=1
	global_store_b32 v[2:3], v11, off
.LBB67_90:                              ;   in Loop: Header=BB67_85 Depth=1
	s_and_not1_b32 vcc_lo, exec_lo, s8
	s_cbranch_vccnz .LBB67_84
; %bb.91:                               ;   in Loop: Header=BB67_85 Depth=1
	global_store_b32 v[0:1], v12, off
	s_branch .LBB67_84
.LBB67_92:
	s_nop 0
	s_sendmsg sendmsg(MSG_DEALLOC_VGPRS)
	s_endpgm
	.section	.rodata,"a",@progbits
	.p2align	6, 0x0
	.amdhsa_kernel _ZN2at6native12_GLOBAL__N_135GammaBetaBackwardCUDAKernelTemplateIffLj32ELj16ELj128ELb0ELb0ELb0EEEvllPKT_S5_PKT0_S8_PS3_S9_
		.amdhsa_group_segment_fixed_size 0
		.amdhsa_private_segment_fixed_size 0
		.amdhsa_kernarg_size 320
		.amdhsa_user_sgpr_count 14
		.amdhsa_user_sgpr_dispatch_ptr 0
		.amdhsa_user_sgpr_queue_ptr 0
		.amdhsa_user_sgpr_kernarg_segment_ptr 1
		.amdhsa_user_sgpr_dispatch_id 0
		.amdhsa_user_sgpr_private_segment_size 0
		.amdhsa_wavefront_size32 1
		.amdhsa_uses_dynamic_stack 0
		.amdhsa_enable_private_segment 0
		.amdhsa_system_sgpr_workgroup_id_x 1
		.amdhsa_system_sgpr_workgroup_id_y 1
		.amdhsa_system_sgpr_workgroup_id_z 0
		.amdhsa_system_sgpr_workgroup_info 0
		.amdhsa_system_vgpr_workitem_id 1
		.amdhsa_next_free_vgpr 94
		.amdhsa_next_free_sgpr 40
		.amdhsa_reserve_vcc 1
		.amdhsa_float_round_mode_32 0
		.amdhsa_float_round_mode_16_64 0
		.amdhsa_float_denorm_mode_32 3
		.amdhsa_float_denorm_mode_16_64 3
		.amdhsa_dx10_clamp 1
		.amdhsa_ieee_mode 1
		.amdhsa_fp16_overflow 0
		.amdhsa_workgroup_processor_mode 1
		.amdhsa_memory_ordered 1
		.amdhsa_forward_progress 0
		.amdhsa_shared_vgpr_count 0
		.amdhsa_exception_fp_ieee_invalid_op 0
		.amdhsa_exception_fp_denorm_src 0
		.amdhsa_exception_fp_ieee_div_zero 0
		.amdhsa_exception_fp_ieee_overflow 0
		.amdhsa_exception_fp_ieee_underflow 0
		.amdhsa_exception_fp_ieee_inexact 0
		.amdhsa_exception_int_div_zero 0
	.end_amdhsa_kernel
	.section	.text._ZN2at6native12_GLOBAL__N_135GammaBetaBackwardCUDAKernelTemplateIffLj32ELj16ELj128ELb0ELb0ELb0EEEvllPKT_S5_PKT0_S8_PS3_S9_,"axG",@progbits,_ZN2at6native12_GLOBAL__N_135GammaBetaBackwardCUDAKernelTemplateIffLj32ELj16ELj128ELb0ELb0ELb0EEEvllPKT_S5_PKT0_S8_PS3_S9_,comdat
.Lfunc_end67:
	.size	_ZN2at6native12_GLOBAL__N_135GammaBetaBackwardCUDAKernelTemplateIffLj32ELj16ELj128ELb0ELb0ELb0EEEvllPKT_S5_PKT0_S8_PS3_S9_, .Lfunc_end67-_ZN2at6native12_GLOBAL__N_135GammaBetaBackwardCUDAKernelTemplateIffLj32ELj16ELj128ELb0ELb0ELb0EEEvllPKT_S5_PKT0_S8_PS3_S9_
                                        ; -- End function
	.section	.AMDGPU.csdata,"",@progbits
; Kernel info:
; codeLenInByte = 8220
; NumSgprs: 42
; NumVgprs: 94
; ScratchSize: 0
; MemoryBound: 0
; FloatMode: 240
; IeeeMode: 1
; LDSByteSize: 0 bytes/workgroup (compile time only)
; SGPRBlocks: 5
; VGPRBlocks: 11
; NumSGPRsForWavesPerEU: 42
; NumVGPRsForWavesPerEU: 94
; Occupancy: 16
; WaveLimiterHint : 0
; COMPUTE_PGM_RSRC2:SCRATCH_EN: 0
; COMPUTE_PGM_RSRC2:USER_SGPR: 14
; COMPUTE_PGM_RSRC2:TRAP_HANDLER: 0
; COMPUTE_PGM_RSRC2:TGID_X_EN: 1
; COMPUTE_PGM_RSRC2:TGID_Y_EN: 1
; COMPUTE_PGM_RSRC2:TGID_Z_EN: 0
; COMPUTE_PGM_RSRC2:TIDIG_COMP_CNT: 1
	.section	.text._ZN2at6native12_GLOBAL__N_135GammaBetaBackwardCUDAKernelTemplateIffLj32ELj32ELj256ELb0ELb1ELb0EEEvllPKT_S5_PKT0_S8_PS3_S9_,"axG",@progbits,_ZN2at6native12_GLOBAL__N_135GammaBetaBackwardCUDAKernelTemplateIffLj32ELj32ELj256ELb0ELb1ELb0EEEvllPKT_S5_PKT0_S8_PS3_S9_,comdat
	.globl	_ZN2at6native12_GLOBAL__N_135GammaBetaBackwardCUDAKernelTemplateIffLj32ELj32ELj256ELb0ELb1ELb0EEEvllPKT_S5_PKT0_S8_PS3_S9_ ; -- Begin function _ZN2at6native12_GLOBAL__N_135GammaBetaBackwardCUDAKernelTemplateIffLj32ELj32ELj256ELb0ELb1ELb0EEEvllPKT_S5_PKT0_S8_PS3_S9_
	.p2align	8
	.type	_ZN2at6native12_GLOBAL__N_135GammaBetaBackwardCUDAKernelTemplateIffLj32ELj32ELj256ELb0ELb1ELb0EEEvllPKT_S5_PKT0_S8_PS3_S9_,@function
_ZN2at6native12_GLOBAL__N_135GammaBetaBackwardCUDAKernelTemplateIffLj32ELj32ELj256ELb0ELb1ELb0EEEvllPKT_S5_PKT0_S8_PS3_S9_: ; @_ZN2at6native12_GLOBAL__N_135GammaBetaBackwardCUDAKernelTemplateIffLj32ELj32ELj256ELb0ELb1ELb0EEEvllPKT_S5_PKT0_S8_PS3_S9_
; %bb.0:
	s_load_b128 s[20:23], s[0:1], 0x0
	s_mov_b32 s3, 0
	s_lshl_b32 s2, s15, 8
	v_bfe_u32 v7, v0, 10, 10
	s_waitcnt lgkmcnt(0)
	v_cmp_lt_i64_e64 s4, s[2:3], s[20:21]
	s_delay_alu instid0(VALU_DEP_1)
	s_and_b32 vcc_lo, exec_lo, s4
	s_cbranch_vccnz .LBB68_2
; %bb.1:
	v_bfe_u32 v1, v0, 10, 10
	s_mov_b32 s5, 0
	s_mov_b32 s4, s3
	s_branch .LBB68_3
.LBB68_2:
	s_mov_b32 s4, -1
                                        ; implicit-def: $sgpr5
                                        ; implicit-def: $vgpr1
.LBB68_3:
	s_load_b128 s[16:19], s[0:1], 0x30
	v_dual_mov_b32 v17, s5 :: v_dual_and_b32 v6, 0x3ff, v0
	v_mov_b32_e32 v0, s5
	s_and_not1_b32 vcc_lo, exec_lo, s4
	s_cbranch_vccnz .LBB68_11
; %bb.4:
	s_clause 0x2
	s_load_b32 s12, s[0:1], 0x4c
	s_load_b32 s15, s[0:1], 0x44
	s_load_b256 s[4:11], s[0:1], 0x10
	v_dual_mov_b32 v1, 0 :: v_dual_lshlrev_b32 v2, 3, v7
	v_lshl_add_u32 v0, s14, 5, v6
	v_dual_mov_b32 v8, 4 :: v_dual_mov_b32 v9, 8
	s_delay_alu instid0(VALU_DEP_3) | instskip(NEXT) | instid1(VALU_DEP_1)
	v_add_co_u32 v2, s0, v2, s2
	v_add_co_ci_u32_e64 v3, null, 0, 0, s0
	v_dual_mov_b32 v10, 12 :: v_dual_mov_b32 v11, 16
	s_delay_alu instid0(VALU_DEP_3) | instskip(NEXT) | instid1(VALU_DEP_3)
	v_mul_lo_u32 v17, s23, v2
	v_mul_lo_u32 v18, s22, v3
	v_mad_u64_u32 v[4:5], null, s22, v2, 0
	v_dual_mov_b32 v12, 20 :: v_dual_mov_b32 v13, 24
	s_waitcnt lgkmcnt(0)
	s_and_b32 s0, s12, 0xffff
	s_lshl_b32 s12, s15, 8
	v_mad_u32_u24 v15, v7, s0, v6
	v_mov_b32_e32 v14, 28
	s_delay_alu instid0(VALU_DEP_4)
	v_add3_u32 v5, v5, v18, v17
	s_mul_i32 s1, s23, s12
	s_mul_hi_u32 s15, s22, s12
	v_and_b32_e32 v19, 31, v15
	v_lshlrev_b64 v[15:16], 2, v[0:1]
	v_lshlrev_b64 v[17:18], 2, v[4:5]
	v_mov_b32_e32 v0, 0
	s_mov_b32 s13, 0
	v_add_co_u32 v2, vcc_lo, v2, v19
	v_add_co_ci_u32_e32 v3, vcc_lo, 0, v3, vcc_lo
	s_delay_alu instid0(VALU_DEP_4) | instskip(SKIP_1) | instid1(VALU_DEP_3)
	v_add_co_u32 v15, vcc_lo, v17, v15
	v_mov_b32_e32 v17, 0
	v_lshlrev_b64 v[4:5], 2, v[2:3]
	v_cmp_gt_u32_e64 s0, 8, v19
	v_add_co_ci_u32_e32 v16, vcc_lo, v18, v16, vcc_lo
	s_add_i32 s27, s15, s1
	s_mul_i32 s26, s22, s12
	s_lshl_b64 s[24:25], s[12:13], 2
	s_lshl_b64 s[26:27], s[26:27], 2
	;; [unrolled: 1-line block ×3, first 2 shown]
	s_branch .LBB68_7
.LBB68_5:                               ;   in Loop: Header=BB68_7 Depth=1
	s_or_b32 exec_lo, exec_lo, s13
.LBB68_6:                               ;   in Loop: Header=BB68_7 Depth=1
	s_delay_alu instid0(SALU_CYCLE_1)
	s_or_b32 exec_lo, exec_lo, s1
	v_add_co_u32 v20, vcc_lo, s4, v15
	v_add_co_ci_u32_e32 v21, vcc_lo, s5, v16, vcc_lo
	v_add_co_u32 v22, vcc_lo, s6, v15
	v_add_co_ci_u32_e32 v23, vcc_lo, s7, v16, vcc_lo
	global_load_b32 v30, v[20:21], off
	v_add_co_u32 v20, vcc_lo, v20, s22
	v_add_co_ci_u32_e32 v21, vcc_lo, s23, v21, vcc_lo
	v_add_co_u32 v24, vcc_lo, v22, s22
	v_add_co_ci_u32_e32 v25, vcc_lo, s23, v23, vcc_lo
	s_delay_alu instid0(VALU_DEP_4) | instskip(NEXT) | instid1(VALU_DEP_4)
	v_add_co_u32 v26, vcc_lo, v20, s22
	v_add_co_ci_u32_e32 v27, vcc_lo, s23, v21, vcc_lo
	s_delay_alu instid0(VALU_DEP_4) | instskip(NEXT) | instid1(VALU_DEP_4)
	v_add_co_u32 v28, vcc_lo, v24, s22
	v_add_co_ci_u32_e32 v29, vcc_lo, s23, v25, vcc_lo
	global_load_b32 v31, v[22:23], off
	global_load_b32 v32, v[20:21], off
	;; [unrolled: 1-line block ×5, first 2 shown]
	v_add_co_u32 v20, vcc_lo, v28, s22
	v_add_co_ci_u32_e32 v21, vcc_lo, s23, v29, vcc_lo
	v_add_co_u32 v22, vcc_lo, v26, s22
	v_add_co_ci_u32_e32 v23, vcc_lo, s23, v27, vcc_lo
	global_load_b32 v36, v[20:21], off
	v_add_co_u32 v24, vcc_lo, v22, s22
	v_add_co_ci_u32_e32 v25, vcc_lo, s23, v23, vcc_lo
	v_add_co_u32 v20, vcc_lo, v20, s22
	v_add_co_ci_u32_e32 v21, vcc_lo, s23, v21, vcc_lo
	s_delay_alu instid0(VALU_DEP_4) | instskip(NEXT) | instid1(VALU_DEP_4)
	v_add_co_u32 v26, vcc_lo, v24, s22
	v_add_co_ci_u32_e32 v27, vcc_lo, s23, v25, vcc_lo
	s_delay_alu instid0(VALU_DEP_4) | instskip(NEXT) | instid1(VALU_DEP_4)
	v_add_co_u32 v28, vcc_lo, v20, s22
	v_add_co_ci_u32_e32 v29, vcc_lo, s23, v21, vcc_lo
	s_clause 0x1
	global_load_b32 v37, v[22:23], off
	global_load_b32 v24, v[24:25], off
	;; [unrolled: 1-line block ×5, first 2 shown]
	v_add_co_u32 v20, vcc_lo, v28, s22
	v_add_co_ci_u32_e32 v21, vcc_lo, s23, v29, vcc_lo
	v_add_co_u32 v22, vcc_lo, v26, s22
	v_add_co_ci_u32_e32 v23, vcc_lo, s23, v27, vcc_lo
	global_load_b32 v26, v[20:21], off
	v_add_co_u32 v20, vcc_lo, v20, s22
	v_add_co_ci_u32_e32 v21, vcc_lo, s23, v21, vcc_lo
	global_load_b32 v27, v[22:23], off
	global_load_b32 v28, v[20:21], off
	v_add_co_u32 v20, vcc_lo, v22, s22
	v_add_co_ci_u32_e32 v21, vcc_lo, s23, v23, vcc_lo
	s_waitcnt vmcnt(16)
	ds_bpermute_b32 v22, v8, v19
	s_waitcnt vmcnt(15)
	ds_bpermute_b32 v23, v1, v18
	ds_bpermute_b32 v29, v9, v19
	global_load_b32 v20, v[20:21], off
	ds_bpermute_b32 v21, v1, v19
	ds_bpermute_b32 v40, v8, v18
	;; [unrolled: 1-line block ×5, first 2 shown]
	v_add_co_u32 v4, vcc_lo, v4, s24
	s_add_u32 s2, s2, s12
	v_add_co_ci_u32_e32 v5, vcc_lo, s25, v5, vcc_lo
	s_addc_u32 s3, s3, 0
	v_add_co_u32 v2, vcc_lo, v2, s12
	v_add_co_ci_u32_e32 v3, vcc_lo, 0, v3, vcc_lo
	v_cmp_lt_i64_e64 s1, s[2:3], s[20:21]
	v_add_co_u32 v15, vcc_lo, v15, s26
	v_add_co_ci_u32_e32 v16, vcc_lo, s27, v16, vcc_lo
	s_delay_alu instid0(VALU_DEP_3)
	s_and_b32 vcc_lo, exec_lo, s1
	s_waitcnt vmcnt(15)
	v_add_f32_e32 v17, v17, v30
	s_waitcnt vmcnt(14) lgkmcnt(4)
	v_sub_f32_e32 v21, v31, v21
	ds_bpermute_b32 v31, v9, v18
	s_waitcnt vmcnt(12)
	v_sub_f32_e32 v22, v33, v22
	ds_bpermute_b32 v33, v10, v18
	v_mul_f32_e32 v21, v30, v21
	ds_bpermute_b32 v30, v12, v18
	v_dual_fmac_f32 v0, v21, v23 :: v_dual_mul_f32 v21, v32, v22
	s_waitcnt vmcnt(10)
	v_sub_f32_e32 v22, v35, v29
	ds_bpermute_b32 v23, v11, v18
	ds_bpermute_b32 v29, v13, v19
	v_add_f32_e32 v17, v17, v32
	s_waitcnt lgkmcnt(8)
	v_dual_fmac_f32 v0, v21, v40 :: v_dual_mul_f32 v21, v34, v22
	s_waitcnt vmcnt(9) lgkmcnt(7)
	v_sub_f32_e32 v22, v36, v41
	ds_bpermute_b32 v19, v14, v19
	v_add_f32_e32 v17, v17, v34
	s_waitcnt lgkmcnt(5)
	v_fmac_f32_e32 v0, v21, v31
	s_waitcnt vmcnt(8)
	v_mul_f32_e32 v21, v37, v22
	s_waitcnt vmcnt(6)
	v_sub_f32_e32 v22, v25, v42
	ds_bpermute_b32 v25, v13, v18
	ds_bpermute_b32 v18, v14, v18
	s_waitcnt lgkmcnt(6)
	v_dual_fmac_f32 v0, v21, v33 :: v_dual_mul_f32 v21, v24, v22
	s_waitcnt vmcnt(4)
	v_sub_f32_e32 v22, v39, v43
	s_waitcnt lgkmcnt(4)
	s_delay_alu instid0(VALU_DEP_1) | instskip(SKIP_2) | instid1(VALU_DEP_2)
	v_dual_fmac_f32 v0, v21, v23 :: v_dual_mul_f32 v21, v38, v22
	s_waitcnt vmcnt(3) lgkmcnt(3)
	v_sub_f32_e32 v22, v26, v29
	v_fmac_f32_e32 v0, v21, v30
	s_waitcnt vmcnt(2)
	s_delay_alu instid0(VALU_DEP_2) | instskip(SKIP_1) | instid1(VALU_DEP_1)
	v_mul_f32_e32 v21, v27, v22
	s_waitcnt vmcnt(1) lgkmcnt(1)
	v_dual_sub_f32 v19, v28, v19 :: v_dual_fmac_f32 v0, v21, v25
	s_waitcnt vmcnt(0)
	s_delay_alu instid0(VALU_DEP_1) | instskip(SKIP_1) | instid1(VALU_DEP_1)
	v_mul_f32_e32 v19, v20, v19
	s_waitcnt lgkmcnt(0)
	v_dual_add_f32 v17, v17, v37 :: v_dual_fmac_f32 v0, v19, v18
	s_delay_alu instid0(VALU_DEP_1) | instskip(NEXT) | instid1(VALU_DEP_1)
	v_add_f32_e32 v17, v17, v24
	v_add_f32_e32 v17, v17, v38
	s_delay_alu instid0(VALU_DEP_1) | instskip(NEXT) | instid1(VALU_DEP_1)
	v_add_f32_e32 v17, v17, v27
	v_add_f32_e32 v17, v17, v20
	s_cbranch_vccz .LBB68_10
.LBB68_7:                               ; =>This Inner Loop Header: Depth=1
	v_dual_mov_b32 v18, 0 :: v_dual_mov_b32 v19, 0
	s_and_saveexec_b32 s1, s0
	s_cbranch_execz .LBB68_6
; %bb.8:                                ;   in Loop: Header=BB68_7 Depth=1
	v_dual_mov_b32 v19, 0 :: v_dual_mov_b32 v18, 0
	s_mov_b32 s13, exec_lo
	v_cmpx_gt_i64_e64 s[20:21], v[2:3]
	s_cbranch_execz .LBB68_5
; %bb.9:                                ;   in Loop: Header=BB68_7 Depth=1
	v_add_co_u32 v18, vcc_lo, s8, v4
	v_add_co_ci_u32_e32 v19, vcc_lo, s9, v5, vcc_lo
	v_add_co_u32 v20, vcc_lo, s10, v4
	v_add_co_ci_u32_e32 v21, vcc_lo, s11, v5, vcc_lo
	global_load_b32 v19, v[18:19], off
	global_load_b32 v18, v[20:21], off
	s_branch .LBB68_5
.LBB68_10:
	v_mov_b32_e32 v1, v7
.LBB68_11:
	s_delay_alu instid0(VALU_DEP_2) | instskip(NEXT) | instid1(VALU_DEP_2)
	v_lshrrev_b32_e32 v2, 5, v6
	v_mad_u32_u24 v3, v1, 33, v6
	s_mov_b32 s0, exec_lo
	s_delay_alu instid0(VALU_DEP_2) | instskip(NEXT) | instid1(VALU_DEP_2)
	v_add_nc_u32_e32 v1, v2, v1
	v_lshl_add_u32 v2, v3, 2, 0
	ds_store_b32 v2, v0
	ds_store_b32 v2, v17 offset:4224
	s_waitcnt lgkmcnt(0)
	s_barrier
	buffer_gl0_inv
	v_cmpx_gt_u32_e32 32, v1
	s_cbranch_execz .LBB68_17
; %bb.12:
	v_mbcnt_lo_u32_b32 v2, -1, 0
	s_delay_alu instid0(VALU_DEP_1) | instskip(SKIP_1) | instid1(VALU_DEP_2)
	v_xor_b32_e32 v4, 16, v2
	v_xor_b32_e32 v7, 8, v2
	v_cmp_gt_i32_e32 vcc_lo, 32, v4
	v_cndmask_b32_e32 v4, v2, v4, vcc_lo
	s_delay_alu instid0(VALU_DEP_3) | instskip(SKIP_1) | instid1(VALU_DEP_1)
	v_cmp_gt_i32_e32 vcc_lo, 32, v7
	v_dual_cndmask_b32 v7, v2, v7 :: v_dual_and_b32 v0, 31, v6
	v_mad_u32_u24 v0, v0, 33, v1
	s_delay_alu instid0(VALU_DEP_2) | instskip(NEXT) | instid1(VALU_DEP_2)
	v_lshlrev_b32_e32 v7, 2, v7
	v_lshl_add_u32 v0, v0, 2, 0
	ds_load_b32 v3, v0
	ds_load_b32 v0, v0 offset:4224
	v_lshlrev_b32_e32 v4, 2, v4
	s_waitcnt lgkmcnt(1)
	ds_bpermute_b32 v5, v4, v3
	s_waitcnt lgkmcnt(0)
	v_add_f32_e32 v3, v3, v5
	ds_bpermute_b32 v4, v4, v0
	s_waitcnt lgkmcnt(0)
	v_add_f32_e32 v0, v0, v4
	ds_bpermute_b32 v4, v7, v3
	ds_bpermute_b32 v5, v7, v0
	v_xor_b32_e32 v7, 4, v2
	s_delay_alu instid0(VALU_DEP_1) | instskip(SKIP_2) | instid1(VALU_DEP_1)
	v_cmp_gt_i32_e32 vcc_lo, 32, v7
	v_cndmask_b32_e32 v7, v2, v7, vcc_lo
	s_waitcnt lgkmcnt(0)
	v_dual_add_f32 v0, v0, v5 :: v_dual_lshlrev_b32 v7, 2, v7
	ds_bpermute_b32 v5, v7, v0
	s_waitcnt lgkmcnt(0)
	v_dual_add_f32 v3, v3, v4 :: v_dual_add_f32 v0, v0, v5
	ds_bpermute_b32 v4, v7, v3
	v_xor_b32_e32 v7, 2, v2
	s_delay_alu instid0(VALU_DEP_1) | instskip(SKIP_3) | instid1(VALU_DEP_1)
	v_cmp_gt_i32_e32 vcc_lo, 32, v7
	s_waitcnt lgkmcnt(0)
	v_add_f32_e32 v3, v3, v4
	v_cndmask_b32_e32 v7, v2, v7, vcc_lo
	v_lshlrev_b32_e32 v7, 2, v7
	ds_bpermute_b32 v4, v7, v3
	ds_bpermute_b32 v5, v7, v0
	v_xor_b32_e32 v7, 1, v2
	s_delay_alu instid0(VALU_DEP_1) | instskip(SKIP_3) | instid1(VALU_DEP_2)
	v_cmp_gt_i32_e32 vcc_lo, 32, v7
	v_cndmask_b32_e32 v2, v2, v7, vcc_lo
	v_cmp_eq_u32_e32 vcc_lo, 0, v6
	s_waitcnt lgkmcnt(1)
	v_dual_add_f32 v4, v3, v4 :: v_dual_lshlrev_b32 v7, 2, v2
	s_waitcnt lgkmcnt(0)
	v_add_f32_e32 v2, v0, v5
	ds_bpermute_b32 v5, v7, v4
	ds_bpermute_b32 v3, v7, v2
	s_and_b32 exec_lo, exec_lo, vcc_lo
	s_cbranch_execz .LBB68_17
; %bb.13:
	s_mov_b32 s15, 0
	s_delay_alu instid0(SALU_CYCLE_1) | instskip(SKIP_3) | instid1(VALU_DEP_1)
	s_lshl_b64 s[0:1], s[14:15], 5
	s_cmp_eq_u64 s[16:17], 0
	v_or_b32_e32 v0, s0, v1
	v_mov_b32_e32 v1, s1
	v_lshlrev_b64 v[0:1], 2, v[0:1]
	s_cbranch_scc1 .LBB68_15
; %bb.14:
	s_waitcnt lgkmcnt(1)
	v_add_f32_e32 v6, v4, v5
	s_delay_alu instid0(VALU_DEP_2) | instskip(NEXT) | instid1(VALU_DEP_3)
	v_add_co_u32 v4, vcc_lo, s16, v0
	v_add_co_ci_u32_e32 v5, vcc_lo, s17, v1, vcc_lo
	global_store_b32 v[4:5], v6, off
.LBB68_15:
	s_cmp_eq_u64 s[18:19], 0
	s_cbranch_scc1 .LBB68_17
; %bb.16:
	s_delay_alu instid0(VALU_DEP_1)
	v_add_co_u32 v0, vcc_lo, s18, v0
	s_waitcnt lgkmcnt(0)
	v_add_f32_e32 v2, v2, v3
	v_add_co_ci_u32_e32 v1, vcc_lo, s19, v1, vcc_lo
	global_store_b32 v[0:1], v2, off
.LBB68_17:
	s_nop 0
	s_sendmsg sendmsg(MSG_DEALLOC_VGPRS)
	s_endpgm
	.section	.rodata,"a",@progbits
	.p2align	6, 0x0
	.amdhsa_kernel _ZN2at6native12_GLOBAL__N_135GammaBetaBackwardCUDAKernelTemplateIffLj32ELj32ELj256ELb0ELb1ELb0EEEvllPKT_S5_PKT0_S8_PS3_S9_
		.amdhsa_group_segment_fixed_size 0
		.amdhsa_private_segment_fixed_size 0
		.amdhsa_kernarg_size 320
		.amdhsa_user_sgpr_count 14
		.amdhsa_user_sgpr_dispatch_ptr 0
		.amdhsa_user_sgpr_queue_ptr 0
		.amdhsa_user_sgpr_kernarg_segment_ptr 1
		.amdhsa_user_sgpr_dispatch_id 0
		.amdhsa_user_sgpr_private_segment_size 0
		.amdhsa_wavefront_size32 1
		.amdhsa_uses_dynamic_stack 0
		.amdhsa_enable_private_segment 0
		.amdhsa_system_sgpr_workgroup_id_x 1
		.amdhsa_system_sgpr_workgroup_id_y 1
		.amdhsa_system_sgpr_workgroup_id_z 0
		.amdhsa_system_sgpr_workgroup_info 0
		.amdhsa_system_vgpr_workitem_id 1
		.amdhsa_next_free_vgpr 44
		.amdhsa_next_free_sgpr 28
		.amdhsa_reserve_vcc 1
		.amdhsa_float_round_mode_32 0
		.amdhsa_float_round_mode_16_64 0
		.amdhsa_float_denorm_mode_32 3
		.amdhsa_float_denorm_mode_16_64 3
		.amdhsa_dx10_clamp 1
		.amdhsa_ieee_mode 1
		.amdhsa_fp16_overflow 0
		.amdhsa_workgroup_processor_mode 1
		.amdhsa_memory_ordered 1
		.amdhsa_forward_progress 0
		.amdhsa_shared_vgpr_count 0
		.amdhsa_exception_fp_ieee_invalid_op 0
		.amdhsa_exception_fp_denorm_src 0
		.amdhsa_exception_fp_ieee_div_zero 0
		.amdhsa_exception_fp_ieee_overflow 0
		.amdhsa_exception_fp_ieee_underflow 0
		.amdhsa_exception_fp_ieee_inexact 0
		.amdhsa_exception_int_div_zero 0
	.end_amdhsa_kernel
	.section	.text._ZN2at6native12_GLOBAL__N_135GammaBetaBackwardCUDAKernelTemplateIffLj32ELj32ELj256ELb0ELb1ELb0EEEvllPKT_S5_PKT0_S8_PS3_S9_,"axG",@progbits,_ZN2at6native12_GLOBAL__N_135GammaBetaBackwardCUDAKernelTemplateIffLj32ELj32ELj256ELb0ELb1ELb0EEEvllPKT_S5_PKT0_S8_PS3_S9_,comdat
.Lfunc_end68:
	.size	_ZN2at6native12_GLOBAL__N_135GammaBetaBackwardCUDAKernelTemplateIffLj32ELj32ELj256ELb0ELb1ELb0EEEvllPKT_S5_PKT0_S8_PS3_S9_, .Lfunc_end68-_ZN2at6native12_GLOBAL__N_135GammaBetaBackwardCUDAKernelTemplateIffLj32ELj32ELj256ELb0ELb1ELb0EEEvllPKT_S5_PKT0_S8_PS3_S9_
                                        ; -- End function
	.section	.AMDGPU.csdata,"",@progbits
; Kernel info:
; codeLenInByte = 1724
; NumSgprs: 30
; NumVgprs: 44
; ScratchSize: 0
; MemoryBound: 0
; FloatMode: 240
; IeeeMode: 1
; LDSByteSize: 0 bytes/workgroup (compile time only)
; SGPRBlocks: 3
; VGPRBlocks: 5
; NumSGPRsForWavesPerEU: 30
; NumVGPRsForWavesPerEU: 44
; Occupancy: 16
; WaveLimiterHint : 0
; COMPUTE_PGM_RSRC2:SCRATCH_EN: 0
; COMPUTE_PGM_RSRC2:USER_SGPR: 14
; COMPUTE_PGM_RSRC2:TRAP_HANDLER: 0
; COMPUTE_PGM_RSRC2:TGID_X_EN: 1
; COMPUTE_PGM_RSRC2:TGID_Y_EN: 1
; COMPUTE_PGM_RSRC2:TGID_Z_EN: 0
; COMPUTE_PGM_RSRC2:TIDIG_COMP_CNT: 1
	.section	.text._ZN2at6native12_GLOBAL__N_135GammaBetaBackwardCUDAKernelTemplateIffLj32ELj32ELj256ELb0ELb0ELb0EEEvllPKT_S5_PKT0_S8_PS3_S9_,"axG",@progbits,_ZN2at6native12_GLOBAL__N_135GammaBetaBackwardCUDAKernelTemplateIffLj32ELj32ELj256ELb0ELb0ELb0EEEvllPKT_S5_PKT0_S8_PS3_S9_,comdat
	.globl	_ZN2at6native12_GLOBAL__N_135GammaBetaBackwardCUDAKernelTemplateIffLj32ELj32ELj256ELb0ELb0ELb0EEEvllPKT_S5_PKT0_S8_PS3_S9_ ; -- Begin function _ZN2at6native12_GLOBAL__N_135GammaBetaBackwardCUDAKernelTemplateIffLj32ELj32ELj256ELb0ELb0ELb0EEEvllPKT_S5_PKT0_S8_PS3_S9_
	.p2align	8
	.type	_ZN2at6native12_GLOBAL__N_135GammaBetaBackwardCUDAKernelTemplateIffLj32ELj32ELj256ELb0ELb0ELb0EEEvllPKT_S5_PKT0_S8_PS3_S9_,@function
_ZN2at6native12_GLOBAL__N_135GammaBetaBackwardCUDAKernelTemplateIffLj32ELj32ELj256ELb0ELb0ELb0EEEvllPKT_S5_PKT0_S8_PS3_S9_: ; @_ZN2at6native12_GLOBAL__N_135GammaBetaBackwardCUDAKernelTemplateIffLj32ELj32ELj256ELb0ELb0ELb0EEEvllPKT_S5_PKT0_S8_PS3_S9_
; %bb.0:
	s_clause 0x1
	s_load_b256 s[4:11], s[0:1], 0x0
	s_load_b128 s[24:27], s[0:1], 0x20
	s_mov_b32 s29, 0
	s_lshl_b32 s12, s15, 8
	s_mov_b32 s13, s29
	s_lshl_b32 s33, s14, 5
	s_delay_alu instid0(SALU_CYCLE_1) | instskip(SKIP_3) | instid1(VALU_DEP_2)
	s_or_b32 s28, s33, 31
	s_waitcnt lgkmcnt(0)
	v_cmp_lt_i64_e64 s15, s[12:13], s[4:5]
	v_cmp_ge_i64_e64 s2, s[28:29], s[6:7]
	v_cndmask_b32_e64 v1, 0, 1, s15
	s_delay_alu instid0(VALU_DEP_2) | instskip(NEXT) | instid1(VALU_DEP_1)
	s_and_b32 vcc_lo, exec_lo, s2
	v_cmp_ne_u32_e64 s2, 1, v1
	s_cbranch_vccz .LBB69_49
; %bb.1:
	v_mov_b32_e32 v49, 0
	v_mov_b32_e32 v53, 0
	s_delay_alu instid0(VALU_DEP_3)
	s_and_b32 vcc_lo, exec_lo, s2
	s_cbranch_vccnz .LBB69_50
; %bb.2:
	v_bfe_u32 v27, v0, 10, 10
	s_load_b32 s3, s[0:1], 0x44
	v_dual_mov_b32 v2, 0 :: v_dual_and_b32 v29, 0x3ff, v0
	s_add_u32 s30, s0, 64
	s_delay_alu instid0(VALU_DEP_2) | instskip(NEXT) | instid1(VALU_DEP_2)
	v_dual_mov_b32 v49, 0 :: v_dual_lshlrev_b32 v28, 3, v27
	v_dual_mov_b32 v64, 0 :: v_dual_add_nc_u32 v1, s33, v29
	s_addc_u32 s31, s1, 0
	s_delay_alu instid0(VALU_DEP_2) | instskip(NEXT) | instid1(VALU_DEP_1)
	v_add_co_u32 v9, s2, v28, s12
	v_add_co_ci_u32_e64 v10, null, 0, 0, s2
	s_delay_alu instid0(VALU_DEP_3) | instskip(NEXT) | instid1(VALU_DEP_3)
	v_cmp_gt_i64_e64 s2, s[6:7], v[1:2]
	v_add_co_u32 v5, vcc_lo, v9, 7
	s_delay_alu instid0(VALU_DEP_3) | instskip(SKIP_1) | instid1(VALU_DEP_3)
	v_add_co_ci_u32_e32 v3, vcc_lo, 0, v10, vcc_lo
	v_add_co_u32 v8, vcc_lo, v9, 6
	v_mul_lo_u32 v6, s7, v5
	s_delay_alu instid0(VALU_DEP_3)
	v_mul_lo_u32 v7, s6, v3
	v_mad_u64_u32 v[3:4], null, s6, v5, 0
	v_add_co_ci_u32_e32 v5, vcc_lo, 0, v10, vcc_lo
	v_lshlrev_b64 v[25:26], 2, v[1:2]
	v_mul_lo_u32 v1, s7, v8
	s_waitcnt lgkmcnt(0)
	s_lshl_b32 s28, s3, 8
	s_mov_b32 s16, 0
	s_delay_alu instid0(VALU_DEP_4) | instskip(SKIP_3) | instid1(VALU_DEP_3)
	v_add3_u32 v4, v4, v7, v6
	v_mul_lo_u32 v7, s6, v5
	v_mad_u64_u32 v[5:6], null, s6, v8, 0
	s_mul_i32 s3, s7, s28
	v_lshlrev_b64 v[3:4], 2, v[3:4]
	s_mul_hi_u32 s17, s6, s28
	s_mul_i32 s18, s6, s28
	s_add_i32 s19, s17, s3
	s_mov_b64 s[38:39], s[12:13]
	s_delay_alu instid0(VALU_DEP_2) | instskip(SKIP_4) | instid1(VALU_DEP_1)
	v_add3_u32 v6, v6, v7, v1
	v_add_co_u32 v30, vcc_lo, s8, v3
	v_add_co_ci_u32_e32 v31, vcc_lo, s9, v4, vcc_lo
	v_add_co_u32 v1, vcc_lo, v9, 5
	v_add_co_u32 v32, s3, s10, v3
	v_add_co_ci_u32_e64 v33, s3, s11, v4, s3
	v_lshlrev_b64 v[3:4], 2, v[5:6]
	v_add_co_ci_u32_e32 v5, vcc_lo, 0, v10, vcc_lo
	v_add_co_u32 v12, vcc_lo, v9, 4
	v_mul_lo_u32 v11, s7, v1
	s_delay_alu instid0(VALU_DEP_3) | instskip(SKIP_4) | instid1(VALU_DEP_3)
	v_mul_lo_u32 v13, s6, v5
	v_mad_u64_u32 v[5:6], null, s6, v1, 0
	v_add_co_ci_u32_e32 v7, vcc_lo, 0, v10, vcc_lo
	v_mul_lo_u32 v1, s7, v12
	v_add_co_u32 v34, vcc_lo, s8, v3
	v_mul_lo_u32 v14, s6, v7
	v_mad_u64_u32 v[7:8], null, s6, v12, 0
	v_add3_u32 v6, v6, v13, v11
	v_add_co_ci_u32_e32 v35, vcc_lo, s9, v4, vcc_lo
	v_add_co_u32 v36, vcc_lo, s10, v3
	v_add_co_ci_u32_e32 v37, vcc_lo, s11, v4, vcc_lo
	s_delay_alu instid0(VALU_DEP_4) | instskip(SKIP_3) | instid1(VALU_DEP_4)
	v_lshlrev_b64 v[3:4], 2, v[5:6]
	v_add3_u32 v8, v8, v14, v1
	v_add_co_u32 v1, vcc_lo, v9, 3
	v_add_co_ci_u32_e32 v11, vcc_lo, 0, v10, vcc_lo
	v_add_co_u32 v38, vcc_lo, s8, v3
	s_delay_alu instid0(VALU_DEP_4)
	v_lshlrev_b64 v[5:6], 2, v[7:8]
	v_add_co_ci_u32_e32 v39, vcc_lo, s9, v4, vcc_lo
	v_mul_lo_u32 v12, s7, v1
	v_mul_lo_u32 v11, s6, v11
	v_mad_u64_u32 v[7:8], null, s6, v1, 0
	v_add_co_u32 v40, vcc_lo, s10, v3
	v_add_co_ci_u32_e32 v41, vcc_lo, s11, v4, vcc_lo
	v_add_co_u32 v42, vcc_lo, s8, v5
	v_add_co_ci_u32_e32 v43, vcc_lo, s9, v6, vcc_lo
	v_add_co_u32 v1, vcc_lo, v9, 2
	v_add3_u32 v8, v8, v11, v12
	v_add_co_ci_u32_e32 v11, vcc_lo, 0, v10, vcc_lo
	v_add_co_u32 v44, vcc_lo, s10, v5
	v_add_co_ci_u32_e32 v45, vcc_lo, s11, v6, vcc_lo
	v_mul_lo_u32 v12, s7, v1
	s_delay_alu instid0(VALU_DEP_4)
	v_mul_lo_u32 v11, s6, v11
	v_mad_u64_u32 v[5:6], null, s6, v1, 0
	v_lshlrev_b64 v[3:4], 2, v[7:8]
	v_mul_lo_u32 v1, s7, v9
	v_mul_lo_u32 v10, s6, v10
	v_mad_u64_u32 v[7:8], null, s6, v9, 0
	s_lshl_b64 s[34:35], s[18:19], 2
	s_delay_alu instid0(VALU_DEP_4)
	v_add_co_u32 v46, vcc_lo, s8, v3
	v_add3_u32 v6, v6, v11, v12
	v_add_co_ci_u32_e32 v47, vcc_lo, s9, v4, vcc_lo
	v_add_co_u32 v48, vcc_lo, s10, v3
	v_add3_u32 v8, v8, v10, v1
	v_add_co_ci_u32_e32 v50, vcc_lo, s11, v4, vcc_lo
	v_lshlrev_b64 v[3:4], 2, v[5:6]
	v_add_co_u32 v5, vcc_lo, v7, s6
	s_delay_alu instid0(VALU_DEP_4) | instskip(SKIP_1) | instid1(VALU_DEP_3)
	v_add_co_ci_u32_e32 v6, vcc_lo, s7, v8, vcc_lo
	s_add_u32 s36, s12, 0xff
	v_add_co_u32 v51, vcc_lo, s8, v3
	s_delay_alu instid0(VALU_DEP_2) | instskip(SKIP_3) | instid1(VALU_DEP_4)
	v_lshlrev_b64 v[5:6], 2, v[5:6]
	v_add_co_ci_u32_e32 v52, vcc_lo, s9, v4, vcc_lo
	v_add_co_u32 v54, vcc_lo, s10, v3
	v_add_co_ci_u32_e32 v55, vcc_lo, s11, v4, vcc_lo
	v_add_co_u32 v56, vcc_lo, s8, v5
	v_lshlrev_b64 v[3:4], 2, v[7:8]
	v_add_co_ci_u32_e32 v57, vcc_lo, s9, v6, vcc_lo
	v_add_co_u32 v58, vcc_lo, s10, v5
	v_add_co_ci_u32_e32 v59, vcc_lo, s11, v6, vcc_lo
	s_delay_alu instid0(VALU_DEP_4)
	v_add_co_u32 v60, vcc_lo, s8, v3
	v_add_co_ci_u32_e32 v61, vcc_lo, s9, v4, vcc_lo
	v_add_co_u32 v62, vcc_lo, s10, v3
	v_add_co_ci_u32_e32 v63, vcc_lo, s11, v4, vcc_lo
	s_addc_u32 s37, 0, 0
.LBB69_3:                               ; =>This Inner Loop Header: Depth=1
	s_delay_alu instid0(SALU_CYCLE_1) | instskip(SKIP_1) | instid1(VALU_DEP_1)
	v_cmp_ge_i64_e64 s3, s[36:37], s[4:5]
	v_add_co_u32 v65, s17, v28, s36
	v_add_co_ci_u32_e64 v66, null, 0, s37, s17
	s_delay_alu instid0(VALU_DEP_3)
	s_and_b32 vcc_lo, exec_lo, s3
	s_cbranch_vccz .LBB69_25
; %bb.4:                                ;   in Loop: Header=BB69_3 Depth=1
	s_load_b32 s3, s[30:31], 0xc
	v_dual_mov_b32 v67, 0 :: v_dual_mov_b32 v68, 0
	s_waitcnt lgkmcnt(0)
	s_and_b32 s3, s3, 0xffff
	s_delay_alu instid0(SALU_CYCLE_1) | instskip(SKIP_1) | instid1(VALU_DEP_1)
	v_mad_u32_u24 v1, v27, s3, v29
	s_mov_b32 s3, exec_lo
	v_and_b32_e32 v1, 31, v1
	s_delay_alu instid0(VALU_DEP_1)
	v_cmpx_gt_u32_e32 8, v1
	s_cbranch_execz .LBB69_8
; %bb.5:                                ;   in Loop: Header=BB69_3 Depth=1
	v_add_co_u32 v1, vcc_lo, v65, v1
	v_add_co_ci_u32_e32 v4, vcc_lo, 0, v66, vcc_lo
	v_dual_mov_b32 v67, 0 :: v_dual_mov_b32 v68, 0
	s_delay_alu instid0(VALU_DEP_3) | instskip(NEXT) | instid1(VALU_DEP_3)
	v_add_co_u32 v3, vcc_lo, 0xffffff01, v1
	v_add_co_ci_u32_e32 v4, vcc_lo, -1, v4, vcc_lo
	s_mov_b32 s17, exec_lo
	s_delay_alu instid0(VALU_DEP_1)
	v_cmpx_gt_i64_e64 s[4:5], v[3:4]
	s_cbranch_execz .LBB69_7
; %bb.6:                                ;   in Loop: Header=BB69_3 Depth=1
	v_lshlrev_b64 v[3:4], 2, v[3:4]
	s_delay_alu instid0(VALU_DEP_1) | instskip(NEXT) | instid1(VALU_DEP_2)
	v_add_co_u32 v5, vcc_lo, s24, v3
	v_add_co_ci_u32_e32 v6, vcc_lo, s25, v4, vcc_lo
	v_add_co_u32 v3, vcc_lo, s26, v3
	v_add_co_ci_u32_e32 v4, vcc_lo, s27, v4, vcc_lo
	global_load_b32 v67, v[5:6], off
	global_load_b32 v68, v[3:4], off
.LBB69_7:                               ;   in Loop: Header=BB69_3 Depth=1
	s_or_b32 exec_lo, exec_lo, s17
.LBB69_8:                               ;   in Loop: Header=BB69_3 Depth=1
	s_delay_alu instid0(SALU_CYCLE_1)
	s_or_b32 exec_lo, exec_lo, s3
	v_add_co_u32 v3, vcc_lo, 0xffffff01, v65
	v_add_co_ci_u32_e32 v4, vcc_lo, -1, v66, vcc_lo
	s_mov_b32 s22, s16
	s_mov_b32 s23, s16
	;; [unrolled: 1-line block ×7, first 2 shown]
	v_dual_mov_b32 v9, s16 :: v_dual_mov_b32 v10, s17
	v_dual_mov_b32 v15, s22 :: v_dual_mov_b32 v16, s23
	;; [unrolled: 1-line block ×4, first 2 shown]
	v_cmp_gt_i64_e32 vcc_lo, s[4:5], v[3:4]
	s_delay_alu instid0(VALU_DEP_4) | instskip(NEXT) | instid1(VALU_DEP_3)
	v_dual_mov_b32 v24, v16 :: v_dual_mov_b32 v23, v15
	v_dual_mov_b32 v21, v13 :: v_dual_mov_b32 v22, v14
	;; [unrolled: 1-line block ×4, first 2 shown]
	s_and_b32 s17, s2, vcc_lo
	s_delay_alu instid0(SALU_CYCLE_1)
	s_and_saveexec_b32 s3, s17
	s_cbranch_execz .LBB69_10
; %bb.9:                                ;   in Loop: Header=BB69_3 Depth=1
	v_add_co_u32 v3, vcc_lo, v60, v25
	v_add_co_ci_u32_e32 v4, vcc_lo, v61, v26, vcc_lo
	v_mov_b32_e32 v8, v2
	v_mov_b32_e32 v5, v2
	;; [unrolled: 1-line block ×3, first 2 shown]
	global_load_b32 v1, v[3:4], off
	v_add_co_u32 v3, vcc_lo, v62, v25
	v_add_co_ci_u32_e32 v4, vcc_lo, v63, v26, vcc_lo
	v_mov_b32_e32 v7, v2
	v_mov_b32_e32 v15, v2
	global_load_b32 v9, v[3:4], off
	v_mov_b32_e32 v3, v2
	v_mov_b32_e32 v4, v2
	s_waitcnt vmcnt(1)
	v_dual_mov_b32 v11, v2 :: v_dual_mov_b32 v24, v8
	v_dual_mov_b32 v10, v2 :: v_dual_mov_b32 v23, v7
	;; [unrolled: 1-line block ×5, first 2 shown]
	v_mov_b32_e32 v16, v2
	v_mov_b32_e32 v22, v6
	v_dual_mov_b32 v18, v2 :: v_dual_mov_b32 v17, v1
.LBB69_10:                              ;   in Loop: Header=BB69_3 Depth=1
	s_or_b32 exec_lo, exec_lo, s3
	v_add_co_u32 v3, vcc_lo, 0xffffff02, v65
	v_add_co_ci_u32_e32 v4, vcc_lo, -1, v66, vcc_lo
	s_delay_alu instid0(VALU_DEP_1) | instskip(SKIP_1) | instid1(SALU_CYCLE_1)
	v_cmp_gt_i64_e32 vcc_lo, s[4:5], v[3:4]
	s_and_b32 s17, s2, vcc_lo
	s_and_saveexec_b32 s3, s17
	s_cbranch_execz .LBB69_12
; %bb.11:                               ;   in Loop: Header=BB69_3 Depth=1
	v_add_co_u32 v3, vcc_lo, v56, v25
	v_add_co_ci_u32_e32 v4, vcc_lo, v57, v26, vcc_lo
	v_add_co_u32 v5, vcc_lo, v58, v25
	v_add_co_ci_u32_e32 v6, vcc_lo, v59, v26, vcc_lo
	global_load_b32 v18, v[3:4], off
	global_load_b32 v10, v[5:6], off
.LBB69_12:                              ;   in Loop: Header=BB69_3 Depth=1
	s_or_b32 exec_lo, exec_lo, s3
	v_add_co_u32 v3, vcc_lo, 0xffffff03, v65
	v_add_co_ci_u32_e32 v4, vcc_lo, -1, v66, vcc_lo
	s_delay_alu instid0(VALU_DEP_1) | instskip(SKIP_1) | instid1(SALU_CYCLE_1)
	v_cmp_gt_i64_e32 vcc_lo, s[4:5], v[3:4]
	s_and_b32 s17, s2, vcc_lo
	s_and_saveexec_b32 s3, s17
	s_cbranch_execz .LBB69_14
; %bb.13:                               ;   in Loop: Header=BB69_3 Depth=1
	v_add_co_u32 v3, vcc_lo, v51, v25
	v_add_co_ci_u32_e32 v4, vcc_lo, v52, v26, vcc_lo
	v_add_co_u32 v5, vcc_lo, v54, v25
	v_add_co_ci_u32_e32 v6, vcc_lo, v55, v26, vcc_lo
	global_load_b32 v19, v[3:4], off
	global_load_b32 v11, v[5:6], off
.LBB69_14:                              ;   in Loop: Header=BB69_3 Depth=1
	;; [unrolled: 16-line block ×7, first 2 shown]
	s_or_b32 exec_lo, exec_lo, s3
	s_waitcnt vmcnt(1)
	ds_bpermute_b32 v1, v2, v67
	ds_bpermute_b32 v3, v2, v67 offset:4
	ds_bpermute_b32 v4, v2, v67 offset:8
	;; [unrolled: 1-line block ×3, first 2 shown]
	s_waitcnt vmcnt(0)
	ds_bpermute_b32 v5, v2, v68
	ds_bpermute_b32 v7, v2, v68 offset:4
	ds_bpermute_b32 v8, v2, v67 offset:16
	;; [unrolled: 1-line block ×5, first 2 shown]
	s_waitcnt lgkmcnt(9)
	v_sub_f32_e32 v1, v9, v1
	s_waitcnt lgkmcnt(7)
	v_dual_add_f32 v9, v49, v17 :: v_dual_sub_f32 v4, v11, v4
	s_waitcnt lgkmcnt(6)
	v_dual_sub_f32 v6, v12, v6 :: v_dual_sub_f32 v3, v10, v3
	v_mul_f32_e32 v1, v17, v1
	ds_bpermute_b32 v10, v2, v68 offset:16
	v_mul_f32_e32 v4, v19, v4
	v_dual_mul_f32 v6, v20, v6 :: v_dual_mul_f32 v3, v18, v3
	s_waitcnt lgkmcnt(6)
	v_fma_f32 v53, v1, v5, v64
	ds_bpermute_b32 v17, v2, v67 offset:24
	ds_bpermute_b32 v5, v2, v68 offset:20
	;; [unrolled: 1-line block ×4, first 2 shown]
	s_waitcnt lgkmcnt(9)
	v_fmac_f32_e32 v53, v3, v7
	v_add_f32_e32 v3, v18, v9
	s_waitcnt lgkmcnt(7)
	v_dual_sub_f32 v7, v13, v8 :: v_dual_sub_f32 v8, v14, v71
	s_waitcnt lgkmcnt(6)
	s_delay_alu instid0(VALU_DEP_1) | instskip(SKIP_3) | instid1(VALU_DEP_1)
	v_dual_mul_f32 v8, v22, v8 :: v_dual_fmac_f32 v53, v4, v69
	v_add_f32_e32 v4, v19, v3
	ds_bpermute_b32 v3, v2, v67 offset:28
	v_dual_mul_f32 v7, v21, v7 :: v_dual_add_f32 v4, v20, v4
	v_add_f32_e32 v4, v21, v4
	s_delay_alu instid0(VALU_DEP_1) | instskip(SKIP_2) | instid1(VALU_DEP_2)
	v_add_f32_e32 v4, v22, v4
	s_waitcnt lgkmcnt(4)
	v_dual_fmac_f32 v53, v6, v70 :: v_dual_sub_f32 v6, v15, v17
	v_add_f32_e32 v4, v23, v4
	s_delay_alu instid0(VALU_DEP_2) | instskip(SKIP_1) | instid1(VALU_DEP_1)
	v_fmac_f32_e32 v53, v7, v10
	s_waitcnt lgkmcnt(3)
	v_dual_mul_f32 v6, v23, v6 :: v_dual_fmac_f32 v53, v8, v5
	s_waitcnt lgkmcnt(2)
	s_delay_alu instid0(VALU_DEP_1)
	v_fmac_f32_e32 v53, v6, v11
	s_branch .LBB69_47
.LBB69_25:                              ;   in Loop: Header=BB69_3 Depth=1
                                        ; implicit-def: $vgpr1
                                        ; implicit-def: $vgpr9_vgpr10_vgpr11_vgpr12_vgpr13_vgpr14_vgpr15_vgpr16
                                        ; implicit-def: $vgpr17_vgpr18_vgpr19_vgpr20_vgpr21_vgpr22_vgpr23_vgpr24
                                        ; implicit-def: $vgpr3
                                        ; implicit-def: $vgpr4
                                        ; implicit-def: $vgpr53
	s_cbranch_execz .LBB69_47
; %bb.26:                               ;   in Loop: Header=BB69_3 Depth=1
	s_load_b32 s3, s[30:31], 0x0
	v_mov_b32_e32 v67, 0
	v_mov_b32_e32 v53, 0
	s_waitcnt lgkmcnt(0)
	s_cmp_lt_u32 s14, s3
	s_cselect_b32 s3, 12, 18
	s_delay_alu instid0(SALU_CYCLE_1)
	s_add_u32 s18, s30, s3
	s_addc_u32 s19, s31, 0
	s_mov_b32 s3, exec_lo
	global_load_u16 v1, v2, s[18:19]
	s_waitcnt vmcnt(0)
	v_mad_u32_u24 v1, v27, v1, v29
	s_delay_alu instid0(VALU_DEP_1) | instskip(NEXT) | instid1(VALU_DEP_1)
	v_and_b32_e32 v1, 31, v1
	v_cmpx_gt_u32_e32 8, v1
	s_cbranch_execz .LBB69_30
; %bb.27:                               ;   in Loop: Header=BB69_3 Depth=1
	v_add_co_u32 v1, vcc_lo, v65, v1
	v_add_co_ci_u32_e32 v4, vcc_lo, 0, v66, vcc_lo
	v_mov_b32_e32 v53, 0
	s_delay_alu instid0(VALU_DEP_3) | instskip(NEXT) | instid1(VALU_DEP_3)
	v_add_co_u32 v3, vcc_lo, 0xffffff01, v1
	v_add_co_ci_u32_e32 v4, vcc_lo, -1, v4, vcc_lo
	v_mov_b32_e32 v67, 0
	s_mov_b32 s17, exec_lo
	s_delay_alu instid0(VALU_DEP_2)
	v_cmpx_gt_i64_e64 s[4:5], v[3:4]
	s_cbranch_execz .LBB69_29
; %bb.28:                               ;   in Loop: Header=BB69_3 Depth=1
	v_lshlrev_b64 v[3:4], 2, v[3:4]
	s_delay_alu instid0(VALU_DEP_1) | instskip(NEXT) | instid1(VALU_DEP_2)
	v_add_co_u32 v5, vcc_lo, s24, v3
	v_add_co_ci_u32_e32 v6, vcc_lo, s25, v4, vcc_lo
	v_add_co_u32 v3, vcc_lo, s26, v3
	v_add_co_ci_u32_e32 v4, vcc_lo, s27, v4, vcc_lo
	global_load_b32 v53, v[5:6], off
	global_load_b32 v67, v[3:4], off
.LBB69_29:                              ;   in Loop: Header=BB69_3 Depth=1
	s_or_b32 exec_lo, exec_lo, s17
.LBB69_30:                              ;   in Loop: Header=BB69_3 Depth=1
	s_delay_alu instid0(SALU_CYCLE_1)
	s_or_b32 exec_lo, exec_lo, s3
	s_mov_b32 s22, s16
	s_mov_b32 s23, s16
	;; [unrolled: 1-line block ×7, first 2 shown]
	v_dual_mov_b32 v9, s16 :: v_dual_mov_b32 v10, s17
	v_dual_mov_b32 v15, s22 :: v_dual_mov_b32 v16, s23
	;; [unrolled: 1-line block ×4, first 2 shown]
	s_delay_alu instid0(VALU_DEP_3) | instskip(NEXT) | instid1(VALU_DEP_3)
	v_dual_mov_b32 v24, v16 :: v_dual_mov_b32 v23, v15
	v_dual_mov_b32 v20, v12 :: v_dual_mov_b32 v19, v11
	s_delay_alu instid0(VALU_DEP_3)
	v_dual_mov_b32 v22, v14 :: v_dual_mov_b32 v21, v13
	v_dual_mov_b32 v18, v10 :: v_dual_mov_b32 v17, v9
	s_and_saveexec_b32 s3, s2
	s_cbranch_execz .LBB69_38
; %bb.31:                               ;   in Loop: Header=BB69_3 Depth=1
	v_add_co_u32 v3, vcc_lo, v60, v25
	v_add_co_ci_u32_e32 v4, vcc_lo, v61, v26, vcc_lo
	v_mov_b32_e32 v8, v2
	v_mov_b32_e32 v5, v2
	;; [unrolled: 1-line block ×3, first 2 shown]
	global_load_b32 v1, v[3:4], off
	v_add_co_u32 v3, vcc_lo, v62, v25
	v_add_co_ci_u32_e32 v4, vcc_lo, v63, v26, vcc_lo
	v_mov_b32_e32 v7, v2
	v_mov_b32_e32 v15, v2
	global_load_b32 v9, v[3:4], off
	v_mov_b32_e32 v3, v2
	v_mov_b32_e32 v4, v2
	s_waitcnt vmcnt(1)
	v_dual_mov_b32 v11, v2 :: v_dual_mov_b32 v24, v8
	v_dual_mov_b32 v10, v2 :: v_dual_mov_b32 v23, v7
	;; [unrolled: 1-line block ×5, first 2 shown]
	v_mov_b32_e32 v16, v2
	v_mov_b32_e32 v22, v6
	v_dual_mov_b32 v18, v2 :: v_dual_mov_b32 v17, v1
	s_or_b32 exec_lo, exec_lo, s3
	s_and_saveexec_b32 s3, s2
	s_cbranch_execnz .LBB69_39
.LBB69_32:                              ;   in Loop: Header=BB69_3 Depth=1
	s_or_b32 exec_lo, exec_lo, s3
	s_and_saveexec_b32 s3, s2
	s_cbranch_execz .LBB69_40
.LBB69_33:                              ;   in Loop: Header=BB69_3 Depth=1
	v_add_co_u32 v3, vcc_lo, v51, v25
	v_add_co_ci_u32_e32 v4, vcc_lo, v52, v26, vcc_lo
	v_add_co_u32 v5, vcc_lo, v54, v25
	v_add_co_ci_u32_e32 v6, vcc_lo, v55, v26, vcc_lo
	global_load_b32 v19, v[3:4], off
	global_load_b32 v11, v[5:6], off
	s_or_b32 exec_lo, exec_lo, s3
	s_and_saveexec_b32 s3, s2
	s_cbranch_execnz .LBB69_41
.LBB69_34:                              ;   in Loop: Header=BB69_3 Depth=1
	s_or_b32 exec_lo, exec_lo, s3
	s_and_saveexec_b32 s3, s2
	s_cbranch_execz .LBB69_42
.LBB69_35:                              ;   in Loop: Header=BB69_3 Depth=1
	v_add_co_u32 v3, vcc_lo, v42, v25
	v_add_co_ci_u32_e32 v4, vcc_lo, v43, v26, vcc_lo
	v_add_co_u32 v5, vcc_lo, v44, v25
	v_add_co_ci_u32_e32 v6, vcc_lo, v45, v26, vcc_lo
	global_load_b32 v21, v[3:4], off
	global_load_b32 v13, v[5:6], off
	s_or_b32 exec_lo, exec_lo, s3
	s_and_saveexec_b32 s3, s2
	s_cbranch_execnz .LBB69_43
.LBB69_36:                              ;   in Loop: Header=BB69_3 Depth=1
	s_or_b32 exec_lo, exec_lo, s3
	s_and_saveexec_b32 s3, s2
	s_cbranch_execz .LBB69_44
.LBB69_37:                              ;   in Loop: Header=BB69_3 Depth=1
	v_add_co_u32 v3, vcc_lo, v34, v25
	v_add_co_ci_u32_e32 v4, vcc_lo, v35, v26, vcc_lo
	v_add_co_u32 v5, vcc_lo, v36, v25
	v_add_co_ci_u32_e32 v6, vcc_lo, v37, v26, vcc_lo
	global_load_b32 v23, v[3:4], off
	global_load_b32 v15, v[5:6], off
	s_or_b32 exec_lo, exec_lo, s3
	s_and_saveexec_b32 s3, s2
	s_cbranch_execnz .LBB69_45
	s_branch .LBB69_46
.LBB69_38:                              ;   in Loop: Header=BB69_3 Depth=1
	s_or_b32 exec_lo, exec_lo, s3
	s_and_saveexec_b32 s3, s2
	s_cbranch_execz .LBB69_32
.LBB69_39:                              ;   in Loop: Header=BB69_3 Depth=1
	v_add_co_u32 v3, vcc_lo, v56, v25
	v_add_co_ci_u32_e32 v4, vcc_lo, v57, v26, vcc_lo
	v_add_co_u32 v5, vcc_lo, v58, v25
	v_add_co_ci_u32_e32 v6, vcc_lo, v59, v26, vcc_lo
	global_load_b32 v18, v[3:4], off
	global_load_b32 v10, v[5:6], off
	s_or_b32 exec_lo, exec_lo, s3
	s_and_saveexec_b32 s3, s2
	s_cbranch_execnz .LBB69_33
.LBB69_40:                              ;   in Loop: Header=BB69_3 Depth=1
	s_or_b32 exec_lo, exec_lo, s3
	s_and_saveexec_b32 s3, s2
	s_cbranch_execz .LBB69_34
.LBB69_41:                              ;   in Loop: Header=BB69_3 Depth=1
	v_add_co_u32 v3, vcc_lo, v46, v25
	v_add_co_ci_u32_e32 v4, vcc_lo, v47, v26, vcc_lo
	v_add_co_u32 v5, vcc_lo, v48, v25
	v_add_co_ci_u32_e32 v6, vcc_lo, v50, v26, vcc_lo
	global_load_b32 v20, v[3:4], off
	global_load_b32 v12, v[5:6], off
	s_or_b32 exec_lo, exec_lo, s3
	s_and_saveexec_b32 s3, s2
	s_cbranch_execnz .LBB69_35
.LBB69_42:                              ;   in Loop: Header=BB69_3 Depth=1
	s_or_b32 exec_lo, exec_lo, s3
	s_and_saveexec_b32 s3, s2
	s_cbranch_execz .LBB69_36
.LBB69_43:                              ;   in Loop: Header=BB69_3 Depth=1
	v_add_co_u32 v3, vcc_lo, v38, v25
	v_add_co_ci_u32_e32 v4, vcc_lo, v39, v26, vcc_lo
	v_add_co_u32 v5, vcc_lo, v40, v25
	v_add_co_ci_u32_e32 v6, vcc_lo, v41, v26, vcc_lo
	global_load_b32 v22, v[3:4], off
	global_load_b32 v14, v[5:6], off
	s_or_b32 exec_lo, exec_lo, s3
	s_and_saveexec_b32 s3, s2
	s_cbranch_execnz .LBB69_37
.LBB69_44:                              ;   in Loop: Header=BB69_3 Depth=1
	s_or_b32 exec_lo, exec_lo, s3
	s_and_saveexec_b32 s3, s2
	s_cbranch_execz .LBB69_46
.LBB69_45:                              ;   in Loop: Header=BB69_3 Depth=1
	v_add_co_u32 v3, vcc_lo, v30, v25
	v_add_co_ci_u32_e32 v4, vcc_lo, v31, v26, vcc_lo
	v_add_co_u32 v5, vcc_lo, v32, v25
	v_add_co_ci_u32_e32 v6, vcc_lo, v33, v26, vcc_lo
	global_load_b32 v24, v[3:4], off
	global_load_b32 v16, v[5:6], off
.LBB69_46:                              ;   in Loop: Header=BB69_3 Depth=1
	s_or_b32 exec_lo, exec_lo, s3
	s_waitcnt vmcnt(1)
	ds_bpermute_b32 v1, v2, v53
	ds_bpermute_b32 v3, v2, v53 offset:4
	ds_bpermute_b32 v4, v2, v53 offset:8
	s_waitcnt vmcnt(0)
	ds_bpermute_b32 v5, v2, v67
	ds_bpermute_b32 v6, v2, v53 offset:12
	ds_bpermute_b32 v7, v2, v67 offset:4
	;; [unrolled: 1-line block ×5, first 2 shown]
	s_waitcnt lgkmcnt(8)
	v_sub_f32_e32 v1, v9, v1
	ds_bpermute_b32 v9, v2, v67 offset:12
	s_waitcnt lgkmcnt(7)
	v_dual_sub_f32 v4, v11, v4 :: v_dual_sub_f32 v3, v10, v3
	v_add_f32_e32 v10, v49, v17
	v_mul_f32_e32 v1, v17, v1
	ds_bpermute_b32 v17, v2, v67 offset:16
	v_dual_mul_f32 v4, v19, v4 :: v_dual_mul_f32 v3, v18, v3
	ds_bpermute_b32 v11, v2, v67 offset:20
	s_waitcnt lgkmcnt(8)
	v_fmac_f32_e32 v64, v1, v5
	ds_bpermute_b32 v5, v2, v53 offset:24
	s_waitcnt lgkmcnt(6)
	v_dual_sub_f32 v1, v12, v6 :: v_dual_sub_f32 v6, v13, v8
	s_waitcnt lgkmcnt(4)
	v_sub_f32_e32 v8, v14, v66
	v_dual_fmac_f32 v64, v3, v7 :: v_dual_add_f32 v3, v18, v10
	s_delay_alu instid0(VALU_DEP_2) | instskip(NEXT) | instid1(VALU_DEP_2)
	v_dual_mul_f32 v1, v20, v1 :: v_dual_mul_f32 v8, v22, v8
	v_dual_fmac_f32 v64, v4, v65 :: v_dual_add_f32 v7, v19, v3
	ds_bpermute_b32 v4, v2, v67 offset:24
	v_mul_f32_e32 v6, v21, v6
	ds_bpermute_b32 v3, v2, v53 offset:28
	s_waitcnt lgkmcnt(5)
	v_dual_fmac_f32 v64, v1, v9 :: v_dual_add_f32 v7, v20, v7
	ds_bpermute_b32 v1, v2, v67 offset:28
	s_waitcnt lgkmcnt(5)
	v_fmac_f32_e32 v64, v6, v17
	s_waitcnt lgkmcnt(3)
	v_dual_sub_f32 v5, v15, v5 :: v_dual_add_f32 v6, v21, v7
	s_delay_alu instid0(VALU_DEP_1) | instskip(SKIP_1) | instid1(VALU_DEP_1)
	v_dual_fmac_f32 v64, v8, v11 :: v_dual_mul_f32 v5, v23, v5
	s_waitcnt lgkmcnt(2)
	v_fmac_f32_e32 v64, v5, v4
	s_delay_alu instid0(VALU_DEP_1) | instskip(NEXT) | instid1(VALU_DEP_1)
	v_dual_add_f32 v6, v22, v6 :: v_dual_mov_b32 v53, v64
	v_add_f32_e32 v4, v23, v6
.LBB69_47:                              ;   in Loop: Header=BB69_3 Depth=1
	v_add_co_u32 v30, vcc_lo, v30, s34
	v_add_co_ci_u32_e32 v31, vcc_lo, s35, v31, vcc_lo
	v_add_co_u32 v32, vcc_lo, v32, s34
	v_add_co_ci_u32_e32 v33, vcc_lo, s35, v33, vcc_lo
	;; [unrolled: 2-line block ×12, first 2 shown]
	v_add_co_u32 v56, vcc_lo, v56, s34
	s_waitcnt lgkmcnt(0)
	v_sub_f32_e32 v3, v16, v3
	v_add_co_ci_u32_e32 v57, vcc_lo, s35, v57, vcc_lo
	v_add_co_u32 v58, vcc_lo, v58, s34
	s_add_u32 s38, s38, s28
	v_add_co_ci_u32_e32 v59, vcc_lo, s35, v59, vcc_lo
	v_mul_f32_e32 v3, v24, v3
	s_addc_u32 s39, s39, 0
	v_add_co_u32 v60, vcc_lo, v60, s34
	v_cmp_lt_i64_e64 s3, s[38:39], s[4:5]
	v_add_co_ci_u32_e32 v61, vcc_lo, s35, v61, vcc_lo
	v_add_co_u32 v62, vcc_lo, v62, s34
	v_add_f32_e32 v49, v4, v24
	v_fmac_f32_e32 v53, v3, v1
	v_add_co_ci_u32_e32 v63, vcc_lo, s35, v63, vcc_lo
	s_add_u32 s36, s36, s28
	s_addc_u32 s37, s37, 0
	s_and_b32 vcc_lo, exec_lo, s3
	s_cbranch_vccz .LBB69_50
; %bb.48:                               ;   in Loop: Header=BB69_3 Depth=1
	v_mov_b32_e32 v64, v53
	s_branch .LBB69_3
.LBB69_49:
	s_mov_b32 s29, -1
                                        ; implicit-def: $vgpr49
                                        ; implicit-def: $vgpr53
.LBB69_50:
	s_delay_alu instid0(SALU_CYCLE_1)
	s_and_not1_b32 vcc_lo, exec_lo, s29
	s_cbranch_vccnz .LBB69_82
; %bb.51:
	v_mov_b32_e32 v49, 0
	v_mov_b32_e32 v53, 0
	s_and_not1_b32 vcc_lo, exec_lo, s15
	s_mov_b32 s16, 0
	s_cbranch_vccnz .LBB69_82
; %bb.52:
	s_load_b32 s2, s[0:1], 0x44
	v_and_b32_e32 v50, 0x3ff, v0
	v_bfe_u32 v51, v0, 10, 10
	v_mov_b32_e32 v2, 0
	s_add_u32 s28, s0, 64
	s_addc_u32 s29, s1, 0
	v_add_nc_u32_e32 v1, s33, v50
	v_lshlrev_b32_e32 v3, 5, v51
	v_lshlrev_b32_e32 v52, 3, v51
	s_delay_alu instid0(VALU_DEP_3)
	v_lshlrev_b64 v[19:20], 2, v[1:2]
	s_waitcnt lgkmcnt(0)
	s_lshl_b32 s15, s2, 8
	s_add_u32 s30, s12, 0xff
	s_addc_u32 s31, 0, 0
	s_lshl_b64 s[2:3], s[12:13], 2
	s_mul_i32 s17, s7, s15
	v_add_co_u32 v1, s2, v3, s2
	s_delay_alu instid0(VALU_DEP_1) | instskip(SKIP_1) | instid1(VALU_DEP_2)
	v_add_co_ci_u32_e64 v3, null, 0, s3, s2
	s_mul_hi_u32 s2, s6, s15
	v_add_co_u32 v7, vcc_lo, v1, 4
	s_delay_alu instid0(VALU_DEP_2) | instskip(SKIP_3) | instid1(VALU_DEP_4)
	v_add_co_ci_u32_e32 v4, vcc_lo, 0, v3, vcc_lo
	v_add_co_u32 v8, vcc_lo, v1, 8
	v_add_co_ci_u32_e32 v5, vcc_lo, 0, v3, vcc_lo
	v_add_co_u32 v11, vcc_lo, v1, 12
	v_mul_lo_u32 v9, s6, v4
	v_add_co_ci_u32_e32 v4, vcc_lo, 0, v3, vcc_lo
	v_add_co_u32 v14, vcc_lo, v1, 16
	v_mul_lo_u32 v12, s6, v5
	v_add_co_ci_u32_e32 v5, vcc_lo, 0, v3, vcc_lo
	s_delay_alu instid0(VALU_DEP_3) | instskip(SKIP_1) | instid1(VALU_DEP_3)
	v_mad_u64_u32 v[27:28], null, s6, v14, s[8:9]
	v_mul_lo_u32 v43, s7, v14
	v_mul_lo_u32 v17, s6, v5
	v_mad_u64_u32 v[41:42], null, s6, v14, s[10:11]
	v_add_co_u32 v18, vcc_lo, v1, 20
	v_mul_lo_u32 v15, s6, v4
	v_add_co_ci_u32_e32 v4, vcc_lo, 0, v3, vcc_lo
	s_delay_alu instid0(VALU_DEP_3) | instskip(SKIP_1) | instid1(VALU_DEP_3)
	v_mad_u64_u32 v[29:30], null, s6, v18, s[8:9]
	v_mul_lo_u32 v53, s7, v18
	v_mul_lo_u32 v49, s6, v4
	v_add3_u32 v28, v43, v28, v17
	v_add3_u32 v42, v43, v42, v17
	v_mad_u64_u32 v[43:44], null, s6, v18, s[10:11]
	v_add_co_u32 v47, vcc_lo, v1, 24
	v_add_co_ci_u32_e32 v5, vcc_lo, 0, v3, vcc_lo
	v_add3_u32 v30, v53, v30, v49
	v_add_co_u32 v1, vcc_lo, v1, 28
	v_add3_u32 v44, v53, v44, v49
	v_mov_b32_e32 v49, 0
	v_add_co_u32 v70, s3, v52, s12
	s_delay_alu instid0(VALU_DEP_1) | instskip(SKIP_2) | instid1(VALU_DEP_4)
	v_add_co_ci_u32_e64 v71, null, 0, 0, s3
	v_mul_lo_u32 v56, s6, v5
	v_add_co_ci_u32_e32 v5, vcc_lo, 0, v3, vcc_lo
	v_mul_lo_u32 v6, s7, v70
	s_delay_alu instid0(VALU_DEP_4) | instskip(SKIP_1) | instid1(VALU_DEP_4)
	v_mul_lo_u32 v35, s6, v71
	v_mad_u64_u32 v[3:4], null, s6, v70, 0
	v_mul_lo_u32 v58, s6, v5
	v_mad_u64_u32 v[21:22], null, s6, v7, s[8:9]
	;; [unrolled: 2-line block ×3, first 2 shown]
	v_add3_u32 v4, v4, v35, v6
	v_mad_u64_u32 v[35:36], null, s6, v7, s[10:11]
	v_mul_lo_u32 v13, s7, v8
	v_mad_u64_u32 v[37:38], null, s6, v8, s[10:11]
	s_delay_alu instid0(VALU_DEP_4)
	v_lshlrev_b64 v[5:6], 2, v[3:4]
	v_add3_u32 v22, v10, v22, v9
	v_mad_u64_u32 v[25:26], null, s6, v11, s[8:9]
	v_add3_u32 v36, v10, v36, v9
	v_add3_u32 v24, v13, v24, v12
	v_add_co_u32 v54, vcc_lo, s8, v5
	v_add_co_ci_u32_e32 v55, vcc_lo, s9, v6, vcc_lo
	v_add_co_u32 v9, vcc_lo, v70, 7
	v_add_co_ci_u32_e32 v7, vcc_lo, 0, v71, vcc_lo
	v_add3_u32 v38, v13, v38, v12
	v_add_co_u32 v12, vcc_lo, v70, 6
	v_mul_lo_u32 v16, s7, v11
	v_mad_u64_u32 v[31:32], null, s6, v47, s[8:9]
	v_mul_lo_u32 v57, s7, v47
	v_mad_u64_u32 v[33:34], null, s6, v1, s[8:9]
	;; [unrolled: 2-line block ×3, first 2 shown]
	v_mad_u64_u32 v[45:46], null, s6, v47, s[10:11]
	v_mad_u64_u32 v[47:48], null, s6, v1, s[10:11]
	v_mul_lo_u32 v1, s7, v9
	v_mul_lo_u32 v11, s6, v7
	v_mad_u64_u32 v[7:8], null, s6, v9, 0
	v_add_co_ci_u32_e32 v10, vcc_lo, 0, v71, vcc_lo
	v_mul_lo_u32 v13, s7, v12
	v_add3_u32 v32, v57, v32, v56
	v_add3_u32 v46, v57, v46, v56
	s_delay_alu instid0(VALU_DEP_4) | instskip(SKIP_4) | instid1(VALU_DEP_3)
	v_mul_lo_u32 v14, s6, v10
	v_mad_u64_u32 v[9:10], null, s6, v12, 0
	v_add3_u32 v8, v8, v11, v1
	v_add_co_u32 v56, vcc_lo, s10, v5
	v_add_co_ci_u32_e32 v57, vcc_lo, s11, v6, vcc_lo
	v_lshlrev_b64 v[5:6], 2, v[7:8]
	v_add3_u32 v10, v10, v14, v13
	v_add_co_u32 v1, vcc_lo, v70, 5
	v_add_co_ci_u32_e32 v11, vcc_lo, 0, v71, vcc_lo
	v_add3_u32 v34, v59, v34, v58
	v_add3_u32 v48, v59, v48, v58
	v_add_co_u32 v58, vcc_lo, s8, v5
	v_lshlrev_b64 v[7:8], 2, v[9:10]
	v_add_co_ci_u32_e32 v59, vcc_lo, s9, v6, vcc_lo
	v_mul_lo_u32 v12, s7, v1
	v_mul_lo_u32 v11, s6, v11
	v_mad_u64_u32 v[9:10], null, s6, v1, 0
	v_add_co_u32 v60, vcc_lo, s10, v5
	v_add_co_ci_u32_e32 v61, vcc_lo, s11, v6, vcc_lo
	v_add_co_u32 v62, vcc_lo, s8, v7
	v_add_co_ci_u32_e32 v63, vcc_lo, s9, v8, vcc_lo
	v_add_co_u32 v1, vcc_lo, v70, 4
	v_add3_u32 v10, v10, v11, v12
	s_add_i32 s3, s2, s17
	v_add_co_u32 v64, s2, s10, v7
	v_add_co_ci_u32_e32 v7, vcc_lo, 0, v71, vcc_lo
	v_add_co_u32 v12, vcc_lo, v70, 3
	v_lshlrev_b64 v[5:6], 2, v[9:10]
	v_add_co_ci_u32_e32 v9, vcc_lo, 0, v71, vcc_lo
	v_add_co_ci_u32_e64 v65, s2, s11, v8, s2
	v_mul_lo_u32 v11, s7, v1
	v_mul_lo_u32 v13, s6, v7
	v_mad_u64_u32 v[7:8], null, s6, v1, 0
	v_mul_lo_u32 v1, s7, v12
	v_mul_lo_u32 v14, s6, v9
	v_mad_u64_u32 v[9:10], null, s6, v12, 0
	v_add_co_u32 v66, vcc_lo, s8, v5
	v_add_co_ci_u32_e32 v67, vcc_lo, s9, v6, vcc_lo
	v_add3_u32 v8, v8, v13, v11
	v_add_co_u32 v68, vcc_lo, s10, v5
	v_add_co_ci_u32_e32 v69, vcc_lo, s11, v6, vcc_lo
	v_add3_u32 v10, v10, v14, v1
	v_add_co_u32 v1, vcc_lo, v70, 2
	v_lshlrev_b64 v[5:6], 2, v[7:8]
	v_add_co_ci_u32_e32 v11, vcc_lo, 0, v71, vcc_lo
	s_delay_alu instid0(VALU_DEP_4) | instskip(NEXT) | instid1(VALU_DEP_4)
	v_lshlrev_b64 v[7:8], 2, v[9:10]
	v_mul_lo_u32 v12, s7, v1
	v_mad_u64_u32 v[9:10], null, s6, v1, 0
	v_add_co_u32 v70, vcc_lo, s8, v5
	v_mul_lo_u32 v11, s6, v11
	v_add_co_ci_u32_e32 v71, vcc_lo, s9, v6, vcc_lo
	v_add_co_u32 v72, vcc_lo, s10, v5
	v_add_co_ci_u32_e32 v73, vcc_lo, s11, v6, vcc_lo
	v_add_co_u32 v74, vcc_lo, s8, v7
	v_add_co_ci_u32_e32 v75, vcc_lo, s9, v8, vcc_lo
	v_add3_u32 v10, v10, v11, v12
	v_add_co_u32 v76, vcc_lo, s10, v7
	v_add_co_ci_u32_e32 v77, vcc_lo, s11, v8, vcc_lo
	v_add_co_u32 v3, vcc_lo, v3, s6
	s_delay_alu instid0(VALU_DEP_4)
	v_lshlrev_b64 v[5:6], 2, v[9:10]
	v_add_co_ci_u32_e32 v4, vcc_lo, s7, v4, vcc_lo
	v_add3_u32 v26, v16, v26, v15
	v_add3_u32 v40, v16, v40, v15
	v_mov_b32_e32 v53, 0
	v_add_co_u32 v78, vcc_lo, s8, v5
	v_lshlrev_b64 v[3:4], 2, v[3:4]
	v_add_co_ci_u32_e32 v79, vcc_lo, s9, v6, vcc_lo
	v_add_co_u32 v80, vcc_lo, s10, v5
	v_add_co_ci_u32_e32 v81, vcc_lo, s11, v6, vcc_lo
	s_delay_alu instid0(VALU_DEP_4) | instskip(SKIP_4) | instid1(SALU_CYCLE_1)
	v_add_co_u32 v82, vcc_lo, s8, v3
	v_add_co_ci_u32_e32 v83, vcc_lo, s9, v4, vcc_lo
	v_add_co_u32 v84, vcc_lo, s10, v3
	v_add_co_ci_u32_e32 v85, vcc_lo, s11, v4, vcc_lo
	s_mul_i32 s2, s6, s15
	s_lshl_b64 s[2:3], s[2:3], 2
	s_branch .LBB69_56
.LBB69_53:                              ;   in Loop: Header=BB69_56 Depth=1
	s_or_b32 exec_lo, exec_lo, s9
.LBB69_54:                              ;   in Loop: Header=BB69_56 Depth=1
	s_delay_alu instid0(SALU_CYCLE_1)
	s_or_b32 exec_lo, exec_lo, s8
	v_add_co_u32 v3, vcc_lo, v54, v19
	v_add_co_ci_u32_e32 v4, vcc_lo, v55, v20, vcc_lo
	s_waitcnt vmcnt(1)
	ds_bpermute_b32 v88, v2, v1
	global_load_b32 v6, v[3:4], off
	v_add_co_u32 v3, vcc_lo, v56, v19
	v_add_co_ci_u32_e32 v4, vcc_lo, v57, v20, vcc_lo
	global_load_b32 v7, v[3:4], off
	v_add_co_u32 v3, vcc_lo, v21, v19
	v_add_co_ci_u32_e32 v4, vcc_lo, v22, v20, vcc_lo
	;; [unrolled: 3-line block ×15, first 2 shown]
	global_load_b32 v4, v[3:4], off
	s_waitcnt vmcnt(16)
	ds_bpermute_b32 v3, v2, v5
	s_waitcnt vmcnt(14) lgkmcnt(1)
	v_sub_f32_e32 v7, v7, v88
	s_delay_alu instid0(VALU_DEP_1) | instskip(SKIP_1) | instid1(VALU_DEP_1)
	v_mul_f32_e32 v7, v6, v7
	s_waitcnt lgkmcnt(0)
	v_fmac_f32_e32 v53, v7, v3
	ds_bpermute_b32 v7, v2, v1 offset:4
	v_add_f32_e32 v3, v49, v6
	ds_bpermute_b32 v6, v2, v5 offset:4
	s_waitcnt vmcnt(13)
	v_add_f32_e32 v3, v3, v8
	s_waitcnt vmcnt(11)
	s_delay_alu instid0(VALU_DEP_1) | instskip(SKIP_2) | instid1(VALU_DEP_1)
	v_add_f32_e32 v3, v3, v11
	s_waitcnt lgkmcnt(1)
	v_sub_f32_e32 v7, v9, v7
	v_mul_f32_e32 v7, v8, v7
	s_waitcnt vmcnt(9)
	v_add_f32_e32 v3, v3, v13
	s_waitcnt lgkmcnt(0)
	s_delay_alu instid0(VALU_DEP_2)
	v_fmac_f32_e32 v53, v7, v6
	ds_bpermute_b32 v7, v2, v1 offset:8
	ds_bpermute_b32 v6, v2, v5 offset:8
	s_waitcnt vmcnt(7)
	v_add_f32_e32 v3, v3, v15
	s_waitcnt lgkmcnt(1)
	v_sub_f32_e32 v7, v12, v7
	s_delay_alu instid0(VALU_DEP_1) | instskip(SKIP_3) | instid1(VALU_DEP_2)
	v_mul_f32_e32 v7, v11, v7
	s_waitcnt vmcnt(5)
	v_add_f32_e32 v3, v3, v17
	s_waitcnt lgkmcnt(0)
	v_fmac_f32_e32 v53, v7, v6
	ds_bpermute_b32 v7, v2, v1 offset:12
	ds_bpermute_b32 v6, v2, v5 offset:12
	s_waitcnt vmcnt(3)
	v_add_f32_e32 v3, v3, v86
	s_waitcnt lgkmcnt(1)
	v_sub_f32_e32 v7, v14, v7
	s_delay_alu instid0(VALU_DEP_1) | instskip(SKIP_1) | instid1(VALU_DEP_1)
	v_mul_f32_e32 v7, v13, v7
	s_waitcnt lgkmcnt(0)
	v_fmac_f32_e32 v53, v7, v6
	ds_bpermute_b32 v7, v2, v1 offset:16
	ds_bpermute_b32 v6, v2, v5 offset:16
	s_waitcnt lgkmcnt(1)
	v_sub_f32_e32 v7, v16, v7
	s_delay_alu instid0(VALU_DEP_1) | instskip(SKIP_1) | instid1(VALU_DEP_1)
	v_mul_f32_e32 v7, v15, v7
	s_waitcnt lgkmcnt(0)
	v_fmac_f32_e32 v53, v7, v6
	ds_bpermute_b32 v7, v2, v1 offset:20
	ds_bpermute_b32 v6, v2, v5 offset:20
	;; [unrolled: 8-line block ×3, first 2 shown]
	ds_bpermute_b32 v6, v2, v5 offset:24
	ds_bpermute_b32 v5, v2, v5 offset:28
	s_waitcnt vmcnt(2) lgkmcnt(3)
	v_sub_f32_e32 v7, v87, v7
	s_waitcnt vmcnt(0) lgkmcnt(2)
	v_sub_f32_e32 v1, v4, v1
	s_delay_alu instid0(VALU_DEP_2) | instskip(NEXT) | instid1(VALU_DEP_2)
	v_mul_f32_e32 v7, v86, v7
	v_mul_f32_e32 v1, v10, v1
	s_waitcnt lgkmcnt(0)
	s_delay_alu instid0(VALU_DEP_1) | instskip(NEXT) | instid1(VALU_DEP_1)
	v_dual_fmac_f32 v53, v7, v6 :: v_dual_mul_f32 v4, v1, v5
	v_mov_b32_e32 v1, v53
.LBB69_55:                              ;   in Loop: Header=BB69_56 Depth=1
	v_add_co_u32 v21, vcc_lo, v21, s2
	v_add_co_ci_u32_e32 v22, vcc_lo, s3, v22, vcc_lo
	v_add_co_u32 v23, vcc_lo, v23, s2
	v_add_co_ci_u32_e32 v24, vcc_lo, s3, v24, vcc_lo
	;; [unrolled: 2-line block ×27, first 2 shown]
	v_add_co_u32 v80, vcc_lo, v80, s2
	s_add_u32 s12, s12, s15
	v_add_co_ci_u32_e32 v81, vcc_lo, s3, v81, vcc_lo
	s_addc_u32 s13, s13, 0
	v_add_co_u32 v82, vcc_lo, v82, s2
	v_cmp_ge_i64_e64 s8, s[12:13], s[4:5]
	v_add_co_ci_u32_e32 v83, vcc_lo, s3, v83, vcc_lo
	v_add_co_u32 v84, vcc_lo, v84, s2
	v_add_f32_e32 v53, v1, v4
	v_add_f32_e32 v49, v3, v10
	v_add_co_ci_u32_e32 v85, vcc_lo, s3, v85, vcc_lo
	s_add_u32 s30, s30, s15
	s_addc_u32 s31, s31, 0
	s_and_b32 vcc_lo, exec_lo, s8
	s_cbranch_vccnz .LBB69_82
.LBB69_56:                              ; =>This Inner Loop Header: Depth=1
	v_cmp_ge_i64_e64 s8, s[30:31], s[4:5]
	v_add_co_u32 v86, s9, v52, s30
	s_delay_alu instid0(VALU_DEP_1) | instskip(NEXT) | instid1(VALU_DEP_3)
	v_add_co_ci_u32_e64 v87, null, 0, s31, s9
	s_and_b32 vcc_lo, exec_lo, s8
	s_cbranch_vccz .LBB69_78
; %bb.57:                               ;   in Loop: Header=BB69_56 Depth=1
	s_load_b32 s8, s[28:29], 0xc
	v_dual_mov_b32 v89, 0 :: v_dual_mov_b32 v88, 0
	s_waitcnt lgkmcnt(0)
	s_and_b32 s8, s8, 0xffff
	s_delay_alu instid0(SALU_CYCLE_1) | instskip(SKIP_1) | instid1(VALU_DEP_1)
	v_mad_u32_u24 v1, v51, s8, v50
	s_mov_b32 s8, exec_lo
	v_and_b32_e32 v1, 31, v1
	s_delay_alu instid0(VALU_DEP_1)
	v_cmpx_gt_u32_e32 8, v1
	s_cbranch_execz .LBB69_61
; %bb.58:                               ;   in Loop: Header=BB69_56 Depth=1
	v_add_co_u32 v1, vcc_lo, v86, v1
	v_add_co_ci_u32_e32 v4, vcc_lo, 0, v87, vcc_lo
	v_dual_mov_b32 v88, 0 :: v_dual_mov_b32 v89, 0
	s_delay_alu instid0(VALU_DEP_3) | instskip(NEXT) | instid1(VALU_DEP_3)
	v_add_co_u32 v3, vcc_lo, 0xffffff01, v1
	v_add_co_ci_u32_e32 v4, vcc_lo, -1, v4, vcc_lo
	s_mov_b32 s9, exec_lo
	s_delay_alu instid0(VALU_DEP_1)
	v_cmpx_gt_i64_e64 s[4:5], v[3:4]
	s_cbranch_execz .LBB69_60
; %bb.59:                               ;   in Loop: Header=BB69_56 Depth=1
	v_lshlrev_b64 v[3:4], 2, v[3:4]
	s_delay_alu instid0(VALU_DEP_1) | instskip(NEXT) | instid1(VALU_DEP_2)
	v_add_co_u32 v5, vcc_lo, s24, v3
	v_add_co_ci_u32_e32 v6, vcc_lo, s25, v4, vcc_lo
	v_add_co_u32 v3, vcc_lo, s26, v3
	v_add_co_ci_u32_e32 v4, vcc_lo, s27, v4, vcc_lo
	global_load_b32 v88, v[5:6], off
	global_load_b32 v89, v[3:4], off
.LBB69_60:                              ;   in Loop: Header=BB69_56 Depth=1
	s_or_b32 exec_lo, exec_lo, s9
.LBB69_61:                              ;   in Loop: Header=BB69_56 Depth=1
	s_delay_alu instid0(SALU_CYCLE_1)
	s_or_b32 exec_lo, exec_lo, s8
	v_add_co_u32 v3, vcc_lo, 0xffffff01, v86
	s_mov_b32 s17, s16
	s_mov_b32 s18, s16
	;; [unrolled: 1-line block ×7, first 2 shown]
	v_add_co_ci_u32_e32 v4, vcc_lo, -1, v87, vcc_lo
	v_dual_mov_b32 v11, s16 :: v_dual_mov_b32 v12, s17
	v_dual_mov_b32 v13, s18 :: v_dual_mov_b32 v14, s19
	;; [unrolled: 1-line block ×4, first 2 shown]
	v_cmp_gt_i64_e32 vcc_lo, s[4:5], v[3:4]
	v_dual_mov_b32 v3, v11 :: v_dual_mov_b32 v4, v12
	v_dual_mov_b32 v5, v13 :: v_dual_mov_b32 v6, v14
	;; [unrolled: 1-line block ×4, first 2 shown]
	s_and_saveexec_b32 s8, vcc_lo
	s_cbranch_execz .LBB69_63
; %bb.62:                               ;   in Loop: Header=BB69_56 Depth=1
	v_add_co_u32 v3, vcc_lo, v54, v19
	v_add_co_ci_u32_e32 v4, vcc_lo, v55, v20, vcc_lo
	v_mov_b32_e32 v8, v2
	v_mov_b32_e32 v5, v2
	;; [unrolled: 1-line block ×3, first 2 shown]
	global_load_b32 v1, v[3:4], off
	v_add_co_u32 v3, vcc_lo, v56, v19
	v_add_co_ci_u32_e32 v4, vcc_lo, v57, v20, vcc_lo
	v_mov_b32_e32 v7, v2
	v_mov_b32_e32 v17, v2
	global_load_b32 v11, v[3:4], off
	v_mov_b32_e32 v3, v2
	v_mov_b32_e32 v4, v2
	s_waitcnt vmcnt(1)
	v_dual_mov_b32 v13, v2 :: v_dual_mov_b32 v10, v8
	v_dual_mov_b32 v12, v2 :: v_dual_mov_b32 v9, v7
	v_mov_b32_e32 v8, v6
	v_dual_mov_b32 v14, v2 :: v_dual_mov_b32 v7, v5
	v_dual_mov_b32 v15, v2 :: v_dual_mov_b32 v6, v4
	;; [unrolled: 1-line block ×3, first 2 shown]
	v_mov_b32_e32 v4, v2
	v_dual_mov_b32 v18, v2 :: v_dual_mov_b32 v3, v1
.LBB69_63:                              ;   in Loop: Header=BB69_56 Depth=1
	s_or_b32 exec_lo, exec_lo, s8
	v_add_co_u32 v90, vcc_lo, 0xffffff02, v86
	v_add_co_ci_u32_e32 v91, vcc_lo, -1, v87, vcc_lo
	s_mov_b32 s8, exec_lo
	s_delay_alu instid0(VALU_DEP_1)
	v_cmpx_gt_i64_e64 s[4:5], v[90:91]
	s_cbranch_execz .LBB69_65
; %bb.64:                               ;   in Loop: Header=BB69_56 Depth=1
	v_add_co_u32 v90, vcc_lo, v82, v19
	v_add_co_ci_u32_e32 v91, vcc_lo, v83, v20, vcc_lo
	v_add_co_u32 v92, vcc_lo, v84, v19
	v_add_co_ci_u32_e32 v93, vcc_lo, v85, v20, vcc_lo
	global_load_b32 v4, v[90:91], off
	global_load_b32 v12, v[92:93], off
.LBB69_65:                              ;   in Loop: Header=BB69_56 Depth=1
	s_or_b32 exec_lo, exec_lo, s8
	v_add_co_u32 v90, vcc_lo, 0xffffff03, v86
	v_add_co_ci_u32_e32 v91, vcc_lo, -1, v87, vcc_lo
	s_mov_b32 s8, exec_lo
	s_delay_alu instid0(VALU_DEP_1)
	v_cmpx_gt_i64_e64 s[4:5], v[90:91]
	s_cbranch_execz .LBB69_67
; %bb.66:                               ;   in Loop: Header=BB69_56 Depth=1
	v_add_co_u32 v90, vcc_lo, v78, v19
	v_add_co_ci_u32_e32 v91, vcc_lo, v79, v20, vcc_lo
	v_add_co_u32 v92, vcc_lo, v80, v19
	v_add_co_ci_u32_e32 v93, vcc_lo, v81, v20, vcc_lo
	global_load_b32 v5, v[90:91], off
	global_load_b32 v13, v[92:93], off
.LBB69_67:                              ;   in Loop: Header=BB69_56 Depth=1
	;; [unrolled: 15-line block ×7, first 2 shown]
	s_or_b32 exec_lo, exec_lo, s8
	s_waitcnt vmcnt(1)
	ds_bpermute_b32 v90, v2, v88
	s_waitcnt vmcnt(0)
	ds_bpermute_b32 v1, v2, v89
	s_waitcnt lgkmcnt(1)
	v_sub_f32_e32 v11, v11, v90
	ds_bpermute_b32 v90, v2, v88 offset:4
	s_waitcnt lgkmcnt(0)
	v_sub_f32_e32 v12, v12, v90
	s_delay_alu instid0(VALU_DEP_1) | instskip(SKIP_1) | instid1(VALU_DEP_2)
	v_dual_mul_f32 v12, v4, v12 :: v_dual_mul_f32 v11, v3, v11
	v_add_f32_e32 v3, v49, v3
	v_fma_f32 v1, v11, v1, v53
	ds_bpermute_b32 v11, v2, v89 offset:4
	v_add_f32_e32 v3, v4, v3
	ds_bpermute_b32 v4, v2, v89 offset:8
	v_add_f32_e32 v3, v5, v3
	s_delay_alu instid0(VALU_DEP_1) | instskip(NEXT) | instid1(VALU_DEP_1)
	v_add_f32_e32 v3, v6, v3
	v_add_f32_e32 v3, v7, v3
	s_waitcnt lgkmcnt(1)
	v_fmac_f32_e32 v1, v12, v11
	ds_bpermute_b32 v11, v2, v88 offset:8
	v_add_f32_e32 v3, v8, v3
	s_delay_alu instid0(VALU_DEP_1) | instskip(SKIP_2) | instid1(VALU_DEP_1)
	v_add_f32_e32 v3, v9, v3
	s_waitcnt lgkmcnt(0)
	v_sub_f32_e32 v11, v13, v11
	v_mul_f32_e32 v11, v5, v11
	ds_bpermute_b32 v5, v2, v88 offset:12
	v_fmac_f32_e32 v1, v11, v4
	ds_bpermute_b32 v4, v2, v89 offset:12
	s_waitcnt lgkmcnt(1)
	v_sub_f32_e32 v5, v14, v5
	s_delay_alu instid0(VALU_DEP_1) | instskip(SKIP_1) | instid1(VALU_DEP_1)
	v_mul_f32_e32 v5, v6, v5
	s_waitcnt lgkmcnt(0)
	v_fmac_f32_e32 v1, v5, v4
	ds_bpermute_b32 v5, v2, v88 offset:16
	ds_bpermute_b32 v4, v2, v89 offset:16
	s_waitcnt lgkmcnt(1)
	v_sub_f32_e32 v5, v15, v5
	s_delay_alu instid0(VALU_DEP_1) | instskip(SKIP_1) | instid1(VALU_DEP_1)
	v_mul_f32_e32 v5, v7, v5
	s_waitcnt lgkmcnt(0)
	v_fmac_f32_e32 v1, v5, v4
	ds_bpermute_b32 v5, v2, v88 offset:20
	;; [unrolled: 8-line block ×4, first 2 shown]
	ds_bpermute_b32 v4, v2, v89 offset:28
	s_waitcnt lgkmcnt(1)
	v_sub_f32_e32 v5, v18, v5
	s_delay_alu instid0(VALU_DEP_1) | instskip(SKIP_1) | instid1(VALU_DEP_1)
	v_mul_f32_e32 v5, v10, v5
	s_waitcnt lgkmcnt(0)
	v_mul_f32_e32 v4, v5, v4
	s_branch .LBB69_55
.LBB69_78:                              ;   in Loop: Header=BB69_56 Depth=1
                                        ; implicit-def: $vgpr10
                                        ; implicit-def: $vgpr4
                                        ; implicit-def: $vgpr3
                                        ; implicit-def: $vgpr1
	s_cbranch_execz .LBB69_55
; %bb.79:                               ;   in Loop: Header=BB69_56 Depth=1
	s_load_b32 s8, s[28:29], 0x0
	v_mov_b32_e32 v5, 0
	s_waitcnt lgkmcnt(0)
	s_cmp_lt_u32 s14, s8
	s_cselect_b32 s8, 12, 18
	s_delay_alu instid0(SALU_CYCLE_1)
	s_add_u32 s8, s28, s8
	s_addc_u32 s9, s29, 0
	global_load_u16 v1, v2, s[8:9]
	s_mov_b32 s8, exec_lo
	s_waitcnt vmcnt(0)
	v_mad_u32_u24 v1, v51, v1, v50
	s_delay_alu instid0(VALU_DEP_1) | instskip(SKIP_1) | instid1(VALU_DEP_2)
	v_and_b32_e32 v3, 31, v1
	v_mov_b32_e32 v1, 0
	v_cmpx_gt_u32_e32 8, v3
	s_cbranch_execz .LBB69_54
; %bb.80:                               ;   in Loop: Header=BB69_56 Depth=1
	v_add_co_u32 v1, vcc_lo, v86, v3
	v_add_co_ci_u32_e32 v4, vcc_lo, 0, v87, vcc_lo
	v_mov_b32_e32 v5, 0
	s_delay_alu instid0(VALU_DEP_3) | instskip(NEXT) | instid1(VALU_DEP_3)
	v_add_co_u32 v3, vcc_lo, 0xffffff01, v1
	v_add_co_ci_u32_e32 v4, vcc_lo, -1, v4, vcc_lo
	v_mov_b32_e32 v1, 0
	s_mov_b32 s9, exec_lo
	s_delay_alu instid0(VALU_DEP_2)
	v_cmpx_gt_i64_e64 s[4:5], v[3:4]
	s_cbranch_execz .LBB69_53
; %bb.81:                               ;   in Loop: Header=BB69_56 Depth=1
	v_lshlrev_b64 v[3:4], 2, v[3:4]
	s_delay_alu instid0(VALU_DEP_1) | instskip(NEXT) | instid1(VALU_DEP_2)
	v_add_co_u32 v5, vcc_lo, s24, v3
	v_add_co_ci_u32_e32 v6, vcc_lo, s25, v4, vcc_lo
	v_add_co_u32 v3, vcc_lo, s26, v3
	v_add_co_ci_u32_e32 v4, vcc_lo, s27, v4, vcc_lo
	global_load_b32 v1, v[5:6], off
	global_load_b32 v5, v[3:4], off
	s_branch .LBB69_53
.LBB69_82:
	v_and_b32_e32 v2, 0x3ff, v0
	v_bfe_u32 v0, v0, 10, 10
	s_mov_b32 s15, 0
	s_mov_b32 s2, exec_lo
	s_delay_alu instid0(VALU_DEP_2) | instskip(NEXT) | instid1(VALU_DEP_2)
	v_lshrrev_b32_e32 v1, 5, v2
	v_mad_u32_u24 v3, v0, 33, v2
	s_delay_alu instid0(VALU_DEP_2) | instskip(NEXT) | instid1(VALU_DEP_2)
	v_add_nc_u32_e32 v0, v1, v0
	v_lshl_add_u32 v1, v3, 2, 0
	ds_store_b32 v1, v53
	ds_store_b32 v1, v49 offset:4224
	s_waitcnt lgkmcnt(0)
	s_barrier
	buffer_gl0_inv
	v_cmpx_gt_u32_e32 32, v0
	s_cbranch_execz .LBB69_88
; %bb.83:
	v_and_b32_e32 v1, 31, v2
	v_mbcnt_lo_u32_b32 v3, -1, 0
	s_lshl_b64 s[2:3], s[14:15], 5
	s_delay_alu instid0(VALU_DEP_2) | instskip(NEXT) | instid1(VALU_DEP_2)
	v_mad_u32_u24 v1, v1, 33, v0
	v_xor_b32_e32 v5, 16, v3
	v_xor_b32_e32 v7, 8, v3
	v_or_b32_e32 v0, s2, v0
	v_cmp_eq_u32_e64 s2, 0, v2
	v_lshl_add_u32 v1, v1, 2, 0
	v_cmp_gt_i32_e32 vcc_lo, 32, v5
	ds_load_b32 v4, v1
	ds_load_b32 v1, v1 offset:4224
	v_cndmask_b32_e32 v5, v3, v5, vcc_lo
	v_cmp_gt_i32_e32 vcc_lo, 32, v7
	s_delay_alu instid0(VALU_DEP_2) | instskip(SKIP_1) | instid1(VALU_DEP_1)
	v_lshlrev_b32_e32 v5, 2, v5
	v_cndmask_b32_e32 v7, v3, v7, vcc_lo
	v_lshlrev_b32_e32 v7, 2, v7
	s_waitcnt lgkmcnt(1)
	ds_bpermute_b32 v6, v5, v4
	s_waitcnt lgkmcnt(1)
	ds_bpermute_b32 v5, v5, v1
	s_waitcnt lgkmcnt(0)
	v_dual_add_f32 v4, v4, v6 :: v_dual_add_f32 v1, v1, v5
	ds_bpermute_b32 v5, v7, v4
	ds_bpermute_b32 v6, v7, v1
	v_xor_b32_e32 v7, 4, v3
	s_delay_alu instid0(VALU_DEP_1) | instskip(SKIP_2) | instid1(VALU_DEP_1)
	v_cmp_gt_i32_e32 vcc_lo, 32, v7
	v_cndmask_b32_e32 v7, v3, v7, vcc_lo
	s_waitcnt lgkmcnt(1)
	v_dual_add_f32 v4, v4, v5 :: v_dual_lshlrev_b32 v7, 2, v7
	s_waitcnt lgkmcnt(0)
	v_add_f32_e32 v1, v1, v6
	ds_bpermute_b32 v5, v7, v4
	ds_bpermute_b32 v6, v7, v1
	v_xor_b32_e32 v7, 2, v3
	s_delay_alu instid0(VALU_DEP_1) | instskip(SKIP_2) | instid1(VALU_DEP_1)
	v_cmp_gt_i32_e32 vcc_lo, 32, v7
	v_cndmask_b32_e32 v7, v3, v7, vcc_lo
	s_waitcnt lgkmcnt(1)
	v_dual_add_f32 v4, v4, v5 :: v_dual_lshlrev_b32 v7, 2, v7
	s_waitcnt lgkmcnt(0)
	v_add_f32_e32 v1, v1, v6
	ds_bpermute_b32 v5, v7, v4
	ds_bpermute_b32 v6, v7, v1
	v_xor_b32_e32 v7, 1, v3
	s_delay_alu instid0(VALU_DEP_1) | instskip(SKIP_1) | instid1(VALU_DEP_1)
	v_cmp_gt_i32_e32 vcc_lo, 32, v7
	v_cndmask_b32_e32 v3, v3, v7, vcc_lo
	v_lshlrev_b32_e32 v7, 2, v3
	s_waitcnt lgkmcnt(1)
	v_add_f32_e32 v5, v4, v5
	s_waitcnt lgkmcnt(0)
	v_add_f32_e32 v3, v1, v6
	v_mov_b32_e32 v1, s3
	ds_bpermute_b32 v6, v7, v5
	ds_bpermute_b32 v4, v7, v3
	v_cmp_gt_i64_e32 vcc_lo, s[6:7], v[0:1]
	s_and_b32 s2, s2, vcc_lo
	s_delay_alu instid0(SALU_CYCLE_1)
	s_and_b32 exec_lo, exec_lo, s2
	s_cbranch_execz .LBB69_88
; %bb.84:
	s_load_b128 s[0:3], s[0:1], 0x30
	v_lshlrev_b64 v[0:1], 2, v[0:1]
	s_waitcnt lgkmcnt(0)
	s_cmp_eq_u64 s[0:1], 0
	s_cbranch_scc1 .LBB69_86
; %bb.85:
	v_add_f32_e32 v2, v5, v6
	s_delay_alu instid0(VALU_DEP_2)
	v_add_co_u32 v5, vcc_lo, s0, v0
	v_add_co_ci_u32_e32 v6, vcc_lo, s1, v1, vcc_lo
	global_store_b32 v[5:6], v2, off
.LBB69_86:
	s_cmp_eq_u64 s[2:3], 0
	s_cbranch_scc1 .LBB69_88
; %bb.87:
	v_add_co_u32 v0, vcc_lo, s2, v0
	v_add_f32_e32 v2, v3, v4
	v_add_co_ci_u32_e32 v1, vcc_lo, s3, v1, vcc_lo
	global_store_b32 v[0:1], v2, off
.LBB69_88:
	s_nop 0
	s_sendmsg sendmsg(MSG_DEALLOC_VGPRS)
	s_endpgm
	.section	.rodata,"a",@progbits
	.p2align	6, 0x0
	.amdhsa_kernel _ZN2at6native12_GLOBAL__N_135GammaBetaBackwardCUDAKernelTemplateIffLj32ELj32ELj256ELb0ELb0ELb0EEEvllPKT_S5_PKT0_S8_PS3_S9_
		.amdhsa_group_segment_fixed_size 0
		.amdhsa_private_segment_fixed_size 0
		.amdhsa_kernarg_size 320
		.amdhsa_user_sgpr_count 14
		.amdhsa_user_sgpr_dispatch_ptr 0
		.amdhsa_user_sgpr_queue_ptr 0
		.amdhsa_user_sgpr_kernarg_segment_ptr 1
		.amdhsa_user_sgpr_dispatch_id 0
		.amdhsa_user_sgpr_private_segment_size 0
		.amdhsa_wavefront_size32 1
		.amdhsa_uses_dynamic_stack 0
		.amdhsa_enable_private_segment 0
		.amdhsa_system_sgpr_workgroup_id_x 1
		.amdhsa_system_sgpr_workgroup_id_y 1
		.amdhsa_system_sgpr_workgroup_id_z 0
		.amdhsa_system_sgpr_workgroup_info 0
		.amdhsa_system_vgpr_workitem_id 1
		.amdhsa_next_free_vgpr 94
		.amdhsa_next_free_sgpr 40
		.amdhsa_reserve_vcc 1
		.amdhsa_float_round_mode_32 0
		.amdhsa_float_round_mode_16_64 0
		.amdhsa_float_denorm_mode_32 3
		.amdhsa_float_denorm_mode_16_64 3
		.amdhsa_dx10_clamp 1
		.amdhsa_ieee_mode 1
		.amdhsa_fp16_overflow 0
		.amdhsa_workgroup_processor_mode 1
		.amdhsa_memory_ordered 1
		.amdhsa_forward_progress 0
		.amdhsa_shared_vgpr_count 0
		.amdhsa_exception_fp_ieee_invalid_op 0
		.amdhsa_exception_fp_denorm_src 0
		.amdhsa_exception_fp_ieee_div_zero 0
		.amdhsa_exception_fp_ieee_overflow 0
		.amdhsa_exception_fp_ieee_underflow 0
		.amdhsa_exception_fp_ieee_inexact 0
		.amdhsa_exception_int_div_zero 0
	.end_amdhsa_kernel
	.section	.text._ZN2at6native12_GLOBAL__N_135GammaBetaBackwardCUDAKernelTemplateIffLj32ELj32ELj256ELb0ELb0ELb0EEEvllPKT_S5_PKT0_S8_PS3_S9_,"axG",@progbits,_ZN2at6native12_GLOBAL__N_135GammaBetaBackwardCUDAKernelTemplateIffLj32ELj32ELj256ELb0ELb0ELb0EEEvllPKT_S5_PKT0_S8_PS3_S9_,comdat
.Lfunc_end69:
	.size	_ZN2at6native12_GLOBAL__N_135GammaBetaBackwardCUDAKernelTemplateIffLj32ELj32ELj256ELb0ELb0ELb0EEEvllPKT_S5_PKT0_S8_PS3_S9_, .Lfunc_end69-_ZN2at6native12_GLOBAL__N_135GammaBetaBackwardCUDAKernelTemplateIffLj32ELj32ELj256ELb0ELb0ELb0EEEvllPKT_S5_PKT0_S8_PS3_S9_
                                        ; -- End function
	.section	.AMDGPU.csdata,"",@progbits
; Kernel info:
; codeLenInByte = 8132
; NumSgprs: 42
; NumVgprs: 94
; ScratchSize: 0
; MemoryBound: 0
; FloatMode: 240
; IeeeMode: 1
; LDSByteSize: 0 bytes/workgroup (compile time only)
; SGPRBlocks: 5
; VGPRBlocks: 11
; NumSGPRsForWavesPerEU: 42
; NumVGPRsForWavesPerEU: 94
; Occupancy: 16
; WaveLimiterHint : 0
; COMPUTE_PGM_RSRC2:SCRATCH_EN: 0
; COMPUTE_PGM_RSRC2:USER_SGPR: 14
; COMPUTE_PGM_RSRC2:TRAP_HANDLER: 0
; COMPUTE_PGM_RSRC2:TGID_X_EN: 1
; COMPUTE_PGM_RSRC2:TGID_Y_EN: 1
; COMPUTE_PGM_RSRC2:TGID_Z_EN: 0
; COMPUTE_PGM_RSRC2:TIDIG_COMP_CNT: 1
	.section	.text._ZN2at6native12_GLOBAL__N_118cuComputeGradInputIN3c104HalfEfLb0EEEvPKT_S7_llPKT0_SA_S7_PS5_,"axG",@progbits,_ZN2at6native12_GLOBAL__N_118cuComputeGradInputIN3c104HalfEfLb0EEEvPKT_S7_llPKT0_SA_S7_PS5_,comdat
	.globl	_ZN2at6native12_GLOBAL__N_118cuComputeGradInputIN3c104HalfEfLb0EEEvPKT_S7_llPKT0_SA_S7_PS5_ ; -- Begin function _ZN2at6native12_GLOBAL__N_118cuComputeGradInputIN3c104HalfEfLb0EEEvPKT_S7_llPKT0_SA_S7_PS5_
	.p2align	8
	.type	_ZN2at6native12_GLOBAL__N_118cuComputeGradInputIN3c104HalfEfLb0EEEvPKT_S7_llPKT0_SA_S7_PS5_,@function
_ZN2at6native12_GLOBAL__N_118cuComputeGradInputIN3c104HalfEfLb0EEEvPKT_S7_llPKT0_SA_S7_PS5_: ; @_ZN2at6native12_GLOBAL__N_118cuComputeGradInputIN3c104HalfEfLb0EEEvPKT_S7_llPKT0_SA_S7_PS5_
; %bb.0:
	s_load_b128 s[16:19], s[0:1], 0x10
	s_mov_b32 s6, s15
	s_ashr_i32 s7, s15, 31
	s_waitcnt lgkmcnt(0)
	v_cmp_ge_i64_e64 s2, s[6:7], s[16:17]
	s_delay_alu instid0(VALU_DEP_1)
	s_and_b32 vcc_lo, exec_lo, s2
	s_cbranch_vccnz .LBB70_47
; %bb.1:
	s_clause 0x1
	s_load_b32 s4, s[0:1], 0x4c
	s_load_b256 s[8:15], s[0:1], 0x20
	s_cls_i32 s3, s19
	v_and_b32_e32 v11, 0x3ff, v0
	v_bfe_u32 v12, v0, 10, 10
	s_clause 0x1
	s_load_b32 s31, s[0:1], 0x44
	s_load_b128 s[20:23], s[0:1], 0x0
	v_cmp_gt_i64_e64 s33, s[18:19], 0
	v_mbcnt_lo_u32_b32 v14, -1, 0
	v_lshl_add_u32 v15, v11, 3, 0
	v_cmp_eq_u32_e64 s0, 0, v12
	v_cmp_ne_u32_e64 s1, 0, v12
	s_mov_b32 s24, 0
	v_cndmask_b32_e64 v13, 0, 1, s33
	s_waitcnt lgkmcnt(0)
	s_lshr_b32 s28, s4, 16
	s_and_b32 s29, s4, 0xffff
	s_cmp_lg_u64 s[12:13], 0
	v_mad_u32_u24 v0, v12, s29, v11
	s_cselect_b32 s30, -1, 0
	s_xor_b32 s2, s18, s19
	s_add_i32 s3, s3, -1
	s_ashr_i32 s2, s2, 31
	s_mul_i32 s35, s28, s29
	s_add_i32 s2, s2, 32
	v_lshlrev_b32_e32 v7, 3, v0
	s_min_u32 s5, s3, s2
	s_ashr_i32 s36, s35, 31
	s_lshl_b64 s[2:3], s[18:19], s5
	v_cmp_gt_u16_e64 s34, s4, 1
	s_min_u32 s2, s2, 1
	v_cmp_gt_u16_e64 s37, s28, 1
	s_or_b32 s2, s3, s2
	v_add_nc_u32_e32 v16, 0, v7
	v_cvt_f32_i32_e32 v1, s2
	s_sub_i32 s2, 32, s5
	s_delay_alu instid0(VALU_DEP_1) | instid1(SALU_CYCLE_1)
	v_ldexp_f32 v10, v1, s2
	s_delay_alu instid0(VALU_DEP_1) | instskip(SKIP_1) | instid1(VALU_DEP_2)
	v_div_scale_f32 v2, null, v10, v10, 1.0
	v_div_scale_f32 v4, vcc_lo, 1.0, v10, 1.0
	v_rcp_f32_e32 v3, v2
	s_waitcnt_depctr 0xfff
	v_fma_f32 v1, -v2, v3, 1.0
	s_delay_alu instid0(VALU_DEP_1) | instskip(SKIP_1) | instid1(VALU_DEP_2)
	v_fmac_f32_e32 v3, v1, v3
	v_mov_b32_e32 v1, 0
	v_mul_f32_e32 v5, v4, v3
	s_delay_alu instid0(VALU_DEP_2) | instskip(NEXT) | instid1(VALU_DEP_2)
	v_cmp_gt_i64_e64 s2, s[18:19], v[0:1]
	v_fma_f32 v6, -v2, v5, v4
	s_delay_alu instid0(VALU_DEP_1) | instskip(NEXT) | instid1(VALU_DEP_1)
	v_dual_fmac_f32 v5, v6, v3 :: v_dual_add_nc_u32 v6, s35, v0
	v_fma_f32 v2, -v2, v5, v4
	s_delay_alu instid0(VALU_DEP_2) | instskip(NEXT) | instid1(VALU_DEP_2)
	v_ashrrev_i32_e32 v4, 31, v6
	v_div_fmas_f32 v5, v2, v3, v5
	v_sub_co_u32 v2, vcc_lo, v6, s35
	s_delay_alu instid0(VALU_DEP_3) | instskip(NEXT) | instid1(VALU_DEP_3)
	v_subrev_co_ci_u32_e32 v3, vcc_lo, s36, v4, vcc_lo
	v_div_fixup_f32 v17, v5, v10, 1.0
	s_branch .LBB70_4
.LBB70_2:                               ;   in Loop: Header=BB70_4 Depth=1
	s_set_inst_prefetch_distance 0x2
	s_or_b32 exec_lo, exec_lo, s25
.LBB70_3:                               ;   in Loop: Header=BB70_4 Depth=1
	s_add_i32 s6, s31, s6
	s_waitcnt_vscnt null, 0x0
	s_ashr_i32 s7, s6, 31
	s_barrier
	v_cmp_ge_i64_e64 s3, s[6:7], s[16:17]
	buffer_gl0_inv
	s_and_b32 vcc_lo, exec_lo, s3
	s_cbranch_vccnz .LBB70_47
.LBB70_4:                               ; =>This Loop Header: Depth=1
                                        ;     Child Loop BB70_8 Depth 2
                                        ;     Child Loop BB70_19 Depth 2
	;; [unrolled: 1-line block ×6, first 2 shown]
	s_mul_i32 s3, s6, s19
	s_mul_hi_u32 s4, s6, s18
	s_mul_i32 s25, s7, s18
	s_add_i32 s3, s4, s3
	s_lshl_b64 s[4:5], s[6:7], 2
	s_add_i32 s27, s3, s25
	s_add_u32 s38, s8, s4
	s_addc_u32 s39, s9, s5
	s_add_u32 s4, s10, s4
	s_addc_u32 s5, s11, s5
	s_load_b32 s7, s[38:39], 0x0
	s_load_b32 s38, s[4:5], 0x0
	s_mul_i32 s26, s6, s18
	v_cmp_ne_u32_e64 s3, 1, v13
	s_lshl_b64 s[26:27], s[26:27], 1
	s_delay_alu instid0(SALU_CYCLE_1)
	s_add_u32 s39, s22, s26
	s_addc_u32 s40, s23, s27
	s_add_u32 s41, s20, s26
	s_addc_u32 s42, s21, s27
	s_and_not1_b32 vcc_lo, exec_lo, s30
	s_cbranch_vccnz .LBB70_15
; %bb.5:                                ;   in Loop: Header=BB70_4 Depth=1
	s_mov_b32 s25, s24
	s_delay_alu instid0(SALU_CYCLE_1)
	v_dual_mov_b32 v4, s24 :: v_dual_mov_b32 v5, s25
	s_and_b32 vcc_lo, exec_lo, s3
	s_cbranch_vccnz .LBB70_14
; %bb.6:                                ;   in Loop: Header=BB70_4 Depth=1
	v_dual_mov_b32 v4, 0 :: v_dual_mov_b32 v5, 0
	s_mov_b32 s4, 0
	s_branch .LBB70_8
.LBB70_7:                               ;   in Loop: Header=BB70_8 Depth=2
	s_or_b32 exec_lo, exec_lo, s3
	s_waitcnt vmcnt(0)
	v_cvt_f32_f16_e32 v6, v18
	v_cvt_f32_f16_e32 v7, v8
	;; [unrolled: 1-line block ×3, first 2 shown]
	s_add_i32 s4, s4, s35
	v_fma_mix_f32 v4, v8, v9, v4 op_sel_hi:[1,1,0]
	s_waitcnt lgkmcnt(0)
	v_subrev_f32_e32 v6, s7, v6
	s_ashr_i32 s5, s4, 31
	v_mul_f32_e32 v7, v7, v18
	v_cmp_ge_i64_e64 s3, s[4:5], s[18:19]
	s_delay_alu instid0(VALU_DEP_2) | instskip(NEXT) | instid1(VALU_DEP_2)
	v_mul_f32_e32 v6, v6, v7
	s_and_b32 vcc_lo, exec_lo, s3
	s_delay_alu instid0(VALU_DEP_1)
	v_fmac_f32_e32 v5, s38, v6
	s_cbranch_vccnz .LBB70_14
.LBB70_8:                               ;   Parent Loop BB70_4 Depth=1
                                        ; =>  This Inner Loop Header: Depth=2
	v_add_nc_u32_e32 v6, s4, v0
	v_mov_b32_e32 v8, 0
	s_delay_alu instid0(VALU_DEP_2) | instskip(NEXT) | instid1(VALU_DEP_1)
	v_ashrrev_i32_e32 v7, 31, v6
	v_cmp_gt_i64_e32 vcc_lo, s[18:19], v[6:7]
	v_lshlrev_b64 v[6:7], 1, v[6:7]
	s_and_saveexec_b32 s5, vcc_lo
	s_cbranch_execnz .LBB70_11
; %bb.9:                                ;   in Loop: Header=BB70_8 Depth=2
	s_or_b32 exec_lo, exec_lo, s5
	v_mov_b32_e32 v18, 0
	s_and_saveexec_b32 s5, vcc_lo
	s_cbranch_execnz .LBB70_12
.LBB70_10:                              ;   in Loop: Header=BB70_8 Depth=2
	s_or_b32 exec_lo, exec_lo, s5
	v_mov_b32_e32 v9, 0
	s_and_saveexec_b32 s3, vcc_lo
	s_cbranch_execz .LBB70_7
	s_branch .LBB70_13
.LBB70_11:                              ;   in Loop: Header=BB70_8 Depth=2
	s_delay_alu instid0(VALU_DEP_1) | instskip(NEXT) | instid1(VALU_DEP_1)
	v_add_co_u32 v8, s3, s12, v6
	v_add_co_ci_u32_e64 v9, s3, s13, v7, s3
	global_load_u16 v8, v[8:9], off
	s_or_b32 exec_lo, exec_lo, s5
	v_mov_b32_e32 v18, 0
	s_and_saveexec_b32 s5, vcc_lo
	s_cbranch_execz .LBB70_10
.LBB70_12:                              ;   in Loop: Header=BB70_8 Depth=2
	v_add_co_u32 v18, s3, s39, v6
	s_delay_alu instid0(VALU_DEP_1)
	v_add_co_ci_u32_e64 v19, s3, s40, v7, s3
	global_load_u16 v18, v[18:19], off
	s_or_b32 exec_lo, exec_lo, s5
	v_mov_b32_e32 v9, 0
	s_and_saveexec_b32 s3, vcc_lo
	s_cbranch_execz .LBB70_7
.LBB70_13:                              ;   in Loop: Header=BB70_8 Depth=2
	v_add_co_u32 v6, vcc_lo, s41, v6
	v_add_co_ci_u32_e32 v7, vcc_lo, s42, v7, vcc_lo
	global_load_u16 v9, v[6:7], off
	s_branch .LBB70_7
.LBB70_14:                              ;   in Loop: Header=BB70_4 Depth=1
	s_cbranch_execz .LBB70_16
	s_branch .LBB70_23
.LBB70_15:                              ;   in Loop: Header=BB70_4 Depth=1
                                        ; implicit-def: $vgpr4_vgpr5
.LBB70_16:                              ;   in Loop: Header=BB70_4 Depth=1
	s_mov_b32 s25, s24
	s_delay_alu instid0(SALU_CYCLE_1)
	v_dual_mov_b32 v4, s24 :: v_dual_mov_b32 v5, s25
	s_and_not1_b32 vcc_lo, exec_lo, s33
	s_cbranch_vccnz .LBB70_23
; %bb.17:                               ;   in Loop: Header=BB70_4 Depth=1
	v_dual_mov_b32 v4, 0 :: v_dual_mov_b32 v5, 0
	s_mov_b32 s4, 0
	s_set_inst_prefetch_distance 0x1
	s_branch .LBB70_19
	.p2align	6
.LBB70_18:                              ;   in Loop: Header=BB70_19 Depth=2
	s_or_b32 exec_lo, exec_lo, s3
	s_waitcnt vmcnt(0)
	v_cvt_f32_f16_e32 v6, v8
	v_cvt_f32_f16_e32 v7, v9
	s_add_i32 s4, s4, s35
	s_delay_alu instid0(SALU_CYCLE_1) | instskip(SKIP_3) | instid1(VALU_DEP_2)
	s_ashr_i32 s5, s4, 31
	s_waitcnt lgkmcnt(0)
	v_subrev_f32_e32 v6, s7, v6
	v_cmp_ge_i64_e64 s3, s[4:5], s[18:19]
	v_mul_f32_e32 v6, v6, v7
	v_add_f32_e32 v4, v4, v7
	s_delay_alu instid0(VALU_DEP_3) | instskip(NEXT) | instid1(VALU_DEP_2)
	s_and_b32 vcc_lo, exec_lo, s3
	v_fmac_f32_e32 v5, s38, v6
	s_cbranch_vccnz .LBB70_23
.LBB70_19:                              ;   Parent Loop BB70_4 Depth=1
                                        ; =>  This Inner Loop Header: Depth=2
	v_add_nc_u32_e32 v6, s4, v0
	v_mov_b32_e32 v8, 0
	s_delay_alu instid0(VALU_DEP_2) | instskip(NEXT) | instid1(VALU_DEP_1)
	v_ashrrev_i32_e32 v7, 31, v6
	v_cmp_gt_i64_e32 vcc_lo, s[18:19], v[6:7]
	v_lshlrev_b64 v[6:7], 1, v[6:7]
	s_and_saveexec_b32 s5, vcc_lo
	s_cbranch_execz .LBB70_21
; %bb.20:                               ;   in Loop: Header=BB70_19 Depth=2
	s_delay_alu instid0(VALU_DEP_1) | instskip(NEXT) | instid1(VALU_DEP_1)
	v_add_co_u32 v8, s3, s39, v6
	v_add_co_ci_u32_e64 v9, s3, s40, v7, s3
	global_load_u16 v8, v[8:9], off
.LBB70_21:                              ;   in Loop: Header=BB70_19 Depth=2
	s_or_b32 exec_lo, exec_lo, s5
	v_mov_b32_e32 v9, 0
	s_and_saveexec_b32 s3, vcc_lo
	s_cbranch_execz .LBB70_18
; %bb.22:                               ;   in Loop: Header=BB70_19 Depth=2
	v_add_co_u32 v6, vcc_lo, s41, v6
	v_add_co_ci_u32_e32 v7, vcc_lo, s42, v7, vcc_lo
	global_load_u16 v9, v[6:7], off
	s_branch .LBB70_18
.LBB70_23:                              ;   in Loop: Header=BB70_4 Depth=1
	s_set_inst_prefetch_distance 0x2
	s_and_not1_b32 vcc_lo, exec_lo, s34
	s_cbranch_vccnz .LBB70_26
; %bb.24:                               ;   in Loop: Header=BB70_4 Depth=1
	s_mov_b32 s3, s29
.LBB70_25:                              ;   Parent Loop BB70_4 Depth=1
                                        ; =>  This Inner Loop Header: Depth=2
	s_delay_alu instid0(SALU_CYCLE_1) | instskip(SKIP_3) | instid1(VALU_DEP_1)
	s_lshr_b32 s4, s3, 1
	s_cmp_lt_u32 s3, 4
	v_xor_b32_e32 v6, s4, v14
	s_mov_b32 s3, s4
	v_cmp_gt_i32_e32 vcc_lo, 32, v6
	v_cndmask_b32_e32 v6, v14, v6, vcc_lo
	s_delay_alu instid0(VALU_DEP_1)
	v_lshlrev_b32_e32 v6, 2, v6
	ds_bpermute_b32 v7, v6, v5
	ds_bpermute_b32 v6, v6, v4
	s_waitcnt lgkmcnt(0)
	v_dual_add_f32 v5, v5, v7 :: v_dual_add_f32 v4, v4, v6
	s_cbranch_scc0 .LBB70_25
.LBB70_26:                              ;   in Loop: Header=BB70_4 Depth=1
	s_and_not1_b32 vcc_lo, exec_lo, s37
	s_mov_b32 s5, s28
	s_cbranch_vccnz .LBB70_38
	.p2align	6
.LBB70_27:                              ;   Parent Loop BB70_4 Depth=1
                                        ; =>  This Inner Loop Header: Depth=2
	s_lshr_b32 s25, s5, 1
	s_and_b32 s4, s5, 0xfffe
	v_cmp_le_u32_e64 s3, s25, v12
	v_cmp_gt_u32_e64 s4, s4, v12
	v_cmp_gt_u32_e32 vcc_lo, s25, v12
	s_delay_alu instid0(VALU_DEP_2) | instskip(NEXT) | instid1(SALU_CYCLE_1)
	s_and_b32 s4, s3, s4
	s_and_saveexec_b32 s3, s4
	s_cbranch_execz .LBB70_29
; %bb.28:                               ;   in Loop: Header=BB70_27 Depth=2
	v_subrev_nc_u32_e32 v6, s25, v12
	s_delay_alu instid0(VALU_DEP_1) | instskip(NEXT) | instid1(VALU_DEP_1)
	v_mad_i32_i24 v6, v6, s29, v11
	v_lshl_add_u32 v6, v6, 3, 0
	ds_store_b64 v6, v[4:5]
.LBB70_29:                              ;   in Loop: Header=BB70_27 Depth=2
	s_or_b32 exec_lo, exec_lo, s3
	s_waitcnt lgkmcnt(0)
	s_barrier
	buffer_gl0_inv
	s_and_saveexec_b32 s3, vcc_lo
	s_cbranch_execz .LBB70_31
; %bb.30:                               ;   in Loop: Header=BB70_27 Depth=2
	ds_load_b64 v[6:7], v16
	s_waitcnt lgkmcnt(0)
	v_dual_add_f32 v5, v5, v7 :: v_dual_add_f32 v4, v4, v6
.LBB70_31:                              ;   in Loop: Header=BB70_27 Depth=2
	s_or_b32 exec_lo, exec_lo, s3
	s_cmp_lt_u32 s5, 4
	s_barrier
	buffer_gl0_inv
	s_cbranch_scc1 .LBB70_33
; %bb.32:                               ;   in Loop: Header=BB70_27 Depth=2
	s_mov_b32 s5, s25
	s_branch .LBB70_27
.LBB70_33:                              ;   in Loop: Header=BB70_4 Depth=1
	s_and_saveexec_b32 s3, s0
	s_cbranch_execz .LBB70_35
; %bb.34:                               ;   in Loop: Header=BB70_4 Depth=1
	ds_store_b64 v15, v[4:5]
.LBB70_35:                              ;   in Loop: Header=BB70_4 Depth=1
	s_or_b32 exec_lo, exec_lo, s3
	s_waitcnt lgkmcnt(0)
	s_barrier
	buffer_gl0_inv
	s_and_saveexec_b32 s3, s1
	s_cbranch_execz .LBB70_37
; %bb.36:                               ;   in Loop: Header=BB70_4 Depth=1
	ds_load_b64 v[4:5], v15
.LBB70_37:                              ;   in Loop: Header=BB70_4 Depth=1
	s_or_b32 exec_lo, exec_lo, s3
.LBB70_38:                              ;   in Loop: Header=BB70_4 Depth=1
	s_waitcnt lgkmcnt(0)
	v_mul_f32_e32 v18, s38, v17
	s_add_u32 s4, s14, s26
	s_addc_u32 s5, s15, s27
	s_and_not1_b32 vcc_lo, exec_lo, s30
	s_cbranch_vccnz .LBB70_43
; %bb.39:                               ;   in Loop: Header=BB70_4 Depth=1
	s_and_saveexec_b32 s25, s2
	s_cbranch_execz .LBB70_42
; %bb.40:                               ;   in Loop: Header=BB70_4 Depth=1
	v_dual_mov_b32 v7, v3 :: v_dual_mov_b32 v6, v2
	v_dual_mov_b32 v9, v1 :: v_dual_mov_b32 v8, v0
	s_mov_b32 s26, 0
	s_set_inst_prefetch_distance 0x1
	.p2align	6
.LBB70_41:                              ;   Parent Loop BB70_4 Depth=1
                                        ; =>  This Inner Loop Header: Depth=2
	s_delay_alu instid0(VALU_DEP_1) | instskip(NEXT) | instid1(VALU_DEP_1)
	v_lshlrev_b64 v[19:20], 1, v[8:9]
	v_add_co_u32 v8, vcc_lo, s41, v19
	s_delay_alu instid0(VALU_DEP_2)
	v_add_co_ci_u32_e32 v9, vcc_lo, s42, v20, vcc_lo
	v_add_co_u32 v21, vcc_lo, s39, v19
	v_add_co_ci_u32_e32 v22, vcc_lo, s40, v20, vcc_lo
	v_add_co_u32 v23, vcc_lo, s12, v19
	global_load_u16 v8, v[8:9], off
	global_load_u16 v9, v[21:22], off
	v_add_co_ci_u32_e32 v24, vcc_lo, s13, v20, vcc_lo
	v_add_co_u32 v6, vcc_lo, v6, s35
	v_add_co_ci_u32_e32 v7, vcc_lo, s36, v7, vcc_lo
	global_load_u16 v21, v[23:24], off
	v_add_co_u32 v19, s3, s4, v19
	v_cmp_le_i64_e32 vcc_lo, s[18:19], v[6:7]
	v_add_co_ci_u32_e64 v20, s3, s5, v20, s3
	s_or_b32 s26, vcc_lo, s26
	s_waitcnt vmcnt(2)
	v_cvt_f32_f16_e32 v8, v8
	s_waitcnt vmcnt(1)
	v_cvt_f32_f16_e32 v9, v9
	s_delay_alu instid0(VALU_DEP_1) | instskip(SKIP_1) | instid1(VALU_DEP_1)
	v_dual_mul_f32 v8, v10, v8 :: v_dual_subrev_f32 v9, s7, v9
	s_waitcnt vmcnt(0)
	v_fma_mix_f32 v8, v8, v21, -v4 op_sel_hi:[0,1,0]
	s_delay_alu instid0(VALU_DEP_2) | instskip(SKIP_1) | instid1(VALU_DEP_2)
	v_mul_f32_e32 v21, s38, v9
	v_ashrrev_i32_e32 v9, 31, v6
	v_fma_f32 v8, -v5, v21, v8
	s_delay_alu instid0(VALU_DEP_1)
	v_fma_mixlo_f16 v21, v18, v8, 0
	v_mov_b32_e32 v8, v6
	global_store_b16 v[19:20], v21, off
	s_and_not1_b32 exec_lo, exec_lo, s26
	s_cbranch_execnz .LBB70_41
.LBB70_42:                              ;   in Loop: Header=BB70_4 Depth=1
	s_set_inst_prefetch_distance 0x2
	s_or_b32 exec_lo, exec_lo, s25
	s_cbranch_execnz .LBB70_3
	s_branch .LBB70_44
.LBB70_43:                              ;   in Loop: Header=BB70_4 Depth=1
.LBB70_44:                              ;   in Loop: Header=BB70_4 Depth=1
	s_and_saveexec_b32 s25, s2
	s_cbranch_execz .LBB70_2
; %bb.45:                               ;   in Loop: Header=BB70_4 Depth=1
	v_dual_mov_b32 v7, v3 :: v_dual_mov_b32 v6, v2
	v_dual_mov_b32 v9, v1 :: v_dual_mov_b32 v8, v0
	s_mov_b32 s26, 0
	s_set_inst_prefetch_distance 0x1
	.p2align	6
.LBB70_46:                              ;   Parent Loop BB70_4 Depth=1
                                        ; =>  This Inner Loop Header: Depth=2
	s_delay_alu instid0(VALU_DEP_1) | instskip(NEXT) | instid1(VALU_DEP_1)
	v_lshlrev_b64 v[19:20], 1, v[8:9]
	v_add_co_u32 v8, vcc_lo, s39, v19
	s_delay_alu instid0(VALU_DEP_2)
	v_add_co_ci_u32_e32 v9, vcc_lo, s40, v20, vcc_lo
	v_add_co_u32 v21, vcc_lo, s41, v19
	v_add_co_ci_u32_e32 v22, vcc_lo, s42, v20, vcc_lo
	global_load_u16 v8, v[8:9], off
	v_add_co_u32 v6, vcc_lo, v6, s35
	global_load_u16 v9, v[21:22], off
	v_add_co_ci_u32_e32 v7, vcc_lo, s36, v7, vcc_lo
	v_add_co_u32 v19, s3, s4, v19
	s_delay_alu instid0(VALU_DEP_1) | instskip(NEXT) | instid1(VALU_DEP_3)
	v_add_co_ci_u32_e64 v20, s3, s5, v20, s3
	v_cmp_le_i64_e32 vcc_lo, s[18:19], v[6:7]
	s_or_b32 s26, vcc_lo, s26
	s_waitcnt vmcnt(1)
	v_cvt_f32_f16_e32 v8, v8
	s_waitcnt vmcnt(0)
	v_fma_mix_f32 v21, v10, v9, -v4 op_sel_hi:[0,1,0]
	v_ashrrev_i32_e32 v9, 31, v6
	s_delay_alu instid0(VALU_DEP_3) | instskip(NEXT) | instid1(VALU_DEP_1)
	v_subrev_f32_e32 v8, s7, v8
	v_mul_f32_e32 v8, s38, v8
	s_delay_alu instid0(VALU_DEP_1) | instskip(NEXT) | instid1(VALU_DEP_1)
	v_fma_f32 v8, -v8, v5, v21
	v_fma_mixlo_f16 v21, v18, v8, 0
	v_mov_b32_e32 v8, v6
	global_store_b16 v[19:20], v21, off
	s_and_not1_b32 exec_lo, exec_lo, s26
	s_cbranch_execnz .LBB70_46
	s_branch .LBB70_2
.LBB70_47:
	s_endpgm
	.section	.rodata,"a",@progbits
	.p2align	6, 0x0
	.amdhsa_kernel _ZN2at6native12_GLOBAL__N_118cuComputeGradInputIN3c104HalfEfLb0EEEvPKT_S7_llPKT0_SA_S7_PS5_
		.amdhsa_group_segment_fixed_size 0
		.amdhsa_private_segment_fixed_size 0
		.amdhsa_kernarg_size 320
		.amdhsa_user_sgpr_count 14
		.amdhsa_user_sgpr_dispatch_ptr 0
		.amdhsa_user_sgpr_queue_ptr 0
		.amdhsa_user_sgpr_kernarg_segment_ptr 1
		.amdhsa_user_sgpr_dispatch_id 0
		.amdhsa_user_sgpr_private_segment_size 0
		.amdhsa_wavefront_size32 1
		.amdhsa_uses_dynamic_stack 0
		.amdhsa_enable_private_segment 0
		.amdhsa_system_sgpr_workgroup_id_x 1
		.amdhsa_system_sgpr_workgroup_id_y 1
		.amdhsa_system_sgpr_workgroup_id_z 0
		.amdhsa_system_sgpr_workgroup_info 0
		.amdhsa_system_vgpr_workitem_id 1
		.amdhsa_next_free_vgpr 25
		.amdhsa_next_free_sgpr 43
		.amdhsa_reserve_vcc 1
		.amdhsa_float_round_mode_32 0
		.amdhsa_float_round_mode_16_64 0
		.amdhsa_float_denorm_mode_32 3
		.amdhsa_float_denorm_mode_16_64 3
		.amdhsa_dx10_clamp 1
		.amdhsa_ieee_mode 1
		.amdhsa_fp16_overflow 0
		.amdhsa_workgroup_processor_mode 1
		.amdhsa_memory_ordered 1
		.amdhsa_forward_progress 0
		.amdhsa_shared_vgpr_count 0
		.amdhsa_exception_fp_ieee_invalid_op 0
		.amdhsa_exception_fp_denorm_src 0
		.amdhsa_exception_fp_ieee_div_zero 0
		.amdhsa_exception_fp_ieee_overflow 0
		.amdhsa_exception_fp_ieee_underflow 0
		.amdhsa_exception_fp_ieee_inexact 0
		.amdhsa_exception_int_div_zero 0
	.end_amdhsa_kernel
	.section	.text._ZN2at6native12_GLOBAL__N_118cuComputeGradInputIN3c104HalfEfLb0EEEvPKT_S7_llPKT0_SA_S7_PS5_,"axG",@progbits,_ZN2at6native12_GLOBAL__N_118cuComputeGradInputIN3c104HalfEfLb0EEEvPKT_S7_llPKT0_SA_S7_PS5_,comdat
.Lfunc_end70:
	.size	_ZN2at6native12_GLOBAL__N_118cuComputeGradInputIN3c104HalfEfLb0EEEvPKT_S7_llPKT0_SA_S7_PS5_, .Lfunc_end70-_ZN2at6native12_GLOBAL__N_118cuComputeGradInputIN3c104HalfEfLb0EEEvPKT_S7_llPKT0_SA_S7_PS5_
                                        ; -- End function
	.section	.AMDGPU.csdata,"",@progbits
; Kernel info:
; codeLenInByte = 1880
; NumSgprs: 45
; NumVgprs: 25
; ScratchSize: 0
; MemoryBound: 0
; FloatMode: 240
; IeeeMode: 1
; LDSByteSize: 0 bytes/workgroup (compile time only)
; SGPRBlocks: 5
; VGPRBlocks: 3
; NumSGPRsForWavesPerEU: 45
; NumVGPRsForWavesPerEU: 25
; Occupancy: 16
; WaveLimiterHint : 0
; COMPUTE_PGM_RSRC2:SCRATCH_EN: 0
; COMPUTE_PGM_RSRC2:USER_SGPR: 14
; COMPUTE_PGM_RSRC2:TRAP_HANDLER: 0
; COMPUTE_PGM_RSRC2:TGID_X_EN: 1
; COMPUTE_PGM_RSRC2:TGID_Y_EN: 1
; COMPUTE_PGM_RSRC2:TGID_Z_EN: 0
; COMPUTE_PGM_RSRC2:TIDIG_COMP_CNT: 1
	.section	.text._ZN2at6native12_GLOBAL__N_128layer_norm_grad_input_kernelIN3c104HalfEfLb0EEEvPKT_S7_PKT0_SA_S7_PS5_i,"axG",@progbits,_ZN2at6native12_GLOBAL__N_128layer_norm_grad_input_kernelIN3c104HalfEfLb0EEEvPKT_S7_PKT0_SA_S7_PS5_i,comdat
	.globl	_ZN2at6native12_GLOBAL__N_128layer_norm_grad_input_kernelIN3c104HalfEfLb0EEEvPKT_S7_PKT0_SA_S7_PS5_i ; -- Begin function _ZN2at6native12_GLOBAL__N_128layer_norm_grad_input_kernelIN3c104HalfEfLb0EEEvPKT_S7_PKT0_SA_S7_PS5_i
	.p2align	8
	.type	_ZN2at6native12_GLOBAL__N_128layer_norm_grad_input_kernelIN3c104HalfEfLb0EEEvPKT_S7_PKT0_SA_S7_PS5_i,@function
_ZN2at6native12_GLOBAL__N_128layer_norm_grad_input_kernelIN3c104HalfEfLb0EEEvPKT_S7_PKT0_SA_S7_PS5_i: ; @_ZN2at6native12_GLOBAL__N_128layer_norm_grad_input_kernelIN3c104HalfEfLb0EEEvPKT_S7_PKT0_SA_S7_PS5_i
; %bb.0:
	s_clause 0x2
	s_load_b32 s14, s[0:1], 0x30
	s_load_b256 s[4:11], s[0:1], 0x0
	s_load_b64 s[12:13], s[0:1], 0x20
	s_mov_b32 s2, s15
	s_mov_b32 s3, 0
	v_dual_mov_b32 v10, 0 :: v_dual_lshlrev_b32 v1, 2, v0
	s_lshl_b64 s[16:17], s[2:3], 2
	v_mov_b32_e32 v9, 0
	s_delay_alu instid0(VALU_DEP_2) | instskip(SKIP_4) | instid1(SALU_CYCLE_1)
	v_or_b32_e32 v2, 3, v1
	s_waitcnt lgkmcnt(0)
	s_ashr_i32 s15, s14, 31
	s_mul_hi_u32 s18, s14, s2
	s_mul_i32 s15, s15, s2
	s_add_i32 s19, s18, s15
	s_add_u32 s8, s8, s16
	s_addc_u32 s9, s9, s17
	s_add_u32 s16, s10, s16
	s_addc_u32 s17, s11, s17
	s_load_b32 s10, s[8:9], 0x0
	s_load_b32 s11, s[16:17], 0x0
	s_mul_i32 s18, s14, s2
	s_mov_b32 s2, exec_lo
	s_lshl_b64 s[8:9], s[18:19], 1
	s_delay_alu instid0(SALU_CYCLE_1)
	s_add_u32 s15, s6, s8
	s_addc_u32 s16, s7, s9
	s_add_u32 s17, s4, s8
	s_addc_u32 s18, s5, s9
	v_cmpx_gt_u32_e64 s14, v2
	s_cbranch_execz .LBB71_12
; %bb.1:
	s_load_b32 s20, s[0:1], 0x44
	s_cmp_lg_u64 s[12:13], 0
	v_dual_mov_b32 v10, 0 :: v_dual_mov_b32 v9, 0
	s_cselect_b32 s19, -1, 0
	v_mov_b32_e32 v2, 0
	s_waitcnt lgkmcnt(0)
	s_and_b32 s20, s20, 0xffff
	s_delay_alu instid0(SALU_CYCLE_1)
	s_lshl_b32 s20, s20, 2
	s_add_u32 s21, s12, 2
	s_addc_u32 s22, s13, 0
	s_add_u32 s23, s12, 4
	s_addc_u32 s24, s13, 0
	;; [unrolled: 2-line block ×3, first 2 shown]
	s_branch .LBB71_3
.LBB71_2:                               ;   in Loop: Header=BB71_3 Depth=1
	global_load_u16 v5, v[5:6], off offset:6
	global_load_u16 v3, v[3:4], off offset:6
	s_waitcnt vmcnt(6)
	v_cvt_f32_f16_e32 v4, v17
	v_cvt_f32_f16_e32 v6, v16
	v_fma_mix_f32 v7, v12, v17, v10 op_sel_hi:[0,1,0]
	s_waitcnt vmcnt(5)
	v_cvt_f32_f16_e32 v8, v19
	v_dual_mul_f32 v4, v12, v4 :: v_dual_add_nc_u32 v1, s20, v1
	v_subrev_f32_e32 v6, s10, v6
	s_waitcnt vmcnt(4)
	v_cvt_f32_f16_e32 v10, v14
	s_waitcnt vmcnt(3)
	v_cvt_f32_f16_e32 v12, v20
	;; [unrolled: 2-line block ×3, first 2 shown]
	v_fma_mix_f32 v7, v11, v14, v7 op_sel_hi:[0,1,0]
	v_mul_f32_e32 v4, v6, v4
	v_subrev_f32_e32 v12, s10, v12
	s_delay_alu instid0(VALU_DEP_3) | instskip(NEXT) | instid1(VALU_DEP_3)
	v_fma_mix_f32 v7, v15, v18, v7 op_sel_hi:[0,1,0]
	v_dual_fmac_f32 v9, s11, v4 :: v_dual_mul_f32 v10, v11, v10
	s_waitcnt vmcnt(1)
	v_cvt_f32_f16_e32 v4, v5
	s_waitcnt vmcnt(0)
	v_cvt_f32_f16_e32 v3, v3
	v_subrev_f32_e32 v8, s10, v8
	s_delay_alu instid0(VALU_DEP_2) | instskip(NEXT) | instid1(VALU_DEP_2)
	v_dual_mul_f32 v4, v13, v4 :: v_dual_subrev_f32 v3, s10, v3
	v_mul_f32_e32 v8, v8, v10
	v_fma_mix_f32 v10, v13, v5, v7 op_sel_hi:[0,1,0]
	s_delay_alu instid0(VALU_DEP_3) | instskip(SKIP_1) | instid1(VALU_DEP_4)
	v_mul_f32_e32 v3, v3, v4
	v_mul_f32_e32 v6, v15, v16
	v_dual_fmac_f32 v9, s11, v8 :: v_dual_add_nc_u32 v8, 3, v1
	s_delay_alu instid0(VALU_DEP_2) | instskip(NEXT) | instid1(VALU_DEP_2)
	v_mul_f32_e32 v6, v12, v6
	v_cmp_le_u32_e32 vcc_lo, s14, v8
	s_delay_alu instid0(VALU_DEP_2) | instskip(SKIP_1) | instid1(VALU_DEP_1)
	v_fmac_f32_e32 v9, s11, v6
	s_or_b32 s3, vcc_lo, s3
	v_fmac_f32_e32 v9, s11, v3
	s_and_not1_b32 exec_lo, exec_lo, s3
	s_cbranch_execz .LBB71_11
.LBB71_3:                               ; =>This Inner Loop Header: Depth=1
	v_lshlrev_b64 v[7:8], 1, v[1:2]
	v_dual_mov_b32 v11, 1.0 :: v_dual_mov_b32 v12, 1.0
	s_and_b32 vcc_lo, exec_lo, s19
	s_cbranch_vccz .LBB71_5
; %bb.4:                                ;   in Loop: Header=BB71_3 Depth=1
	s_delay_alu instid0(VALU_DEP_2) | instskip(NEXT) | instid1(VALU_DEP_3)
	v_add_co_u32 v3, vcc_lo, s12, v7
	v_add_co_ci_u32_e32 v4, vcc_lo, s13, v8, vcc_lo
	global_load_u16 v3, v[3:4], off
	s_waitcnt vmcnt(0)
	v_cvt_f32_f16_e32 v12, v3
.LBB71_5:                               ;   in Loop: Header=BB71_3 Depth=1
	s_delay_alu instid0(VALU_DEP_2) | instskip(NEXT) | instid1(VALU_DEP_3)
	v_add_co_u32 v3, vcc_lo, s15, v7
	v_add_co_ci_u32_e32 v4, vcc_lo, s16, v8, vcc_lo
	v_add_co_u32 v5, vcc_lo, s17, v7
	v_add_co_ci_u32_e32 v6, vcc_lo, s18, v8, vcc_lo
	s_and_not1_b32 vcc_lo, exec_lo, s19
	global_load_u16 v16, v[3:4], off
	global_load_u16 v17, v[5:6], off
	s_cbranch_vccnz .LBB71_7
; %bb.6:                                ;   in Loop: Header=BB71_3 Depth=1
	v_add_co_u32 v13, vcc_lo, s21, v7
	v_add_co_ci_u32_e32 v14, vcc_lo, s22, v8, vcc_lo
	global_load_u16 v11, v[13:14], off
	s_waitcnt vmcnt(0)
	v_cvt_f32_f16_e32 v11, v11
.LBB71_7:                               ;   in Loop: Header=BB71_3 Depth=1
	global_load_u16 v19, v[3:4], off offset:2
	global_load_u16 v14, v[5:6], off offset:2
	v_mov_b32_e32 v13, 1.0
	v_mov_b32_e32 v15, 1.0
	s_and_not1_b32 vcc_lo, exec_lo, s19
	s_cbranch_vccnz .LBB71_9
; %bb.8:                                ;   in Loop: Header=BB71_3 Depth=1
	v_add_co_u32 v20, vcc_lo, s23, v7
	v_add_co_ci_u32_e32 v21, vcc_lo, s24, v8, vcc_lo
	global_load_u16 v15, v[20:21], off
	s_waitcnt vmcnt(0)
	v_cvt_f32_f16_e32 v15, v15
.LBB71_9:                               ;   in Loop: Header=BB71_3 Depth=1
	global_load_u16 v20, v[3:4], off offset:4
	global_load_u16 v18, v[5:6], off offset:4
	s_and_not1_b32 vcc_lo, exec_lo, s19
	s_cbranch_vccnz .LBB71_2
; %bb.10:                               ;   in Loop: Header=BB71_3 Depth=1
	v_add_co_u32 v7, vcc_lo, s25, v7
	v_add_co_ci_u32_e32 v8, vcc_lo, s26, v8, vcc_lo
	global_load_u16 v7, v[7:8], off
	s_waitcnt vmcnt(0)
	v_cvt_f32_f16_e32 v13, v7
	s_branch .LBB71_2
.LBB71_11:
	s_or_b32 exec_lo, exec_lo, s3
.LBB71_12:
	s_delay_alu instid0(SALU_CYCLE_1) | instskip(NEXT) | instid1(SALU_CYCLE_1)
	s_or_b32 exec_lo, exec_lo, s2
	s_mov_b32 s3, exec_lo
	v_cmpx_gt_u32_e64 s14, v1
	s_cbranch_execz .LBB71_19
; %bb.13:
	v_mov_b32_e32 v2, 0
	s_cmp_lg_u64 s[12:13], 0
	s_delay_alu instid0(VALU_DEP_1) | instskip(NEXT) | instid1(VALU_DEP_1)
	v_lshlrev_b64 v[2:3], 1, v[1:2]
	v_add_co_u32 v6, vcc_lo, s8, v2
	s_delay_alu instid0(VALU_DEP_2) | instskip(SKIP_2) | instid1(VALU_DEP_4)
	v_add_co_ci_u32_e32 v7, vcc_lo, s9, v3, vcc_lo
	v_add_co_u32 v2, vcc_lo, s12, v2
	v_add_co_ci_u32_e32 v3, vcc_lo, s13, v3, vcc_lo
	v_add_co_u32 v4, vcc_lo, s6, v6
	s_delay_alu instid0(VALU_DEP_4)
	v_add_co_ci_u32_e32 v5, vcc_lo, s7, v7, vcc_lo
	v_add_co_u32 v6, vcc_lo, s4, v6
	v_add_co_ci_u32_e32 v7, vcc_lo, s5, v7, vcc_lo
	s_cselect_b32 s4, -1, 0
	s_mov_b32 s5, 0
	s_set_inst_prefetch_distance 0x1
	s_branch .LBB71_16
	.p2align	6
.LBB71_14:                              ;   in Loop: Header=BB71_16 Depth=1
	global_load_u16 v8, v[2:3], off
	s_waitcnt vmcnt(0)
	v_cvt_f32_f16_e32 v8, v8
.LBB71_15:                              ;   in Loop: Header=BB71_16 Depth=1
	global_load_u16 v11, v[6:7], off
	global_load_u16 v12, v[4:5], off
	v_add_co_u32 v2, vcc_lo, v2, 2
	v_add_co_ci_u32_e32 v3, vcc_lo, 0, v3, vcc_lo
	v_add_co_u32 v4, vcc_lo, v4, 2
	v_add_co_ci_u32_e32 v5, vcc_lo, 0, v5, vcc_lo
	v_add_co_u32 v6, s2, v6, 2
	s_delay_alu instid0(VALU_DEP_1)
	v_add_co_ci_u32_e64 v7, s2, 0, v7, s2
	s_waitcnt vmcnt(1)
	v_cvt_f32_f16_e32 v13, v11
	s_waitcnt vmcnt(0)
	v_cvt_f32_f16_e32 v12, v12
	v_add_nc_u32_e32 v1, 1, v1
	v_fma_mix_f32 v10, v8, v11, v10 op_sel_hi:[0,1,0]
	s_waitcnt lgkmcnt(0)
	s_delay_alu instid0(VALU_DEP_3) | instskip(NEXT) | instid1(VALU_DEP_3)
	v_dual_mul_f32 v13, v8, v13 :: v_dual_subrev_f32 v12, s10, v12
	v_cmp_le_u32_e32 vcc_lo, s14, v1
	s_delay_alu instid0(VALU_DEP_2) | instskip(SKIP_1) | instid1(VALU_DEP_1)
	v_mul_f32_e32 v12, v12, v13
	s_or_b32 s5, vcc_lo, s5
	v_fmac_f32_e32 v9, s11, v12
	s_and_not1_b32 exec_lo, exec_lo, s5
	s_cbranch_execz .LBB71_18
.LBB71_16:                              ; =>This Inner Loop Header: Depth=1
	s_and_not1_b32 vcc_lo, exec_lo, s4
	s_cbranch_vccz .LBB71_14
; %bb.17:                               ;   in Loop: Header=BB71_16 Depth=1
	v_mov_b32_e32 v8, 1.0
	s_branch .LBB71_15
.LBB71_18:
	s_set_inst_prefetch_distance 0x2
	s_or_b32 exec_lo, exec_lo, s5
.LBB71_19:
	s_delay_alu instid0(SALU_CYCLE_1)
	s_or_b32 exec_lo, exec_lo, s3
	v_mbcnt_lo_u32_b32 v1, -1, 0
	s_waitcnt lgkmcnt(0)
	s_barrier
	buffer_gl0_inv
	v_cmp_gt_u32_e32 vcc_lo, 16, v1
	v_cndmask_b32_e64 v2, 0, 1, vcc_lo
	v_cmp_gt_u32_e32 vcc_lo, 24, v1
	s_delay_alu instid0(VALU_DEP_2) | instskip(SKIP_2) | instid1(VALU_DEP_3)
	v_lshlrev_b32_e32 v2, 4, v2
	v_cndmask_b32_e64 v4, 0, 1, vcc_lo
	v_cmp_gt_u32_e32 vcc_lo, 28, v1
	v_add_lshl_u32 v3, v2, v1, 2
	s_delay_alu instid0(VALU_DEP_3)
	v_lshlrev_b32_e32 v4, 3, v4
	v_cndmask_b32_e64 v5, 0, 1, vcc_lo
	v_cmp_gt_u32_e32 vcc_lo, 30, v1
	ds_bpermute_b32 v2, v3, v10
	v_add_lshl_u32 v4, v4, v1, 2
	v_lshlrev_b32_e32 v5, 2, v5
	s_delay_alu instid0(VALU_DEP_1)
	v_add_lshl_u32 v5, v5, v1, 2
	s_waitcnt lgkmcnt(0)
	v_add_f32_e32 v2, v10, v2
	ds_bpermute_b32 v6, v4, v2
	s_waitcnt lgkmcnt(0)
	v_add_f32_e32 v2, v2, v6
	v_cndmask_b32_e64 v6, 0, 1, vcc_lo
	v_cmp_ne_u32_e32 vcc_lo, 31, v1
	ds_bpermute_b32 v7, v5, v2
	v_lshlrev_b32_e32 v6, 1, v6
	v_add_co_ci_u32_e32 v8, vcc_lo, 0, v1, vcc_lo
	s_delay_alu instid0(VALU_DEP_2)
	v_add_lshl_u32 v6, v6, v1, 2
	s_waitcnt lgkmcnt(0)
	v_add_f32_e32 v2, v2, v7
	ds_bpermute_b32 v7, v6, v2
	s_waitcnt lgkmcnt(0)
	v_add_f32_e32 v1, v2, v7
	v_lshlrev_b32_e32 v7, 2, v8
	v_and_b32_e32 v8, 31, v0
	v_lshrrev_b32_e32 v2, 3, v0
	ds_bpermute_b32 v10, v7, v1
	v_cmp_eq_u32_e32 vcc_lo, 0, v8
	s_and_saveexec_b32 s2, vcc_lo
	s_cbranch_execz .LBB71_21
; %bb.20:
	v_add_nc_u32_e32 v11, 0, v2
	s_waitcnt lgkmcnt(0)
	v_add_f32_e32 v1, v1, v10
	ds_store_b32 v11, v1
.LBB71_21:
	s_or_b32 exec_lo, exec_lo, s2
	s_waitcnt lgkmcnt(0)
	s_barrier
	buffer_gl0_inv
	s_load_b32 s4, s[0:1], 0x44
	v_mov_b32_e32 v1, 0
	v_lshl_add_u32 v8, v8, 2, 0
	s_waitcnt lgkmcnt(0)
	s_bfe_u32 s2, s4, 0xb0005
	s_delay_alu instid0(SALU_CYCLE_1) | instskip(NEXT) | instid1(VALU_DEP_1)
	v_cmp_gt_u32_e64 s2, s2, v0
	s_and_saveexec_b32 s3, s2
	s_cbranch_execz .LBB71_23
; %bb.22:
	ds_load_b32 v1, v8
.LBB71_23:
	s_or_b32 exec_lo, exec_lo, s3
	v_cmp_gt_u32_e64 s3, 32, v0
	s_delay_alu instid0(VALU_DEP_1)
	s_and_saveexec_b32 s5, s3
	s_cbranch_execz .LBB71_25
; %bb.24:
	s_waitcnt lgkmcnt(0)
	ds_bpermute_b32 v10, v3, v1
	s_waitcnt lgkmcnt(0)
	v_add_f32_e32 v1, v1, v10
	ds_bpermute_b32 v10, v4, v1
	s_waitcnt lgkmcnt(0)
	v_add_f32_e32 v1, v1, v10
	;; [unrolled: 3-line block ×5, first 2 shown]
.LBB71_25:
	s_or_b32 exec_lo, exec_lo, s5
	ds_bpermute_b32 v10, v3, v9
	s_waitcnt lgkmcnt(0)
	s_barrier
	buffer_gl0_inv
	v_add_f32_e32 v9, v9, v10
	ds_bpermute_b32 v10, v4, v9
	s_waitcnt lgkmcnt(0)
	v_add_f32_e32 v9, v9, v10
	ds_bpermute_b32 v10, v5, v9
	s_waitcnt lgkmcnt(0)
	;; [unrolled: 3-line block ×3, first 2 shown]
	v_add_f32_e32 v9, v9, v10
	ds_bpermute_b32 v10, v7, v9
	s_and_saveexec_b32 s5, vcc_lo
	s_cbranch_execz .LBB71_27
; %bb.26:
	v_add_nc_u32_e32 v2, 0, v2
	s_waitcnt lgkmcnt(0)
	v_add_f32_e32 v9, v9, v10
	ds_store_b32 v2, v9
.LBB71_27:
	s_or_b32 exec_lo, exec_lo, s5
	v_mov_b32_e32 v2, 0
	s_waitcnt lgkmcnt(0)
	s_barrier
	buffer_gl0_inv
	s_and_saveexec_b32 s5, s2
	s_cbranch_execz .LBB71_29
; %bb.28:
	ds_load_b32 v2, v8
.LBB71_29:
	s_or_b32 exec_lo, exec_lo, s5
	s_and_saveexec_b32 s2, s3
	s_cbranch_execz .LBB71_31
; %bb.30:
	s_waitcnt lgkmcnt(0)
	ds_bpermute_b32 v3, v3, v2
	s_waitcnt lgkmcnt(0)
	v_add_f32_e32 v2, v2, v3
	ds_bpermute_b32 v3, v4, v2
	s_waitcnt lgkmcnt(0)
	v_add_f32_e32 v2, v2, v3
	ds_bpermute_b32 v3, v5, v2
	s_waitcnt lgkmcnt(0)
	v_add_f32_e32 v2, v2, v3
	ds_bpermute_b32 v3, v6, v2
	s_waitcnt lgkmcnt(0)
	v_add_f32_e32 v2, v2, v3
	ds_bpermute_b32 v3, v7, v2
	s_waitcnt lgkmcnt(0)
	v_add_f32_e32 v2, v2, v3
.LBB71_31:
	s_or_b32 exec_lo, exec_lo, s2
	s_delay_alu instid0(SALU_CYCLE_1)
	s_mov_b32 s2, exec_lo
	v_cmpx_eq_u32_e32 0, v0
	s_cbranch_execz .LBB71_33
; %bb.32:
	v_mov_b32_e32 v3, 0
	s_waitcnt lgkmcnt(0)
	ds_store_b64 v3, v[1:2]
.LBB71_33:
	s_or_b32 exec_lo, exec_lo, s2
	s_waitcnt lgkmcnt(0)
	s_barrier
	buffer_gl0_inv
	s_mov_b32 s2, exec_lo
	v_cmpx_gt_i32_e64 s14, v0
	s_cbranch_execz .LBB71_39
; %bb.34:
	v_cvt_f32_i32_e32 v6, s14
	s_load_b64 s[2:3], s[0:1], 0x28
	s_and_b32 s1, s4, 0xffff
	s_mov_b32 s5, 0
	s_delay_alu instid0(VALU_DEP_1) | instskip(SKIP_1) | instid1(VALU_DEP_2)
	v_div_scale_f32 v1, null, v6, v6, 1.0
	v_div_scale_f32 v3, vcc_lo, 1.0, v6, 1.0
	v_rcp_f32_e32 v4, v1
	s_waitcnt_depctr 0xfff
	v_fma_f32 v2, -v1, v4, 1.0
	s_waitcnt lgkmcnt(0)
	s_add_u32 s2, s2, s8
	s_addc_u32 s3, s3, s9
	s_cmp_lg_u64 s[12:13], 0
	s_cselect_b32 s4, -1, 0
	v_fmac_f32_e32 v4, v2, v4
	s_delay_alu instid0(VALU_DEP_1) | instskip(NEXT) | instid1(VALU_DEP_1)
	v_mul_f32_e32 v5, v3, v4
	v_fma_f32 v2, -v1, v5, v3
	s_delay_alu instid0(VALU_DEP_1) | instskip(NEXT) | instid1(VALU_DEP_1)
	v_dual_fmac_f32 v5, v2, v4 :: v_dual_mov_b32 v2, 0
	v_fma_f32 v1, -v1, v5, v3
	ds_load_b64 v[2:3], v2
	v_div_fmas_f32 v1, v1, v4, v5
	s_delay_alu instid0(VALU_DEP_1) | instskip(NEXT) | instid1(VALU_DEP_1)
	v_div_fixup_f32 v1, v1, v6, 1.0
	v_mul_f32_e32 v7, s11, v1
	s_set_inst_prefetch_distance 0x1
	s_branch .LBB71_37
	.p2align	6
.LBB71_35:                              ;   in Loop: Header=BB71_37 Depth=1
	v_add_co_u32 v9, vcc_lo, s12, v4
	v_add_co_ci_u32_e32 v10, vcc_lo, s13, v5, vcc_lo
	global_load_u16 v9, v[9:10], off
	s_waitcnt vmcnt(0)
	v_cvt_f32_f16_e32 v9, v9
.LBB71_36:                              ;   in Loop: Header=BB71_37 Depth=1
	s_waitcnt vmcnt(1)
	v_cvt_f32_f16_e32 v8, v8
	v_add_nc_u32_e32 v0, s1, v0
	v_add_co_u32 v4, s0, s2, v4
	s_delay_alu instid0(VALU_DEP_1) | instskip(NEXT) | instid1(VALU_DEP_4)
	v_add_co_ci_u32_e64 v5, s0, s3, v5, s0
	v_dual_subrev_f32 v8, s10, v8 :: v_dual_mul_f32 v9, v9, v6
	s_delay_alu instid0(VALU_DEP_4) | instskip(NEXT) | instid1(VALU_DEP_2)
	v_cmp_le_i32_e32 vcc_lo, s14, v0
	v_mul_f32_e32 v8, s11, v8
	s_or_b32 s5, vcc_lo, s5
	s_waitcnt lgkmcnt(0)
	s_delay_alu instid0(VALU_DEP_1) | instskip(SKIP_1) | instid1(VALU_DEP_1)
	v_mul_f32_e32 v8, v3, v8
	s_waitcnt vmcnt(0)
	v_fma_mix_f32 v1, v9, v1, -v8 op_sel_hi:[0,1,0]
	s_delay_alu instid0(VALU_DEP_1) | instskip(NEXT) | instid1(VALU_DEP_1)
	v_sub_f32_e32 v1, v1, v2
	v_fma_mixlo_f16 v1, v7, v1, 0
	global_store_b16 v[4:5], v1, off
	s_and_not1_b32 exec_lo, exec_lo, s5
	s_cbranch_execz .LBB71_39
.LBB71_37:                              ; =>This Inner Loop Header: Depth=1
	v_ashrrev_i32_e32 v1, 31, v0
	s_delay_alu instid0(VALU_DEP_1) | instskip(NEXT) | instid1(VALU_DEP_1)
	v_lshlrev_b64 v[4:5], 1, v[0:1]
	v_add_co_u32 v8, vcc_lo, s15, v4
	s_delay_alu instid0(VALU_DEP_2)
	v_add_co_ci_u32_e32 v9, vcc_lo, s16, v5, vcc_lo
	v_add_co_u32 v10, vcc_lo, s17, v4
	v_add_co_ci_u32_e32 v11, vcc_lo, s18, v5, vcc_lo
	s_and_not1_b32 vcc_lo, exec_lo, s4
	global_load_u16 v8, v[8:9], off
	global_load_u16 v1, v[10:11], off
	s_cbranch_vccz .LBB71_35
; %bb.38:                               ;   in Loop: Header=BB71_37 Depth=1
	v_mov_b32_e32 v9, 1.0
	s_branch .LBB71_36
.LBB71_39:
	s_set_inst_prefetch_distance 0x2
	s_nop 0
	s_sendmsg sendmsg(MSG_DEALLOC_VGPRS)
	s_endpgm
	.section	.rodata,"a",@progbits
	.p2align	6, 0x0
	.amdhsa_kernel _ZN2at6native12_GLOBAL__N_128layer_norm_grad_input_kernelIN3c104HalfEfLb0EEEvPKT_S7_PKT0_SA_S7_PS5_i
		.amdhsa_group_segment_fixed_size 0
		.amdhsa_private_segment_fixed_size 0
		.amdhsa_kernarg_size 312
		.amdhsa_user_sgpr_count 15
		.amdhsa_user_sgpr_dispatch_ptr 0
		.amdhsa_user_sgpr_queue_ptr 0
		.amdhsa_user_sgpr_kernarg_segment_ptr 1
		.amdhsa_user_sgpr_dispatch_id 0
		.amdhsa_user_sgpr_private_segment_size 0
		.amdhsa_wavefront_size32 1
		.amdhsa_uses_dynamic_stack 0
		.amdhsa_enable_private_segment 0
		.amdhsa_system_sgpr_workgroup_id_x 1
		.amdhsa_system_sgpr_workgroup_id_y 0
		.amdhsa_system_sgpr_workgroup_id_z 0
		.amdhsa_system_sgpr_workgroup_info 0
		.amdhsa_system_vgpr_workitem_id 0
		.amdhsa_next_free_vgpr 22
		.amdhsa_next_free_sgpr 27
		.amdhsa_reserve_vcc 1
		.amdhsa_float_round_mode_32 0
		.amdhsa_float_round_mode_16_64 0
		.amdhsa_float_denorm_mode_32 3
		.amdhsa_float_denorm_mode_16_64 3
		.amdhsa_dx10_clamp 1
		.amdhsa_ieee_mode 1
		.amdhsa_fp16_overflow 0
		.amdhsa_workgroup_processor_mode 1
		.amdhsa_memory_ordered 1
		.amdhsa_forward_progress 0
		.amdhsa_shared_vgpr_count 0
		.amdhsa_exception_fp_ieee_invalid_op 0
		.amdhsa_exception_fp_denorm_src 0
		.amdhsa_exception_fp_ieee_div_zero 0
		.amdhsa_exception_fp_ieee_overflow 0
		.amdhsa_exception_fp_ieee_underflow 0
		.amdhsa_exception_fp_ieee_inexact 0
		.amdhsa_exception_int_div_zero 0
	.end_amdhsa_kernel
	.section	.text._ZN2at6native12_GLOBAL__N_128layer_norm_grad_input_kernelIN3c104HalfEfLb0EEEvPKT_S7_PKT0_SA_S7_PS5_i,"axG",@progbits,_ZN2at6native12_GLOBAL__N_128layer_norm_grad_input_kernelIN3c104HalfEfLb0EEEvPKT_S7_PKT0_SA_S7_PS5_i,comdat
.Lfunc_end71:
	.size	_ZN2at6native12_GLOBAL__N_128layer_norm_grad_input_kernelIN3c104HalfEfLb0EEEvPKT_S7_PKT0_SA_S7_PS5_i, .Lfunc_end71-_ZN2at6native12_GLOBAL__N_128layer_norm_grad_input_kernelIN3c104HalfEfLb0EEEvPKT_S7_PKT0_SA_S7_PS5_i
                                        ; -- End function
	.section	.AMDGPU.csdata,"",@progbits
; Kernel info:
; codeLenInByte = 2164
; NumSgprs: 29
; NumVgprs: 22
; ScratchSize: 0
; MemoryBound: 0
; FloatMode: 240
; IeeeMode: 1
; LDSByteSize: 0 bytes/workgroup (compile time only)
; SGPRBlocks: 3
; VGPRBlocks: 2
; NumSGPRsForWavesPerEU: 29
; NumVGPRsForWavesPerEU: 22
; Occupancy: 16
; WaveLimiterHint : 0
; COMPUTE_PGM_RSRC2:SCRATCH_EN: 0
; COMPUTE_PGM_RSRC2:USER_SGPR: 15
; COMPUTE_PGM_RSRC2:TRAP_HANDLER: 0
; COMPUTE_PGM_RSRC2:TGID_X_EN: 1
; COMPUTE_PGM_RSRC2:TGID_Y_EN: 0
; COMPUTE_PGM_RSRC2:TGID_Z_EN: 0
; COMPUTE_PGM_RSRC2:TIDIG_COMP_CNT: 0
	.section	.text._ZN2at6native12_GLOBAL__N_133GammaBetaBackwardSimpleCUDAKernelIN3c104HalfEfLb0EEEvllPKT_S7_PKT0_SA_PS5_SB_,"axG",@progbits,_ZN2at6native12_GLOBAL__N_133GammaBetaBackwardSimpleCUDAKernelIN3c104HalfEfLb0EEEvllPKT_S7_PKT0_SA_PS5_SB_,comdat
	.globl	_ZN2at6native12_GLOBAL__N_133GammaBetaBackwardSimpleCUDAKernelIN3c104HalfEfLb0EEEvllPKT_S7_PKT0_SA_PS5_SB_ ; -- Begin function _ZN2at6native12_GLOBAL__N_133GammaBetaBackwardSimpleCUDAKernelIN3c104HalfEfLb0EEEvllPKT_S7_PKT0_SA_PS5_SB_
	.p2align	8
	.type	_ZN2at6native12_GLOBAL__N_133GammaBetaBackwardSimpleCUDAKernelIN3c104HalfEfLb0EEEvllPKT_S7_PKT0_SA_PS5_SB_,@function
_ZN2at6native12_GLOBAL__N_133GammaBetaBackwardSimpleCUDAKernelIN3c104HalfEfLb0EEEvllPKT_S7_PKT0_SA_PS5_SB_: ; @_ZN2at6native12_GLOBAL__N_133GammaBetaBackwardSimpleCUDAKernelIN3c104HalfEfLb0EEEvllPKT_S7_PKT0_SA_PS5_SB_
; %bb.0:
	s_clause 0x1
	s_load_b32 s2, s[0:1], 0x4c
	s_load_b512 s[16:31], s[0:1], 0x0
	v_mov_b32_e32 v1, 0
	s_waitcnt lgkmcnt(0)
	s_and_b32 s0, s2, 0xffff
	s_delay_alu instid0(VALU_DEP_1) | instid1(SALU_CYCLE_1)
	v_mad_u64_u32 v[2:3], null, s0, s15, v[0:1]
	s_mov_b32 s0, exec_lo
	s_delay_alu instid0(VALU_DEP_1)
	v_cmpx_gt_i64_e64 s[18:19], v[2:3]
	s_cbranch_execz .LBB72_13
; %bb.1:
	v_cmp_lt_i64_e64 s0, s[16:17], 1
	v_lshlrev_b64 v[2:3], 1, v[2:3]
	v_mov_b32_e32 v0, 0
	s_delay_alu instid0(VALU_DEP_3)
	s_and_b32 vcc_lo, exec_lo, s0
	s_cbranch_vccnz .LBB72_9
; %bb.2:
	s_cmp_lg_u64 s[28:29], 0
	s_delay_alu instid0(VALU_DEP_2)
	v_dual_mov_b32 v0, v2 :: v_dual_mov_b32 v5, 0
	v_dual_mov_b32 v4, 0 :: v_dual_mov_b32 v1, v3
	s_cselect_b32 s2, -1, 0
	s_cmp_lg_u64 s[30:31], 0
	s_cselect_b32 s3, -1, 0
	s_lshl_b64 s[0:1], s[18:19], 1
	s_set_inst_prefetch_distance 0x1
	s_branch .LBB72_4
	.p2align	6
.LBB72_3:                               ;   in Loop: Header=BB72_4 Depth=1
	s_add_u32 s16, s16, -1
	s_addc_u32 s17, s17, -1
	v_add_co_u32 v0, vcc_lo, v0, s0
	s_add_u32 s26, s26, 4
	v_dual_add_f32 v4, v4, v6 :: v_dual_add_f32 v5, v5, v7
	v_add_co_ci_u32_e32 v1, vcc_lo, s1, v1, vcc_lo
	s_addc_u32 s27, s27, 0
	s_add_u32 s24, s24, 4
	s_addc_u32 s25, s25, 0
	s_cmp_eq_u64 s[16:17], 0
	s_cbranch_scc1 .LBB72_8
.LBB72_4:                               ; =>This Inner Loop Header: Depth=1
	v_mov_b32_e32 v6, 0
	s_and_not1_b32 vcc_lo, exec_lo, s2
	s_cbranch_vccnz .LBB72_6
; %bb.5:                                ;   in Loop: Header=BB72_4 Depth=1
	v_add_co_u32 v6, vcc_lo, s22, v0
	v_add_co_ci_u32_e32 v7, vcc_lo, s23, v1, vcc_lo
	v_add_co_u32 v8, vcc_lo, s20, v0
	v_add_co_ci_u32_e32 v9, vcc_lo, s21, v1, vcc_lo
	global_load_u16 v6, v[6:7], off
	global_load_u16 v7, v[8:9], off
	s_load_b32 s4, s[24:25], 0x0
	s_load_b32 s5, s[26:27], 0x0
	s_waitcnt vmcnt(1)
	v_cvt_f32_f16_e32 v6, v6
	s_waitcnt vmcnt(0)
	v_cvt_f32_f16_e32 v7, v7
	s_waitcnt lgkmcnt(0)
	s_delay_alu instid0(VALU_DEP_2) | instskip(NEXT) | instid1(VALU_DEP_1)
	v_subrev_f32_e32 v6, s4, v6
	v_mul_f32_e32 v6, v6, v7
	s_delay_alu instid0(VALU_DEP_1)
	v_mul_f32_e32 v6, s5, v6
.LBB72_6:                               ;   in Loop: Header=BB72_4 Depth=1
	v_mov_b32_e32 v7, 0
	s_and_not1_b32 vcc_lo, exec_lo, s3
	s_cbranch_vccnz .LBB72_3
; %bb.7:                                ;   in Loop: Header=BB72_4 Depth=1
	v_add_co_u32 v7, vcc_lo, s20, v0
	v_add_co_ci_u32_e32 v8, vcc_lo, s21, v1, vcc_lo
	global_load_u16 v7, v[7:8], off
	s_waitcnt vmcnt(0)
	v_cvt_f32_f16_e32 v7, v7
	s_branch .LBB72_3
.LBB72_8:
	s_set_inst_prefetch_distance 0x2
	v_cvt_f16_f32_e32 v1, v4
	v_cvt_f16_f32_e32 v0, v5
.LBB72_9:
	s_cmp_lg_u64 s[28:29], 0
	s_cbranch_scc0 .LBB72_11
; %bb.10:
	v_add_co_u32 v4, vcc_lo, s28, v2
	v_add_co_ci_u32_e32 v5, vcc_lo, s29, v3, vcc_lo
	global_store_b16 v[4:5], v1, off
.LBB72_11:
	s_cmp_eq_u64 s[30:31], 0
	s_cbranch_scc1 .LBB72_13
; %bb.12:
	v_add_co_u32 v1, vcc_lo, s30, v2
	v_add_co_ci_u32_e32 v2, vcc_lo, s31, v3, vcc_lo
	global_store_b16 v[1:2], v0, off
.LBB72_13:
	s_nop 0
	s_sendmsg sendmsg(MSG_DEALLOC_VGPRS)
	s_endpgm
	.section	.rodata,"a",@progbits
	.p2align	6, 0x0
	.amdhsa_kernel _ZN2at6native12_GLOBAL__N_133GammaBetaBackwardSimpleCUDAKernelIN3c104HalfEfLb0EEEvllPKT_S7_PKT0_SA_PS5_SB_
		.amdhsa_group_segment_fixed_size 0
		.amdhsa_private_segment_fixed_size 0
		.amdhsa_kernarg_size 320
		.amdhsa_user_sgpr_count 15
		.amdhsa_user_sgpr_dispatch_ptr 0
		.amdhsa_user_sgpr_queue_ptr 0
		.amdhsa_user_sgpr_kernarg_segment_ptr 1
		.amdhsa_user_sgpr_dispatch_id 0
		.amdhsa_user_sgpr_private_segment_size 0
		.amdhsa_wavefront_size32 1
		.amdhsa_uses_dynamic_stack 0
		.amdhsa_enable_private_segment 0
		.amdhsa_system_sgpr_workgroup_id_x 1
		.amdhsa_system_sgpr_workgroup_id_y 0
		.amdhsa_system_sgpr_workgroup_id_z 0
		.amdhsa_system_sgpr_workgroup_info 0
		.amdhsa_system_vgpr_workitem_id 0
		.amdhsa_next_free_vgpr 10
		.amdhsa_next_free_sgpr 32
		.amdhsa_reserve_vcc 1
		.amdhsa_float_round_mode_32 0
		.amdhsa_float_round_mode_16_64 0
		.amdhsa_float_denorm_mode_32 3
		.amdhsa_float_denorm_mode_16_64 3
		.amdhsa_dx10_clamp 1
		.amdhsa_ieee_mode 1
		.amdhsa_fp16_overflow 0
		.amdhsa_workgroup_processor_mode 1
		.amdhsa_memory_ordered 1
		.amdhsa_forward_progress 0
		.amdhsa_shared_vgpr_count 0
		.amdhsa_exception_fp_ieee_invalid_op 0
		.amdhsa_exception_fp_denorm_src 0
		.amdhsa_exception_fp_ieee_div_zero 0
		.amdhsa_exception_fp_ieee_overflow 0
		.amdhsa_exception_fp_ieee_underflow 0
		.amdhsa_exception_fp_ieee_inexact 0
		.amdhsa_exception_int_div_zero 0
	.end_amdhsa_kernel
	.section	.text._ZN2at6native12_GLOBAL__N_133GammaBetaBackwardSimpleCUDAKernelIN3c104HalfEfLb0EEEvllPKT_S7_PKT0_SA_PS5_SB_,"axG",@progbits,_ZN2at6native12_GLOBAL__N_133GammaBetaBackwardSimpleCUDAKernelIN3c104HalfEfLb0EEEvllPKT_S7_PKT0_SA_PS5_SB_,comdat
.Lfunc_end72:
	.size	_ZN2at6native12_GLOBAL__N_133GammaBetaBackwardSimpleCUDAKernelIN3c104HalfEfLb0EEEvllPKT_S7_PKT0_SA_PS5_SB_, .Lfunc_end72-_ZN2at6native12_GLOBAL__N_133GammaBetaBackwardSimpleCUDAKernelIN3c104HalfEfLb0EEEvllPKT_S7_PKT0_SA_PS5_SB_
                                        ; -- End function
	.section	.AMDGPU.csdata,"",@progbits
; Kernel info:
; codeLenInByte = 432
; NumSgprs: 34
; NumVgprs: 10
; ScratchSize: 0
; MemoryBound: 0
; FloatMode: 240
; IeeeMode: 1
; LDSByteSize: 0 bytes/workgroup (compile time only)
; SGPRBlocks: 4
; VGPRBlocks: 1
; NumSGPRsForWavesPerEU: 34
; NumVGPRsForWavesPerEU: 10
; Occupancy: 16
; WaveLimiterHint : 0
; COMPUTE_PGM_RSRC2:SCRATCH_EN: 0
; COMPUTE_PGM_RSRC2:USER_SGPR: 15
; COMPUTE_PGM_RSRC2:TRAP_HANDLER: 0
; COMPUTE_PGM_RSRC2:TGID_X_EN: 1
; COMPUTE_PGM_RSRC2:TGID_Y_EN: 0
; COMPUTE_PGM_RSRC2:TGID_Z_EN: 0
; COMPUTE_PGM_RSRC2:TIDIG_COMP_CNT: 0
	.section	.text._ZN2at6native12_GLOBAL__N_135GammaBetaBackwardCUDAKernelTemplateIN3c104HalfEfLj64ELj1ELj32ELb1ELb1ELb0EEEvllPKT_S7_PKT0_SA_PS5_SB_,"axG",@progbits,_ZN2at6native12_GLOBAL__N_135GammaBetaBackwardCUDAKernelTemplateIN3c104HalfEfLj64ELj1ELj32ELb1ELb1ELb0EEEvllPKT_S7_PKT0_SA_PS5_SB_,comdat
	.globl	_ZN2at6native12_GLOBAL__N_135GammaBetaBackwardCUDAKernelTemplateIN3c104HalfEfLj64ELj1ELj32ELb1ELb1ELb0EEEvllPKT_S7_PKT0_SA_PS5_SB_ ; -- Begin function _ZN2at6native12_GLOBAL__N_135GammaBetaBackwardCUDAKernelTemplateIN3c104HalfEfLj64ELj1ELj32ELb1ELb1ELb0EEEvllPKT_S7_PKT0_SA_PS5_SB_
	.p2align	8
	.type	_ZN2at6native12_GLOBAL__N_135GammaBetaBackwardCUDAKernelTemplateIN3c104HalfEfLj64ELj1ELj32ELb1ELb1ELb0EEEvllPKT_S7_PKT0_SA_PS5_SB_,@function
_ZN2at6native12_GLOBAL__N_135GammaBetaBackwardCUDAKernelTemplateIN3c104HalfEfLj64ELj1ELj32ELb1ELb1ELb0EEEvllPKT_S7_PKT0_SA_PS5_SB_: ; @_ZN2at6native12_GLOBAL__N_135GammaBetaBackwardCUDAKernelTemplateIN3c104HalfEfLj64ELj1ELj32ELb1ELb1ELb0EEEvllPKT_S7_PKT0_SA_PS5_SB_
; %bb.0:
	s_load_b128 s[16:19], s[0:1], 0x0
	s_mov_b32 s13, 0
	s_lshl_b32 s12, s15, 5
	v_bfe_u32 v6, v0, 10, 10
	s_mov_b32 s2, s15
	s_waitcnt lgkmcnt(0)
	v_cmp_lt_i64_e64 s3, s[12:13], s[16:17]
	s_delay_alu instid0(VALU_DEP_1)
	s_and_b32 vcc_lo, exec_lo, s3
	s_cbranch_vccnz .LBB73_2
; %bb.1:
	v_bfe_u32 v1, v0, 10, 10
	s_add_u32 s24, s0, 64
	s_addc_u32 s25, s1, 0
	s_mov_b32 s4, 0
	s_mov_b32 s3, s13
	s_branch .LBB73_3
.LBB73_2:
	s_mov_b32 s3, -1
                                        ; implicit-def: $sgpr4
                                        ; implicit-def: $sgpr24_sgpr25
                                        ; implicit-def: $vgpr1
.LBB73_3:
	s_load_b128 s[20:23], s[0:1], 0x30
	v_dual_mov_b32 v8, s4 :: v_dual_and_b32 v7, 0x3ff, v0
	v_mov_b32_e32 v5, s4
	s_and_not1_b32 vcc_lo, exec_lo, s3
	s_cbranch_vccnz .LBB73_9
; %bb.4:
	s_clause 0x2
	s_load_b32 s3, s[0:1], 0x4c
	s_load_b32 s15, s[0:1], 0x44
	s_load_b256 s[4:11], s[0:1], 0x10
	v_dual_mov_b32 v1, 0 :: v_dual_lshlrev_b32 v2, 5, v6
	s_add_u32 s24, s0, 64
	s_addc_u32 s25, s1, 0
	v_lshl_add_u32 v0, s14, 6, v7
	v_dual_mov_b32 v8, 4 :: v_dual_mov_b32 v9, 8
	v_dual_mov_b32 v10, 12 :: v_dual_mov_b32 v11, 16
	s_delay_alu instid0(VALU_DEP_3)
	v_lshlrev_b64 v[39:40], 1, v[0:1]
	v_dual_mov_b32 v12, 20 :: v_dual_mov_b32 v13, 24
	v_dual_mov_b32 v14, 28 :: v_dual_mov_b32 v15, 32
	;; [unrolled: 1-line block ×4, first 2 shown]
	s_waitcnt lgkmcnt(0)
	s_and_b32 s0, s3, 0xffff
	s_lshl_b32 s26, s15, 5
	v_mad_u32_u24 v3, v6, s0, v7
	v_add_co_u32 v42, s0, v2, s12
	s_delay_alu instid0(VALU_DEP_1) | instskip(NEXT) | instid1(VALU_DEP_3)
	v_add_co_ci_u32_e64 v43, null, 0, 0, s0
	v_dual_mov_b32 v24, 0x44 :: v_dual_and_b32 v41, 31, v3
	s_delay_alu instid0(VALU_DEP_3) | instskip(NEXT) | instid1(VALU_DEP_3)
	v_mul_lo_u32 v4, s19, v42
	v_mul_lo_u32 v5, s18, v43
	v_mad_u64_u32 v[2:3], null, s18, v42, 0
	s_mul_i32 s0, s19, s26
	s_mul_hi_u32 s1, s18, s26
	v_dual_mov_b32 v20, 52 :: v_dual_mov_b32 v21, 56
	v_dual_mov_b32 v22, 60 :: v_dual_mov_b32 v23, 64
	s_delay_alu instid0(VALU_DEP_3)
	v_add3_u32 v3, v3, v5, v4
	v_mov_b32_e32 v25, 0x48
	v_mov_b32_e32 v26, 0x4c
	;; [unrolled: 1-line block ×4, first 2 shown]
	v_lshlrev_b64 v[4:5], 1, v[2:3]
	v_add_co_u32 v2, vcc_lo, v42, v41
	v_add_co_ci_u32_e32 v3, vcc_lo, 0, v43, vcc_lo
	v_mov_b32_e32 v43, 0
	s_delay_alu instid0(VALU_DEP_4) | instskip(SKIP_1) | instid1(VALU_DEP_4)
	v_add_co_u32 v0, vcc_lo, v4, v39
	v_add_co_ci_u32_e32 v39, vcc_lo, v5, v40, vcc_lo
	v_lshlrev_b64 v[4:5], 2, v[2:3]
	v_mov_b32_e32 v29, 0x58
	v_mov_b32_e32 v30, 0x5c
	;; [unrolled: 1-line block ×11, first 2 shown]
	s_mov_b32 s27, 0
	s_add_i32 s1, s1, s0
	s_mul_i32 s0, s18, s26
	s_lshl_b64 s[28:29], s[26:27], 2
	s_lshl_b64 s[0:1], s[0:1], 1
	;; [unrolled: 1-line block ×3, first 2 shown]
	s_branch .LBB73_6
.LBB73_5:                               ;   in Loop: Header=BB73_6 Depth=1
	s_or_b32 exec_lo, exec_lo, s3
	v_add_co_u32 v45, vcc_lo, s6, v0
	v_add_co_ci_u32_e32 v46, vcc_lo, s7, v39, vcc_lo
	v_add_co_u32 v47, vcc_lo, s4, v0
	v_add_co_ci_u32_e32 v48, vcc_lo, s5, v39, vcc_lo
	global_load_u16 v44, v[45:46], off
	v_add_co_u32 v45, vcc_lo, v45, s30
	v_add_co_ci_u32_e32 v46, vcc_lo, s31, v46, vcc_lo
	v_add_co_u32 v50, vcc_lo, v47, s30
	v_add_co_ci_u32_e32 v51, vcc_lo, s31, v48, vcc_lo
	s_delay_alu instid0(VALU_DEP_4) | instskip(NEXT) | instid1(VALU_DEP_4)
	v_add_co_u32 v52, vcc_lo, v45, s30
	v_add_co_ci_u32_e32 v53, vcc_lo, s31, v46, vcc_lo
	s_delay_alu instid0(VALU_DEP_4) | instskip(NEXT) | instid1(VALU_DEP_4)
	v_add_co_u32 v54, vcc_lo, v50, s30
	v_add_co_ci_u32_e32 v55, vcc_lo, s31, v51, vcc_lo
	global_load_u16 v49, v[47:48], off
	global_load_u16 v48, v[45:46], off
	;; [unrolled: 1-line block ×5, first 2 shown]
	v_add_co_u32 v51, vcc_lo, v52, s30
	v_add_co_ci_u32_e32 v52, vcc_lo, s31, v53, vcc_lo
	v_add_co_u32 v53, vcc_lo, v54, s30
	v_add_co_ci_u32_e32 v54, vcc_lo, s31, v55, vcc_lo
	global_load_u16 v50, v[51:52], off
	v_add_co_u32 v55, vcc_lo, v53, s30
	v_add_co_ci_u32_e32 v56, vcc_lo, s31, v54, vcc_lo
	v_add_co_u32 v57, vcc_lo, v51, s30
	v_add_co_ci_u32_e32 v58, vcc_lo, s31, v52, vcc_lo
	s_delay_alu instid0(VALU_DEP_4) | instskip(NEXT) | instid1(VALU_DEP_4)
	v_add_co_u32 v59, vcc_lo, v55, s30
	v_add_co_ci_u32_e32 v60, vcc_lo, s31, v56, vcc_lo
	s_delay_alu instid0(VALU_DEP_4) | instskip(NEXT) | instid1(VALU_DEP_4)
	v_add_co_u32 v61, vcc_lo, v57, s30
	v_add_co_ci_u32_e32 v62, vcc_lo, s31, v58, vcc_lo
	s_clause 0x1
	global_load_u16 v52, v[53:54], off
	global_load_u16 v51, v[55:56], off
	global_load_u16 v53, v[57:58], off
	global_load_u16 v54, v[59:60], off
	global_load_u16 v55, v[61:62], off
	v_add_co_u32 v57, vcc_lo, v59, s30
	v_add_co_ci_u32_e32 v58, vcc_lo, s31, v60, vcc_lo
	v_add_co_u32 v59, vcc_lo, v61, s30
	v_add_co_ci_u32_e32 v60, vcc_lo, s31, v62, vcc_lo
	global_load_u16 v56, v[57:58], off
	v_add_co_u32 v57, vcc_lo, v57, s30
	v_add_co_ci_u32_e32 v58, vcc_lo, s31, v58, vcc_lo
	v_add_co_u32 v61, vcc_lo, v59, s30
	v_add_co_ci_u32_e32 v62, vcc_lo, s31, v60, vcc_lo
	s_delay_alu instid0(VALU_DEP_4) | instskip(NEXT) | instid1(VALU_DEP_4)
	v_add_co_u32 v63, vcc_lo, v57, s30
	v_add_co_ci_u32_e32 v64, vcc_lo, s31, v58, vcc_lo
	s_delay_alu instid0(VALU_DEP_4) | instskip(NEXT) | instid1(VALU_DEP_4)
	v_add_co_u32 v65, vcc_lo, v61, s30
	v_add_co_ci_u32_e32 v66, vcc_lo, s31, v62, vcc_lo
	global_load_u16 v60, v[59:60], off
	global_load_u16 v57, v[57:58], off
	global_load_u16 v58, v[61:62], off
	global_load_u16 v59, v[63:64], off
	global_load_u16 v61, v[65:66], off
	v_add_co_u32 v63, vcc_lo, v63, s30
	v_add_co_ci_u32_e32 v64, vcc_lo, s31, v64, vcc_lo
	v_add_co_u32 v65, vcc_lo, v65, s30
	v_add_co_ci_u32_e32 v66, vcc_lo, s31, v66, vcc_lo
	global_load_u16 v62, v[63:64], off
	v_add_co_u32 v63, vcc_lo, v63, s30
	v_add_co_ci_u32_e32 v64, vcc_lo, s31, v64, vcc_lo
	v_add_co_u32 v67, vcc_lo, v65, s30
	v_add_co_ci_u32_e32 v68, vcc_lo, s31, v66, vcc_lo
	s_delay_alu instid0(VALU_DEP_4) | instskip(NEXT) | instid1(VALU_DEP_4)
	v_add_co_u32 v69, vcc_lo, v63, s30
	v_add_co_ci_u32_e32 v70, vcc_lo, s31, v64, vcc_lo
	s_delay_alu instid0(VALU_DEP_4) | instskip(NEXT) | instid1(VALU_DEP_4)
	v_add_co_u32 v71, vcc_lo, v67, s30
	v_add_co_ci_u32_e32 v72, vcc_lo, s31, v68, vcc_lo
	global_load_u16 v66, v[65:66], off
	global_load_u16 v63, v[63:64], off
	global_load_u16 v65, v[67:68], off
	global_load_u16 v64, v[69:70], off
	global_load_u16 v67, v[71:72], off
	v_add_co_u32 v69, vcc_lo, v69, s30
	v_add_co_ci_u32_e32 v70, vcc_lo, s31, v70, vcc_lo
	v_add_co_u32 v71, vcc_lo, v71, s30
	v_add_co_ci_u32_e32 v72, vcc_lo, s31, v72, vcc_lo
	global_load_u16 v68, v[69:70], off
	v_add_co_u32 v69, vcc_lo, v69, s30
	v_add_co_ci_u32_e32 v70, vcc_lo, s31, v70, vcc_lo
	v_add_co_u32 v74, vcc_lo, v71, s30
	v_add_co_ci_u32_e32 v75, vcc_lo, s31, v72, vcc_lo
	s_delay_alu instid0(VALU_DEP_4) | instskip(NEXT) | instid1(VALU_DEP_4)
	v_add_co_u32 v76, vcc_lo, v69, s30
	v_add_co_ci_u32_e32 v77, vcc_lo, s31, v70, vcc_lo
	s_delay_alu instid0(VALU_DEP_4) | instskip(NEXT) | instid1(VALU_DEP_4)
	v_add_co_u32 v78, vcc_lo, v74, s30
	v_add_co_ci_u32_e32 v79, vcc_lo, s31, v75, vcc_lo
	global_load_u16 v73, v[71:72], off
	global_load_u16 v69, v[69:70], off
	;; [unrolled: 1-line block ×5, first 2 shown]
	v_add_co_u32 v75, vcc_lo, v76, s30
	v_add_co_ci_u32_e32 v76, vcc_lo, s31, v77, vcc_lo
	v_add_co_u32 v77, vcc_lo, v78, s30
	v_add_co_ci_u32_e32 v78, vcc_lo, s31, v79, vcc_lo
	s_delay_alu instid0(VALU_DEP_4) | instskip(NEXT) | instid1(VALU_DEP_4)
	v_add_co_u32 v79, vcc_lo, v75, s30
	v_add_co_ci_u32_e32 v80, vcc_lo, s31, v76, vcc_lo
	s_delay_alu instid0(VALU_DEP_4) | instskip(NEXT) | instid1(VALU_DEP_4)
	;; [unrolled: 3-line block ×4, first 2 shown]
	v_add_co_u32 v85, vcc_lo, v81, s30
	v_add_co_ci_u32_e32 v86, vcc_lo, s31, v82, vcc_lo
	global_load_u16 v74, v[75:76], off
	global_load_u16 v75, v[77:78], off
	global_load_u16 v76, v[79:80], off
	global_load_u16 v77, v[81:82], off
	v_add_co_u32 v80, vcc_lo, v83, s30
	v_add_co_ci_u32_e32 v81, vcc_lo, s31, v84, vcc_lo
	v_add_co_u32 v82, vcc_lo, v85, s30
	global_load_u16 v79, v[83:84], off
	global_load_u16 v78, v[85:86], off
	v_add_co_ci_u32_e32 v83, vcc_lo, s31, v86, vcc_lo
	v_add_co_u32 v84, vcc_lo, v80, s30
	v_add_co_ci_u32_e32 v85, vcc_lo, s31, v81, vcc_lo
	v_add_co_u32 v86, vcc_lo, v82, s30
	s_delay_alu instid0(VALU_DEP_4)
	v_add_co_ci_u32_e32 v87, vcc_lo, s31, v83, vcc_lo
	global_load_u16 v80, v[80:81], off
	v_add_co_u32 v81, vcc_lo, v84, s30
	global_load_u16 v88, v[82:83], off
	v_add_co_ci_u32_e32 v82, vcc_lo, s31, v85, vcc_lo
	global_load_u16 v89, v[84:85], off
	v_add_co_u32 v83, vcc_lo, v86, s30
	v_add_co_ci_u32_e32 v84, vcc_lo, s31, v87, vcc_lo
	v_add_co_u32 v85, vcc_lo, v81, s30
	global_load_u16 v87, v[86:87], off
	v_add_co_ci_u32_e32 v86, vcc_lo, s31, v82, vcc_lo
	global_load_u16 v90, v[81:82], off
	v_add_co_u32 v81, vcc_lo, v83, s30
	v_add_co_ci_u32_e32 v82, vcc_lo, s31, v84, vcc_lo
	global_load_u16 v91, v[83:84], off
	v_add_co_u32 v83, vcc_lo, v85, s30
	v_add_co_ci_u32_e32 v84, vcc_lo, s31, v86, vcc_lo
	global_load_u16 v92, v[85:86], off
	v_add_co_u32 v85, vcc_lo, v81, s30
	v_add_co_ci_u32_e32 v86, vcc_lo, s31, v82, vcc_lo
	global_load_u16 v93, v[81:82], off
	v_add_co_u32 v81, vcc_lo, v83, s30
	v_add_co_ci_u32_e32 v82, vcc_lo, s31, v84, vcc_lo
	global_load_u16 v94, v[83:84], off
	global_load_u16 v95, v[85:86], off
	v_add_co_u32 v83, vcc_lo, v85, s30
	v_add_co_ci_u32_e32 v84, vcc_lo, s31, v86, vcc_lo
	v_add_co_u32 v85, vcc_lo, v81, s30
	v_add_co_ci_u32_e32 v86, vcc_lo, s31, v82, vcc_lo
	global_load_u16 v96, v[81:82], off
	global_load_u16 v97, v[83:84], off
	;; [unrolled: 1-line block ×3, first 2 shown]
	v_add_co_u32 v81, vcc_lo, v83, s30
	v_add_co_ci_u32_e32 v82, vcc_lo, s31, v84, vcc_lo
	v_add_co_u32 v83, vcc_lo, v85, s30
	v_add_co_ci_u32_e32 v84, vcc_lo, s31, v86, vcc_lo
	global_load_u16 v99, v[81:82], off
	global_load_u16 v100, v[83:84], off
	v_add_co_u32 v81, vcc_lo, v81, s30
	v_add_co_ci_u32_e32 v82, vcc_lo, s31, v82, vcc_lo
	v_add_co_u32 v83, vcc_lo, v83, s30
	v_add_co_ci_u32_e32 v84, vcc_lo, s31, v84, vcc_lo
	global_load_u16 v101, v[81:82], off
	global_load_u16 v102, v[83:84], off
	;; [unrolled: 6-line block ×4, first 2 shown]
	v_add_co_u32 v81, vcc_lo, v81, s30
	v_add_co_ci_u32_e32 v82, vcc_lo, s31, v82, vcc_lo
	v_add_co_u32 v83, vcc_lo, v83, s30
	v_add_co_ci_u32_e32 v84, vcc_lo, s31, v84, vcc_lo
	global_load_u16 v107, v[81:82], off
	v_add_co_u32 v81, vcc_lo, v81, s30
	v_add_co_ci_u32_e32 v82, vcc_lo, s31, v82, vcc_lo
	global_load_u16 v108, v[83:84], off
	global_load_u16 v109, v[81:82], off
	v_add_co_u32 v83, vcc_lo, v83, s30
	v_add_co_ci_u32_e32 v84, vcc_lo, s31, v84, vcc_lo
	v_add_co_u32 v81, vcc_lo, v81, s30
	v_add_co_ci_u32_e32 v82, vcc_lo, s31, v82, vcc_lo
	global_load_u16 v110, v[83:84], off
	v_add_co_u32 v85, vcc_lo, v81, s30
	v_add_co_ci_u32_e32 v86, vcc_lo, s31, v82, vcc_lo
	global_load_u16 v111, v[81:82], off
	;; [unrolled: 3-line block ×3, first 2 shown]
	global_load_u16 v81, v[81:82], off
	s_waitcnt vmcnt(62)
	ds_bpermute_b32 v82, v1, v42
	ds_bpermute_b32 v84, v8, v42
	;; [unrolled: 1-line block ×7, first 2 shown]
	v_add_co_u32 v0, vcc_lo, v0, s0
	s_add_u32 s12, s12, s26
	v_add_co_ci_u32_e32 v39, vcc_lo, s1, v39, vcc_lo
	s_addc_u32 s13, s13, 0
	v_add_co_u32 v4, vcc_lo, v4, s28
	v_cmp_lt_i64_e64 s3, s[12:13], s[16:17]
	v_add_co_ci_u32_e32 v5, vcc_lo, s29, v5, vcc_lo
	v_add_co_u32 v2, vcc_lo, v2, s26
	v_add_co_ci_u32_e32 v3, vcc_lo, 0, v3, vcc_lo
	s_delay_alu instid0(VALU_DEP_4) | instskip(SKIP_2) | instid1(VALU_DEP_1)
	s_and_b32 vcc_lo, exec_lo, s3
	v_cvt_f32_f16_e32 v44, v44
	s_waitcnt lgkmcnt(6)
	v_sub_f32_e32 v44, v44, v82
	ds_bpermute_b32 v82, v9, v41
	v_cvt_f32_f16_e32 v49, v49
	s_waitcnt vmcnt(61)
	v_cvt_f32_f16_e32 v48, v48
	s_waitcnt vmcnt(60)
	v_cvt_f32_f16_e32 v47, v47
	s_waitcnt vmcnt(59)
	v_cvt_f32_f16_e32 v46, v46
	s_waitcnt vmcnt(58)
	v_cvt_f32_f16_e32 v45, v45
	v_add_f32_e32 v43, v43, v49
	v_mul_f32_e32 v44, v44, v49
	s_waitcnt lgkmcnt(6)
	v_sub_f32_e32 v48, v48, v84
	ds_bpermute_b32 v84, v10, v41
	s_waitcnt lgkmcnt(6)
	v_dual_add_f32 v43, v43, v47 :: v_dual_fmac_f32 v40, v44, v85
	s_waitcnt lgkmcnt(5)
	v_sub_f32_e32 v46, v46, v86
	ds_bpermute_b32 v85, v13, v42
	v_add_f32_e32 v43, v43, v45
	s_waitcnt vmcnt(55)
	v_cvt_f32_f16_e32 v51, v51
	s_waitcnt vmcnt(54)
	v_cvt_f32_f16_e32 v53, v53
	;; [unrolled: 2-line block ×4, first 2 shown]
	v_mul_f32_e32 v44, v48, v47
	v_cvt_f32_f16_e32 v48, v50
	ds_bpermute_b32 v50, v12, v42
	s_waitcnt lgkmcnt(6)
	v_fmac_f32_e32 v40, v44, v112
	v_mul_f32_e32 v44, v46, v45
	s_waitcnt lgkmcnt(5)
	v_sub_f32_e32 v46, v48, v113
	v_cvt_f32_f16_e32 v48, v52
	ds_bpermute_b32 v52, v11, v41
	ds_bpermute_b32 v45, v19, v41
	s_waitcnt lgkmcnt(5)
	v_dual_add_f32 v43, v43, v48 :: v_dual_fmac_f32 v40, v44, v82
	ds_bpermute_b32 v82, v14, v42
	v_dual_add_f32 v43, v43, v51 :: v_dual_mul_f32 v44, v46, v48
	v_sub_f32_e32 v46, v53, v114
	ds_bpermute_b32 v53, v12, v41
	ds_bpermute_b32 v48, v20, v41
	s_waitcnt lgkmcnt(7)
	v_fmac_f32_e32 v40, v44, v84
	v_mul_f32_e32 v44, v46, v51
	s_waitcnt lgkmcnt(5)
	v_sub_f32_e32 v46, v55, v50
	v_cvt_f32_f16_e32 v50, v54
	ds_bpermute_b32 v54, v13, v41
	v_cvt_f32_f16_e32 v55, v60
	ds_bpermute_b32 v60, v15, v42
	s_waitcnt lgkmcnt(6)
	v_fmac_f32_e32 v40, v44, v52
	v_mul_f32_e32 v44, v46, v50
	v_cvt_f32_f16_e32 v52, v56
	v_sub_f32_e32 v46, v55, v85
	ds_bpermute_b32 v55, v14, v41
	v_cvt_f32_f16_e32 v56, v58
	ds_bpermute_b32 v58, v16, v42
	v_add_f32_e32 v43, v43, v50
	s_waitcnt vmcnt(36)
	v_cvt_f32_f16_e32 v51, v70
	s_waitcnt lgkmcnt(5)
	v_fmac_f32_e32 v40, v44, v53
	v_mul_f32_e32 v44, v46, v52
	v_sub_f32_e32 v46, v56, v82
	ds_bpermute_b32 v53, v15, v41
	v_cvt_f32_f16_e32 v56, v57
	v_cvt_f32_f16_e32 v57, v61
	ds_bpermute_b32 v61, v17, v42
	s_waitcnt lgkmcnt(5)
	v_fmac_f32_e32 v40, v44, v54
	ds_bpermute_b32 v54, v16, v41
	v_add_f32_e32 v43, v43, v52
	v_mul_f32_e32 v44, v46, v56
	s_waitcnt lgkmcnt(5)
	v_sub_f32_e32 v46, v57, v60
	v_cvt_f32_f16_e32 v57, v59
	v_cvt_f32_f16_e32 v59, v66
	v_add_f32_e32 v43, v43, v56
	ds_bpermute_b32 v60, v18, v42
	s_waitcnt lgkmcnt(5)
	v_fmac_f32_e32 v40, v44, v55
	v_mul_f32_e32 v44, v46, v57
	s_waitcnt lgkmcnt(4)
	v_sub_f32_e32 v46, v59, v58
	v_cvt_f32_f16_e32 v55, v62
	v_cvt_f32_f16_e32 v58, v65
	v_add_f32_e32 v43, v43, v57
	ds_bpermute_b32 v59, v17, v41
	s_waitcnt vmcnt(29)
	v_cvt_f32_f16_e32 v56, v79
	s_waitcnt lgkmcnt(4)
	v_fmac_f32_e32 v40, v44, v53
	v_mul_f32_e32 v44, v46, v55
	ds_bpermute_b32 v46, v19, v42
	s_waitcnt lgkmcnt(4)
	v_sub_f32_e32 v53, v58, v61
	v_add_f32_e32 v43, v43, v55
	ds_bpermute_b32 v61, v18, v41
	v_cvt_f32_f16_e32 v58, v67
	ds_bpermute_b32 v55, v22, v42
	v_mul_f32_e32 v47, v53, v49
	v_add_f32_e32 v43, v43, v49
	v_cvt_f32_f16_e32 v50, v75
	s_waitcnt lgkmcnt(4)
	v_sub_f32_e32 v53, v58, v60
	v_cvt_f32_f16_e32 v58, v73
	v_cvt_f32_f16_e32 v52, v77
	s_waitcnt vmcnt(25)
	v_cvt_f32_f16_e32 v49, v89
	v_fmac_f32_e32 v40, v44, v54
	ds_bpermute_b32 v44, v20, v42
	v_cvt_f32_f16_e32 v54, v64
	v_cvt_f32_f16_e32 v57, v78
	s_waitcnt vmcnt(24)
	v_cvt_f32_f16_e32 v60, v87
	s_delay_alu instid0(VALU_DEP_3)
	v_add_f32_e32 v43, v43, v54
	s_waitcnt vmcnt(23)
	v_cvt_f32_f16_e32 v62, v90
	s_waitcnt vmcnt(22)
	v_cvt_f32_f16_e32 v63, v91
	s_waitcnt vmcnt(21)
	v_cvt_f32_f16_e32 v64, v92
	s_waitcnt lgkmcnt(4)
	v_dual_fmac_f32 v40, v47, v59 :: v_dual_mul_f32 v47, v53, v54
	s_waitcnt lgkmcnt(3)
	v_sub_f32_e32 v46, v58, v46
	v_cvt_f32_f16_e32 v53, v68
	s_waitcnt lgkmcnt(0)
	v_sub_f32_e32 v44, v51, v44
	v_cvt_f32_f16_e32 v51, v76
	v_cvt_f32_f16_e32 v58, v80
	ds_bpermute_b32 v54, v23, v42
	v_mul_f32_e32 v46, v46, v53
	s_waitcnt vmcnt(19)
	v_cvt_f32_f16_e32 v66, v94
	v_fmac_f32_e32 v40, v47, v61
	v_cvt_f32_f16_e32 v47, v69
	v_add_f32_e32 v43, v43, v53
	ds_bpermute_b32 v61, v21, v41
	v_cvt_f32_f16_e32 v59, v88
	ds_bpermute_b32 v53, v24, v42
	v_mul_f32_e32 v44, v44, v47
	s_waitcnt vmcnt(17)
	v_cvt_f32_f16_e32 v68, v96
	v_dual_fmac_f32 v40, v46, v45 :: v_dual_add_f32 v43, v43, v47
	ds_bpermute_b32 v46, v21, v42
	ds_bpermute_b32 v47, v25, v42
	v_cvt_f32_f16_e32 v45, v72
	v_fmac_f32_e32 v40, v44, v48
	v_cvt_f32_f16_e32 v44, v71
	v_cvt_f32_f16_e32 v48, v74
	;; [unrolled: 1-line block ×4, first 2 shown]
	s_waitcnt vmcnt(16)
	v_cvt_f32_f16_e32 v69, v97
	v_add_f32_e32 v43, v43, v44
	s_delay_alu instid0(VALU_DEP_1) | instskip(NEXT) | instid1(VALU_DEP_1)
	v_add_f32_e32 v43, v43, v48
	v_add_f32_e32 v43, v43, v51
	s_waitcnt lgkmcnt(1)
	v_sub_f32_e32 v45, v45, v46
	ds_bpermute_b32 v46, v22, v41
	s_waitcnt lgkmcnt(1)
	v_sub_f32_e32 v47, v59, v47
	v_add_f32_e32 v43, v43, v56
	v_mul_f32_e32 v45, v45, v44
	ds_bpermute_b32 v44, v25, v41
	v_mul_f32_e32 v47, v47, v58
	v_dual_add_f32 v43, v43, v58 :: v_dual_fmac_f32 v40, v45, v61
	ds_bpermute_b32 v45, v24, v41
	s_waitcnt vmcnt(15)
	v_cvt_f32_f16_e32 v61, v98
	v_add_f32_e32 v43, v43, v49
	s_delay_alu instid0(VALU_DEP_1) | instskip(SKIP_2) | instid1(VALU_DEP_2)
	v_add_f32_e32 v43, v43, v62
	s_waitcnt vmcnt(8)
	v_cvt_f32_f16_e32 v58, v105
	v_dual_sub_f32 v52, v52, v54 :: v_dual_add_f32 v43, v43, v64
	ds_bpermute_b32 v54, v26, v42
	v_dual_add_f32 v43, v43, v66 :: v_dual_sub_f32 v50, v50, v55
	ds_bpermute_b32 v55, v23, v41
	v_add_f32_e32 v43, v43, v68
	s_delay_alu instid0(VALU_DEP_1) | instskip(SKIP_1) | instid1(VALU_DEP_1)
	v_dual_mul_f32 v50, v50, v48 :: v_dual_add_f32 v43, v43, v61
	s_waitcnt lgkmcnt(4)
	v_fmac_f32_e32 v40, v50, v46
	v_mul_f32_e32 v46, v52, v51
	ds_bpermute_b32 v52, v27, v42
	v_sub_f32_e32 v50, v57, v53
	ds_bpermute_b32 v51, v29, v42
	v_cvt_f32_f16_e32 v53, v99
	v_cvt_f32_f16_e32 v57, v103
	s_waitcnt vmcnt(4)
	v_cvt_f32_f16_e32 v59, v109
	v_mul_f32_e32 v48, v50, v56
	ds_bpermute_b32 v50, v28, v42
	v_cvt_f32_f16_e32 v56, v102
	s_waitcnt lgkmcnt(3)
	v_fmac_f32_e32 v40, v46, v55
	ds_bpermute_b32 v46, v26, v41
	v_cvt_f32_f16_e32 v55, v100
	v_fmac_f32_e32 v40, v48, v45
	ds_bpermute_b32 v45, v27, v41
	v_sub_f32_e32 v48, v60, v54
	v_cvt_f32_f16_e32 v54, v101
	v_add_f32_e32 v43, v43, v55
	v_fmac_f32_e32 v40, v47, v44
	ds_bpermute_b32 v44, v28, v41
	s_waitcnt lgkmcnt(5)
	v_dual_mul_f32 v47, v48, v49 :: v_dual_sub_f32 v48, v63, v52
	ds_bpermute_b32 v52, v30, v42
	ds_bpermute_b32 v49, v32, v42
	v_add_f32_e32 v43, v43, v56
	s_waitcnt lgkmcnt(4)
	v_fmac_f32_e32 v40, v47, v46
	ds_bpermute_b32 v46, v29, v41
	v_mul_f32_e32 v47, v48, v62
	v_sub_f32_e32 v48, v65, v50
	ds_bpermute_b32 v50, v31, v42
	s_waitcnt lgkmcnt(5)
	v_fmac_f32_e32 v40, v47, v45
	ds_bpermute_b32 v45, v30, v41
	v_dual_mul_f32 v47, v48, v64 :: v_dual_sub_f32 v48, v67, v51
	v_cvt_f32_f16_e32 v51, v104
	s_waitcnt lgkmcnt(5)
	s_delay_alu instid0(VALU_DEP_2)
	v_fmac_f32_e32 v40, v47, v44
	ds_bpermute_b32 v44, v31, v41
	s_waitcnt lgkmcnt(5)
	v_dual_mul_f32 v47, v48, v66 :: v_dual_sub_f32 v48, v69, v52
	ds_bpermute_b32 v52, v33, v42
	v_add_f32_e32 v43, v43, v51
	s_waitcnt lgkmcnt(4)
	v_fmac_f32_e32 v40, v47, v46
	ds_bpermute_b32 v46, v32, v41
	s_waitcnt lgkmcnt(4)
	v_dual_mul_f32 v47, v48, v68 :: v_dual_sub_f32 v48, v53, v50
	ds_bpermute_b32 v53, v34, v42
	v_cvt_f32_f16_e32 v50, v106
	s_waitcnt lgkmcnt(4)
	v_fmac_f32_e32 v40, v47, v45
	v_mul_f32_e32 v45, v48, v61
	ds_bpermute_b32 v47, v33, v41
	v_sub_f32_e32 v48, v54, v49
	ds_bpermute_b32 v54, v35, v42
	v_cvt_f32_f16_e32 v49, v107
	s_waitcnt lgkmcnt(5)
	v_dual_add_f32 v43, v43, v50 :: v_dual_fmac_f32 v40, v45, v44
	v_mul_f32_e32 v44, v48, v55
	ds_bpermute_b32 v45, v34, v41
	s_waitcnt lgkmcnt(5)
	v_sub_f32_e32 v48, v57, v52
	ds_bpermute_b32 v52, v36, v42
	ds_bpermute_b32 v55, v36, v41
	v_cvt_f32_f16_e32 v57, v108
	s_waitcnt lgkmcnt(6)
	v_fmac_f32_e32 v40, v44, v46
	ds_bpermute_b32 v44, v35, v41
	v_mul_f32_e32 v46, v48, v56
	ds_bpermute_b32 v48, v37, v42
	s_waitcnt lgkmcnt(7)
	v_sub_f32_e32 v53, v58, v53
	ds_bpermute_b32 v42, v38, v42
	s_waitcnt lgkmcnt(7)
	v_dual_add_f32 v43, v43, v57 :: v_dual_fmac_f32 v40, v46, v47
	v_mul_f32_e32 v46, v53, v51
	s_waitcnt lgkmcnt(6)
	v_sub_f32_e32 v47, v49, v54
	ds_bpermute_b32 v53, v37, v41
	ds_bpermute_b32 v41, v38, v41
	s_waitcnt vmcnt(3)
	v_cvt_f32_f16_e32 v49, v110
	s_waitcnt lgkmcnt(7)
	v_dual_fmac_f32 v40, v46, v45 :: v_dual_mul_f32 v45, v47, v50
	s_waitcnt lgkmcnt(6)
	v_sub_f32_e32 v46, v59, v52
	v_add_f32_e32 v43, v43, v49
	s_waitcnt vmcnt(2)
	v_cvt_f32_f16_e32 v47, v111
	s_waitcnt lgkmcnt(4)
	v_fmac_f32_e32 v40, v45, v44
	v_mul_f32_e32 v44, v46, v57
	s_waitcnt vmcnt(1)
	v_cvt_f32_f16_e32 v46, v83
	s_waitcnt lgkmcnt(3)
	v_sub_f32_e32 v45, v47, v48
	s_waitcnt vmcnt(0)
	v_cvt_f32_f16_e32 v47, v81
	v_fmac_f32_e32 v40, v44, v55
	s_waitcnt lgkmcnt(2)
	v_sub_f32_e32 v42, v46, v42
	s_delay_alu instid0(VALU_DEP_3) | instskip(NEXT) | instid1(VALU_DEP_2)
	v_dual_mul_f32 v44, v45, v49 :: v_dual_add_f32 v43, v43, v47
	v_mul_f32_e32 v42, v42, v47
	s_waitcnt lgkmcnt(1)
	s_delay_alu instid0(VALU_DEP_2) | instskip(SKIP_1) | instid1(VALU_DEP_1)
	v_fmac_f32_e32 v40, v44, v53
	s_waitcnt lgkmcnt(0)
	v_fmac_f32_e32 v40, v42, v41
	s_cbranch_vccz .LBB73_8
.LBB73_6:                               ; =>This Inner Loop Header: Depth=1
	v_dual_mov_b32 v41, 0 :: v_dual_mov_b32 v42, 0
	s_mov_b32 s3, exec_lo
	v_cmpx_gt_i64_e64 s[16:17], v[2:3]
	s_cbranch_execz .LBB73_5
; %bb.7:                                ;   in Loop: Header=BB73_6 Depth=1
	v_add_co_u32 v41, vcc_lo, s8, v4
	v_add_co_ci_u32_e32 v42, vcc_lo, s9, v5, vcc_lo
	v_add_co_u32 v44, vcc_lo, s10, v4
	v_add_co_ci_u32_e32 v45, vcc_lo, s11, v5, vcc_lo
	global_load_b32 v42, v[41:42], off
	global_load_b32 v41, v[44:45], off
	s_branch .LBB73_5
.LBB73_8:
	s_delay_alu instid0(VALU_DEP_1)
	v_cvt_f16_f32_e32 v8, v40
	v_cvt_f16_f32_e32 v5, v43
	v_mov_b32_e32 v1, v6
.LBB73_9:
	s_load_b32 s0, s[24:25], 0xc
	v_mov_b32_e32 v2, 0
	s_mov_b32 s15, 0
	s_waitcnt lgkmcnt(0)
	s_lshr_b32 s0, s0, 16
	s_delay_alu instid0(VALU_DEP_1) | instid1(SALU_CYCLE_1)
	v_mad_u64_u32 v[3:4], null, s0, s2, v[1:2]
	s_lshl_b64 s[0:1], s[14:15], 6
	s_cmp_eq_u64 s[20:21], 0
	v_add_co_u32 v0, s0, s0, v7
	s_delay_alu instid0(VALU_DEP_1) | instskip(NEXT) | instid1(VALU_DEP_3)
	v_add_co_ci_u32_e64 v1, null, s1, 0, s0
	v_mul_lo_u32 v2, v4, s18
	s_delay_alu instid0(VALU_DEP_4) | instskip(NEXT) | instid1(VALU_DEP_3)
	v_mul_lo_u32 v4, v3, s19
	v_lshlrev_b64 v[0:1], 1, v[0:1]
	s_cbranch_scc1 .LBB73_11
; %bb.10:
	v_mad_u64_u32 v[6:7], null, v3, s18, 0
	s_delay_alu instid0(VALU_DEP_1) | instskip(NEXT) | instid1(VALU_DEP_1)
	v_add3_u32 v7, v7, v4, v2
	v_lshlrev_b64 v[6:7], 1, v[6:7]
	s_delay_alu instid0(VALU_DEP_1) | instskip(NEXT) | instid1(VALU_DEP_2)
	v_add_co_u32 v6, vcc_lo, s20, v6
	v_add_co_ci_u32_e32 v7, vcc_lo, s21, v7, vcc_lo
	s_delay_alu instid0(VALU_DEP_2) | instskip(NEXT) | instid1(VALU_DEP_2)
	v_add_co_u32 v6, vcc_lo, v6, v0
	v_add_co_ci_u32_e32 v7, vcc_lo, v7, v1, vcc_lo
	global_store_b16 v[6:7], v8, off
.LBB73_11:
	s_cmp_eq_u64 s[22:23], 0
	s_cbranch_scc1 .LBB73_13
; %bb.12:
	v_mad_u64_u32 v[6:7], null, v3, s18, 0
	s_delay_alu instid0(VALU_DEP_1) | instskip(NEXT) | instid1(VALU_DEP_1)
	v_add3_u32 v7, v7, v4, v2
	v_lshlrev_b64 v[2:3], 1, v[6:7]
	s_delay_alu instid0(VALU_DEP_1) | instskip(NEXT) | instid1(VALU_DEP_2)
	v_add_co_u32 v2, vcc_lo, s22, v2
	v_add_co_ci_u32_e32 v3, vcc_lo, s23, v3, vcc_lo
	s_delay_alu instid0(VALU_DEP_2) | instskip(NEXT) | instid1(VALU_DEP_2)
	v_add_co_u32 v0, vcc_lo, v2, v0
	v_add_co_ci_u32_e32 v1, vcc_lo, v3, v1, vcc_lo
	global_store_b16 v[0:1], v5, off
.LBB73_13:
	s_nop 0
	s_sendmsg sendmsg(MSG_DEALLOC_VGPRS)
	s_endpgm
	.section	.rodata,"a",@progbits
	.p2align	6, 0x0
	.amdhsa_kernel _ZN2at6native12_GLOBAL__N_135GammaBetaBackwardCUDAKernelTemplateIN3c104HalfEfLj64ELj1ELj32ELb1ELb1ELb0EEEvllPKT_S7_PKT0_SA_PS5_SB_
		.amdhsa_group_segment_fixed_size 0
		.amdhsa_private_segment_fixed_size 0
		.amdhsa_kernarg_size 320
		.amdhsa_user_sgpr_count 14
		.amdhsa_user_sgpr_dispatch_ptr 0
		.amdhsa_user_sgpr_queue_ptr 0
		.amdhsa_user_sgpr_kernarg_segment_ptr 1
		.amdhsa_user_sgpr_dispatch_id 0
		.amdhsa_user_sgpr_private_segment_size 0
		.amdhsa_wavefront_size32 1
		.amdhsa_uses_dynamic_stack 0
		.amdhsa_enable_private_segment 0
		.amdhsa_system_sgpr_workgroup_id_x 1
		.amdhsa_system_sgpr_workgroup_id_y 1
		.amdhsa_system_sgpr_workgroup_id_z 0
		.amdhsa_system_sgpr_workgroup_info 0
		.amdhsa_system_vgpr_workitem_id 1
		.amdhsa_next_free_vgpr 115
		.amdhsa_next_free_sgpr 32
		.amdhsa_reserve_vcc 1
		.amdhsa_float_round_mode_32 0
		.amdhsa_float_round_mode_16_64 0
		.amdhsa_float_denorm_mode_32 3
		.amdhsa_float_denorm_mode_16_64 3
		.amdhsa_dx10_clamp 1
		.amdhsa_ieee_mode 1
		.amdhsa_fp16_overflow 0
		.amdhsa_workgroup_processor_mode 1
		.amdhsa_memory_ordered 1
		.amdhsa_forward_progress 0
		.amdhsa_shared_vgpr_count 0
		.amdhsa_exception_fp_ieee_invalid_op 0
		.amdhsa_exception_fp_denorm_src 0
		.amdhsa_exception_fp_ieee_div_zero 0
		.amdhsa_exception_fp_ieee_overflow 0
		.amdhsa_exception_fp_ieee_underflow 0
		.amdhsa_exception_fp_ieee_inexact 0
		.amdhsa_exception_int_div_zero 0
	.end_amdhsa_kernel
	.section	.text._ZN2at6native12_GLOBAL__N_135GammaBetaBackwardCUDAKernelTemplateIN3c104HalfEfLj64ELj1ELj32ELb1ELb1ELb0EEEvllPKT_S7_PKT0_SA_PS5_SB_,"axG",@progbits,_ZN2at6native12_GLOBAL__N_135GammaBetaBackwardCUDAKernelTemplateIN3c104HalfEfLj64ELj1ELj32ELb1ELb1ELb0EEEvllPKT_S7_PKT0_SA_PS5_SB_,comdat
.Lfunc_end73:
	.size	_ZN2at6native12_GLOBAL__N_135GammaBetaBackwardCUDAKernelTemplateIN3c104HalfEfLj64ELj1ELj32ELb1ELb1ELb0EEEvllPKT_S7_PKT0_SA_PS5_SB_, .Lfunc_end73-_ZN2at6native12_GLOBAL__N_135GammaBetaBackwardCUDAKernelTemplateIN3c104HalfEfLj64ELj1ELj32ELb1ELb1ELb0EEEvllPKT_S7_PKT0_SA_PS5_SB_
                                        ; -- End function
	.section	.AMDGPU.csdata,"",@progbits
; Kernel info:
; codeLenInByte = 3884
; NumSgprs: 34
; NumVgprs: 115
; ScratchSize: 0
; MemoryBound: 0
; FloatMode: 240
; IeeeMode: 1
; LDSByteSize: 0 bytes/workgroup (compile time only)
; SGPRBlocks: 4
; VGPRBlocks: 14
; NumSGPRsForWavesPerEU: 34
; NumVGPRsForWavesPerEU: 115
; Occupancy: 12
; WaveLimiterHint : 0
; COMPUTE_PGM_RSRC2:SCRATCH_EN: 0
; COMPUTE_PGM_RSRC2:USER_SGPR: 14
; COMPUTE_PGM_RSRC2:TRAP_HANDLER: 0
; COMPUTE_PGM_RSRC2:TGID_X_EN: 1
; COMPUTE_PGM_RSRC2:TGID_Y_EN: 1
; COMPUTE_PGM_RSRC2:TGID_Z_EN: 0
; COMPUTE_PGM_RSRC2:TIDIG_COMP_CNT: 1
	.section	.text._ZN2at6native12_GLOBAL__N_135GammaBetaBackwardCUDAKernelTemplateIN3c104HalfEfLj64ELj1ELj32ELb1ELb0ELb0EEEvllPKT_S7_PKT0_SA_PS5_SB_,"axG",@progbits,_ZN2at6native12_GLOBAL__N_135GammaBetaBackwardCUDAKernelTemplateIN3c104HalfEfLj64ELj1ELj32ELb1ELb0ELb0EEEvllPKT_S7_PKT0_SA_PS5_SB_,comdat
	.globl	_ZN2at6native12_GLOBAL__N_135GammaBetaBackwardCUDAKernelTemplateIN3c104HalfEfLj64ELj1ELj32ELb1ELb0ELb0EEEvllPKT_S7_PKT0_SA_PS5_SB_ ; -- Begin function _ZN2at6native12_GLOBAL__N_135GammaBetaBackwardCUDAKernelTemplateIN3c104HalfEfLj64ELj1ELj32ELb1ELb0ELb0EEEvllPKT_S7_PKT0_SA_PS5_SB_
	.p2align	8
	.type	_ZN2at6native12_GLOBAL__N_135GammaBetaBackwardCUDAKernelTemplateIN3c104HalfEfLj64ELj1ELj32ELb1ELb0ELb0EEEvllPKT_S7_PKT0_SA_PS5_SB_,@function
_ZN2at6native12_GLOBAL__N_135GammaBetaBackwardCUDAKernelTemplateIN3c104HalfEfLj64ELj1ELj32ELb1ELb0ELb0EEEvllPKT_S7_PKT0_SA_PS5_SB_: ; @_ZN2at6native12_GLOBAL__N_135GammaBetaBackwardCUDAKernelTemplateIN3c104HalfEfLj64ELj1ELj32ELb1ELb0ELb0EEEvllPKT_S7_PKT0_SA_PS5_SB_
; %bb.0:
	s_clause 0x1
	s_load_b256 s[16:23], s[0:1], 0x0
	s_load_b128 s[8:11], s[0:1], 0x20
	s_mov_b32 s2, s15
	s_mov_b32 s5, 0
	s_lshl_b32 s6, s2, 5
	s_mov_b32 s7, s5
	s_lshl_b32 s15, s14, 6
	v_mov_b32_e32 v227, v0
	s_or_b32 s4, s15, 63
	s_waitcnt lgkmcnt(0)
	v_cmp_lt_i64_e64 s30, s[6:7], s[16:17]
	v_cmp_ge_i64_e64 s3, s[4:5], s[18:19]
	s_delay_alu instid0(VALU_DEP_2) | instskip(NEXT) | instid1(VALU_DEP_2)
	v_cndmask_b32_e64 v0, 0, 1, s30
	s_and_b32 vcc_lo, exec_lo, s3
	s_delay_alu instid0(VALU_DEP_1)
	v_cmp_ne_u32_e64 s3, 1, v0
	s_cbranch_vccz .LBB74_141
; %bb.1:
	v_dual_mov_b32 v144, 0 :: v_dual_mov_b32 v125, 0
	s_delay_alu instid0(VALU_DEP_2)
	s_and_b32 vcc_lo, exec_lo, s3
	s_cbranch_vccnz .LBB74_142
; %bb.2:
	v_bfe_u32 v9, v227, 10, 10
	s_load_b32 s4, s[0:1], 0x44
	v_dual_mov_b32 v2, 0 :: v_dual_and_b32 v11, 0x3ff, v227
	s_add_u32 s12, s0, 64
	s_delay_alu instid0(VALU_DEP_2) | instskip(SKIP_1) | instid1(VALU_DEP_2)
	v_lshlrev_b32_e32 v10, 5, v9
	s_addc_u32 s13, s1, 0
	v_dual_mov_b32 v12, v2 :: v_dual_add_nc_u32 v1, s15, v11
	v_mov_b32_e32 v140, 0
	s_delay_alu instid0(VALU_DEP_3) | instskip(NEXT) | instid1(VALU_DEP_1)
	v_add_co_u32 v5, s3, v10, s6
	v_add_co_ci_u32_e64 v6, null, 0, 0, s3
	s_delay_alu instid0(VALU_DEP_4) | instskip(NEXT) | instid1(VALU_DEP_3)
	v_cmp_gt_i64_e64 s3, s[18:19], v[1:2]
	v_add_co_u32 v0, vcc_lo, v5, 31
	s_delay_alu instid0(VALU_DEP_3) | instskip(SKIP_1) | instid1(VALU_DEP_3)
	v_add_co_ci_u32_e32 v3, vcc_lo, 0, v6, vcc_lo
	v_mad_u64_u32 v[134:135], null, s18, v5, 0
	v_mul_lo_u32 v4, s19, v0
	s_delay_alu instid0(VALU_DEP_3)
	v_mul_lo_u32 v3, s18, v3
	v_mad_u64_u32 v[7:8], null, s18, v0, 0
	v_add_co_u32 v0, vcc_lo, v5, 30
	v_add_co_ci_u32_e32 v13, vcc_lo, 0, v6, vcc_lo
	s_waitcnt lgkmcnt(0)
	s_lshl_b32 s31, s4, 5
	s_delay_alu instid0(VALU_DEP_2) | instskip(NEXT) | instid1(VALU_DEP_4)
	v_mul_lo_u32 v14, s19, v0
	v_add3_u32 v8, v8, v3, v4
	v_mul_lo_u32 v15, s18, v13
	v_mad_u64_u32 v[16:17], null, s18, v0, 0
	v_lshlrev_b64 v[3:4], 1, v[1:2]
	s_delay_alu instid0(VALU_DEP_4) | instskip(SKIP_4) | instid1(VALU_DEP_3)
	v_lshlrev_b64 v[7:8], 1, v[7:8]
	s_mul_i32 s4, s19, s31
	s_mul_hi_u32 s24, s18, s31
	s_mul_i32 s26, s18, s31
	s_add_i32 s27, s24, s4
	v_add3_u32 v17, v17, v15, v14
	v_add_co_u32 v1, vcc_lo, s20, v7
	v_add_co_ci_u32_e32 v13, vcc_lo, s21, v8, vcc_lo
	v_add_co_u32 v0, vcc_lo, v5, 29
	v_add_co_u32 v14, s4, s22, v7
	s_delay_alu instid0(VALU_DEP_1)
	v_add_co_ci_u32_e64 v15, s4, s23, v8, s4
	v_lshlrev_b64 v[7:8], 1, v[16:17]
	v_add_co_ci_u32_e32 v16, vcc_lo, 0, v6, vcc_lo
	v_add_co_u32 v17, vcc_lo, v5, 28
	v_add_co_ci_u32_e32 v19, vcc_lo, 0, v6, vcc_lo
	v_mul_lo_u32 v18, s19, v0
	s_delay_alu instid0(VALU_DEP_4)
	v_mul_lo_u32 v24, s18, v16
	v_mad_u64_u32 v[20:21], null, s18, v0, 0
	v_mul_lo_u32 v0, s19, v17
	v_mul_lo_u32 v25, s18, v19
	v_mad_u64_u32 v[22:23], null, s18, v17, 0
	v_add_co_u32 v16, vcc_lo, s20, v7
	v_add_co_ci_u32_e32 v17, vcc_lo, s21, v8, vcc_lo
	v_add3_u32 v21, v21, v24, v18
	v_add_co_u32 v18, vcc_lo, s22, v7
	v_add_co_ci_u32_e32 v19, vcc_lo, s23, v8, vcc_lo
	v_add3_u32 v23, v23, v25, v0
	v_add_co_u32 v0, vcc_lo, v5, 27
	v_add_co_ci_u32_e32 v24, vcc_lo, 0, v6, vcc_lo
	v_lshlrev_b64 v[7:8], 1, v[20:21]
	s_delay_alu instid0(VALU_DEP_3) | instskip(SKIP_1) | instid1(VALU_DEP_4)
	v_mul_lo_u32 v30, s19, v0
	v_mad_u64_u32 v[28:29], null, s18, v0, 0
	v_mul_lo_u32 v31, s18, v24
	v_lshlrev_b64 v[26:27], 1, v[22:23]
	v_add_co_u32 v20, vcc_lo, s20, v7
	v_add_co_ci_u32_e32 v21, vcc_lo, s21, v8, vcc_lo
	v_add_co_u32 v22, vcc_lo, s22, v7
	v_add_co_ci_u32_e32 v23, vcc_lo, s23, v8, vcc_lo
	v_add_co_u32 v24, vcc_lo, s20, v26
	v_add3_u32 v29, v29, v31, v30
	v_add_co_ci_u32_e32 v25, vcc_lo, s21, v27, vcc_lo
	v_add_co_u32 v0, vcc_lo, v5, 26
	s_delay_alu instid0(VALU_DEP_3) | instskip(SKIP_4) | instid1(VALU_DEP_4)
	v_lshlrev_b64 v[7:8], 1, v[28:29]
	v_add_co_ci_u32_e32 v28, vcc_lo, 0, v6, vcc_lo
	v_add_co_u32 v29, vcc_lo, v5, 25
	v_add_co_ci_u32_e32 v31, vcc_lo, 0, v6, vcc_lo
	v_mul_lo_u32 v30, s19, v0
	v_mul_lo_u32 v36, s18, v28
	v_mad_u64_u32 v[32:33], null, s18, v0, 0
	v_mul_lo_u32 v0, s19, v29
	v_mul_lo_u32 v37, s18, v31
	v_mad_u64_u32 v[34:35], null, s18, v29, 0
	v_add_co_u32 v28, vcc_lo, s20, v7
	v_add_co_ci_u32_e32 v29, vcc_lo, s21, v8, vcc_lo
	v_add3_u32 v33, v33, v36, v30
	v_add_co_u32 v30, vcc_lo, s22, v7
	v_add_co_ci_u32_e32 v31, vcc_lo, s23, v8, vcc_lo
	v_add3_u32 v35, v35, v37, v0
	v_add_co_u32 v0, vcc_lo, v5, 24
	v_add_co_ci_u32_e32 v36, vcc_lo, 0, v6, vcc_lo
	v_lshlrev_b64 v[7:8], 1, v[32:33]
	s_delay_alu instid0(VALU_DEP_3) | instskip(SKIP_1) | instid1(VALU_DEP_4)
	v_mul_lo_u32 v42, s19, v0
	v_mad_u64_u32 v[40:41], null, s18, v0, 0
	v_mul_lo_u32 v43, s18, v36
	v_lshlrev_b64 v[38:39], 1, v[34:35]
	v_add_co_u32 v32, vcc_lo, s20, v7
	v_add_co_ci_u32_e32 v33, vcc_lo, s21, v8, vcc_lo
	v_add_co_u32 v34, vcc_lo, s22, v7
	v_add_co_ci_u32_e32 v35, vcc_lo, s23, v8, vcc_lo
	v_add_co_u32 v36, vcc_lo, s20, v38
	v_add3_u32 v41, v41, v43, v42
	v_add_co_ci_u32_e32 v37, vcc_lo, s21, v39, vcc_lo
	v_add_co_u32 v0, vcc_lo, v5, 23
	s_delay_alu instid0(VALU_DEP_3) | instskip(SKIP_4) | instid1(VALU_DEP_4)
	v_lshlrev_b64 v[7:8], 1, v[40:41]
	v_add_co_ci_u32_e32 v40, vcc_lo, 0, v6, vcc_lo
	v_add_co_u32 v41, vcc_lo, v5, 22
	v_add_co_ci_u32_e32 v43, vcc_lo, 0, v6, vcc_lo
	v_mul_lo_u32 v42, s19, v0
	;; [unrolled: 33-line block ×3, first 2 shown]
	v_mul_lo_u32 v59, s18, v51
	v_mad_u64_u32 v[55:56], null, s18, v53, 0
	v_mul_lo_u32 v60, s19, v52
	v_mul_lo_u32 v61, s18, v57
	v_mad_u64_u32 v[57:58], null, s18, v52, 0
	v_add_co_u32 v51, vcc_lo, s20, v7
	v_add_co_ci_u32_e32 v52, vcc_lo, s21, v8, vcc_lo
	v_add_co_u32 v53, vcc_lo, s22, v7
	v_add3_u32 v56, v56, v59, v54
	v_add_co_ci_u32_e32 v54, vcc_lo, s23, v8, vcc_lo
	v_add_co_u32 v59, vcc_lo, v5, 18
	v_add3_u32 v58, v58, v61, v60
	v_add_co_ci_u32_e32 v60, vcc_lo, 0, v6, vcc_lo
	v_lshlrev_b64 v[7:8], 1, v[55:56]
	s_delay_alu instid0(VALU_DEP_4) | instskip(SKIP_1) | instid1(VALU_DEP_4)
	v_mul_lo_u32 v65, s19, v59
	v_mad_u64_u32 v[63:64], null, s18, v59, 0
	v_mul_lo_u32 v66, s18, v60
	v_lshlrev_b64 v[61:62], 1, v[57:58]
	v_add_co_u32 v55, vcc_lo, s20, v7
	v_add_co_ci_u32_e32 v56, vcc_lo, s21, v8, vcc_lo
	v_add_co_u32 v57, vcc_lo, s22, v7
	v_add_co_ci_u32_e32 v58, vcc_lo, s23, v8, vcc_lo
	v_add_co_u32 v59, vcc_lo, s20, v61
	v_add3_u32 v64, v64, v66, v65
	v_add_co_ci_u32_e32 v60, vcc_lo, s21, v62, vcc_lo
	v_add_co_u32 v65, vcc_lo, v5, 17
	s_delay_alu instid0(VALU_DEP_3) | instskip(SKIP_4) | instid1(VALU_DEP_4)
	v_lshlrev_b64 v[7:8], 1, v[63:64]
	v_add_co_ci_u32_e32 v63, vcc_lo, 0, v6, vcc_lo
	v_add_co_u32 v64, vcc_lo, v5, 16
	v_add_co_ci_u32_e32 v69, vcc_lo, 0, v6, vcc_lo
	v_mul_lo_u32 v66, s19, v65
	v_mul_lo_u32 v71, s18, v63
	v_mad_u64_u32 v[67:68], null, s18, v65, 0
	v_mul_lo_u32 v72, s19, v64
	v_mul_lo_u32 v73, s18, v69
	v_mad_u64_u32 v[69:70], null, s18, v64, 0
	v_add_co_u32 v63, vcc_lo, s20, v7
	v_add_co_ci_u32_e32 v64, vcc_lo, s21, v8, vcc_lo
	v_add_co_u32 v65, vcc_lo, s22, v7
	v_add3_u32 v68, v68, v71, v66
	v_add_co_ci_u32_e32 v66, vcc_lo, s23, v8, vcc_lo
	v_add_co_u32 v71, vcc_lo, v5, 15
	v_add3_u32 v70, v70, v73, v72
	v_add_co_ci_u32_e32 v72, vcc_lo, 0, v6, vcc_lo
	v_lshlrev_b64 v[7:8], 1, v[67:68]
	s_delay_alu instid0(VALU_DEP_4) | instskip(SKIP_1) | instid1(VALU_DEP_4)
	v_mul_lo_u32 v77, s19, v71
	v_mad_u64_u32 v[75:76], null, s18, v71, 0
	v_mul_lo_u32 v78, s18, v72
	v_lshlrev_b64 v[73:74], 1, v[69:70]
	v_add_co_u32 v67, vcc_lo, s20, v7
	v_add_co_ci_u32_e32 v68, vcc_lo, s21, v8, vcc_lo
	v_add_co_u32 v69, vcc_lo, s22, v7
	v_add_co_ci_u32_e32 v70, vcc_lo, s23, v8, vcc_lo
	v_add_co_u32 v71, vcc_lo, s20, v73
	v_add3_u32 v76, v76, v78, v77
	v_add_co_ci_u32_e32 v72, vcc_lo, s21, v74, vcc_lo
	v_add_co_u32 v77, vcc_lo, v5, 14
	s_delay_alu instid0(VALU_DEP_3) | instskip(SKIP_4) | instid1(VALU_DEP_4)
	v_lshlrev_b64 v[7:8], 1, v[75:76]
	v_add_co_ci_u32_e32 v75, vcc_lo, 0, v6, vcc_lo
	v_add_co_u32 v76, vcc_lo, v5, 13
	v_add_co_ci_u32_e32 v81, vcc_lo, 0, v6, vcc_lo
	v_mul_lo_u32 v78, s19, v77
	;; [unrolled: 33-line block ×4, first 2 shown]
	v_mul_lo_u32 v107, s18, v99
	v_mad_u64_u32 v[103:104], null, s18, v101, 0
	v_mul_lo_u32 v108, s19, v100
	v_mul_lo_u32 v109, s18, v105
	v_mad_u64_u32 v[105:106], null, s18, v100, 0
	v_add_co_u32 v99, vcc_lo, s20, v7
	v_add_co_ci_u32_e32 v100, vcc_lo, s21, v8, vcc_lo
	v_add_co_u32 v101, vcc_lo, s22, v7
	v_add3_u32 v104, v104, v107, v102
	v_add_co_ci_u32_e32 v102, vcc_lo, s23, v8, vcc_lo
	v_add_co_u32 v107, vcc_lo, v5, 6
	v_add3_u32 v106, v106, v109, v108
	v_add_co_ci_u32_e32 v108, vcc_lo, 0, v6, vcc_lo
	v_lshlrev_b64 v[7:8], 1, v[103:104]
	s_delay_alu instid0(VALU_DEP_4) | instskip(SKIP_1) | instid1(VALU_DEP_4)
	v_mul_lo_u32 v113, s19, v107
	v_mad_u64_u32 v[111:112], null, s18, v107, 0
	v_mul_lo_u32 v114, s18, v108
	v_lshlrev_b64 v[109:110], 1, v[105:106]
	v_add_co_u32 v103, vcc_lo, s20, v7
	v_add_co_ci_u32_e32 v104, vcc_lo, s21, v8, vcc_lo
	v_add_co_u32 v105, vcc_lo, s22, v7
	v_add_co_ci_u32_e32 v106, vcc_lo, s23, v8, vcc_lo
	v_add_co_u32 v107, vcc_lo, s20, v109
	v_add3_u32 v112, v112, v114, v113
	v_add_co_ci_u32_e32 v108, vcc_lo, s21, v110, vcc_lo
	v_add_co_u32 v113, vcc_lo, v5, 5
	s_delay_alu instid0(VALU_DEP_3) | instskip(SKIP_2) | instid1(VALU_DEP_4)
	v_lshlrev_b64 v[7:8], 1, v[111:112]
	v_add_co_ci_u32_e32 v111, vcc_lo, 0, v6, vcc_lo
	v_add_co_u32 v112, vcc_lo, v5, 4
	v_mul_lo_u32 v114, s19, v113
	s_delay_alu instid0(VALU_DEP_3) | instskip(SKIP_4) | instid1(VALU_DEP_3)
	v_mul_lo_u32 v119, s18, v111
	v_mad_u64_u32 v[115:116], null, s18, v113, 0
	v_add_co_ci_u32_e32 v117, vcc_lo, 0, v6, vcc_lo
	v_mul_lo_u32 v120, s19, v112
	v_add_co_u32 v111, vcc_lo, s20, v7
	v_mul_lo_u32 v121, s18, v117
	v_mad_u64_u32 v[117:118], null, s18, v112, 0
	v_add3_u32 v116, v116, v119, v114
	v_add_co_ci_u32_e32 v112, vcc_lo, s21, v8, vcc_lo
	v_add_co_u32 v113, vcc_lo, s22, v7
	v_add_co_ci_u32_e32 v114, vcc_lo, s23, v8, vcc_lo
	s_delay_alu instid0(VALU_DEP_4) | instskip(SKIP_3) | instid1(VALU_DEP_4)
	v_lshlrev_b64 v[7:8], 1, v[115:116]
	v_add_co_u32 v119, vcc_lo, v5, 3
	v_add3_u32 v118, v118, v121, v120
	v_add_co_ci_u32_e32 v120, vcc_lo, 0, v6, vcc_lo
	v_add_co_u32 v115, vcc_lo, s20, v7
	s_delay_alu instid0(VALU_DEP_3) | instskip(SKIP_1) | instid1(VALU_DEP_4)
	v_lshlrev_b64 v[121:122], 1, v[117:118]
	v_mul_lo_u32 v125, s19, v119
	v_mul_lo_u32 v126, s18, v120
	v_mad_u64_u32 v[123:124], null, s18, v119, 0
	v_add_co_ci_u32_e32 v116, vcc_lo, s21, v8, vcc_lo
	v_add_co_u32 v117, vcc_lo, s22, v7
	v_add_co_ci_u32_e32 v118, vcc_lo, s23, v8, vcc_lo
	v_add_co_u32 v119, vcc_lo, s20, v121
	v_add_co_ci_u32_e32 v120, vcc_lo, s21, v122, vcc_lo
	v_add3_u32 v124, v124, v126, v125
	v_add_co_u32 v125, vcc_lo, v5, 2
	v_add_co_ci_u32_e32 v126, vcc_lo, 0, v6, vcc_lo
	s_delay_alu instid0(VALU_DEP_3) | instskip(NEXT) | instid1(VALU_DEP_3)
	v_lshlrev_b64 v[7:8], 1, v[123:124]
	v_mul_lo_u32 v127, s19, v125
	v_mad_u64_u32 v[128:129], null, s18, v125, 0
	s_delay_alu instid0(VALU_DEP_4)
	v_mul_lo_u32 v126, s18, v126
	v_mul_lo_u32 v125, s19, v5
	v_mul_lo_u32 v6, s18, v6
	v_add_co_u32 v121, vcc_lo, s22, v121
	v_add_co_ci_u32_e32 v122, vcc_lo, s23, v122, vcc_lo
	v_add_co_u32 v123, vcc_lo, s20, v7
	v_add_co_ci_u32_e32 v124, vcc_lo, s21, v8, vcc_lo
	v_add3_u32 v129, v129, v126, v127
	v_add_co_u32 v126, vcc_lo, s22, v7
	v_add3_u32 v135, v135, v6, v125
	v_add_co_ci_u32_e32 v127, vcc_lo, s23, v8, vcc_lo
	v_add_co_u32 v7, vcc_lo, v134, s18
	v_add_co_u32 v26, s4, s22, v26
	v_lshlrev_b64 v[5:6], 1, v[128:129]
	v_add_co_ci_u32_e32 v8, vcc_lo, s19, v135, vcc_lo
	v_add_co_ci_u32_e64 v27, s4, s23, v27, s4
	v_add_co_u32 v38, s4, s22, v38
	s_delay_alu instid0(VALU_DEP_1)
	v_add_co_ci_u32_e64 v39, s4, s23, v39, s4
	v_add_co_u32 v49, s4, s22, v49
	v_add_co_u32 v128, vcc_lo, s20, v5
	v_lshlrev_b64 v[7:8], 1, v[7:8]
	v_add_co_ci_u32_e64 v50, s4, s23, v50, s4
	v_add_co_ci_u32_e32 v129, vcc_lo, s21, v6, vcc_lo
	v_add_co_u32 v61, s4, s22, v61
	v_add_co_u32 v130, vcc_lo, s22, v5
	v_add_co_ci_u32_e64 v62, s4, s23, v62, s4
	v_add_co_ci_u32_e32 v131, vcc_lo, s23, v6, vcc_lo
	v_add_co_u32 v73, s4, s22, v73
	v_add_co_u32 v132, vcc_lo, s20, v7
	v_lshlrev_b64 v[5:6], 1, v[134:135]
	v_add_co_ci_u32_e64 v74, s4, s23, v74, s4
	v_add_co_ci_u32_e32 v133, vcc_lo, s21, v8, vcc_lo
	v_add_co_u32 v85, s4, s22, v85
	v_add_co_u32 v134, vcc_lo, s22, v7
	v_add_co_ci_u32_e64 v86, s4, s23, v86, s4
	v_add_co_ci_u32_e32 v135, vcc_lo, s23, v8, vcc_lo
	v_add_co_u32 v97, s4, s22, v97
	v_add_co_u32 v136, vcc_lo, s20, v5
	v_add_co_ci_u32_e64 v98, s4, s23, v98, s4
	v_add_co_ci_u32_e32 v137, vcc_lo, s21, v6, vcc_lo
	v_add_co_u32 v109, s4, s22, v109
	v_add_co_u32 v138, vcc_lo, s22, v5
	v_add_co_ci_u32_e64 v110, s4, s23, v110, s4
	v_add_co_ci_u32_e32 v139, vcc_lo, s23, v6, vcc_lo
	v_mov_b32_e32 v125, 0
	s_mov_b64 s[24:25], 31
	s_lshl_b64 s[26:27], s[26:27], 1
	s_mov_b64 s[28:29], s[6:7]
.LBB74_3:                               ; =>This Inner Loop Header: Depth=1
	s_add_u32 s34, s6, s24
	s_addc_u32 s35, 0, s25
	v_add_co_u32 v5, vcc_lo, s6, v10
	v_cmp_ge_i64_e64 s4, s[34:35], s[16:17]
	v_add_co_ci_u32_e32 v6, vcc_lo, 0, v12, vcc_lo
	s_delay_alu instid0(VALU_DEP_2)
	s_and_b32 vcc_lo, exec_lo, s4
	s_cbranch_vccz .LBB74_71
; %bb.4:                                ;   in Loop: Header=BB74_3 Depth=1
	s_load_b32 s4, s[12:13], 0xc
	v_mov_b32_e32 v143, 0
	v_dual_mov_b32 v141, 0 :: v_dual_mov_b32 v142, 0
	s_waitcnt lgkmcnt(0)
	s_and_b32 s4, s4, 0xffff
	s_delay_alu instid0(SALU_CYCLE_1) | instskip(SKIP_1) | instid1(VALU_DEP_1)
	v_mad_u32_u24 v7, v9, s4, v11
	s_mov_b32 s4, exec_lo
	v_and_b32_e32 v7, 31, v7
	s_delay_alu instid0(VALU_DEP_1) | instskip(SKIP_1) | instid1(VALU_DEP_1)
	v_add_co_u32 v7, vcc_lo, v5, v7
	v_add_co_ci_u32_e32 v8, vcc_lo, 0, v6, vcc_lo
	v_cmpx_gt_i64_e64 s[16:17], v[7:8]
	s_cbranch_execz .LBB74_6
; %bb.5:                                ;   in Loop: Header=BB74_3 Depth=1
	v_lshlrev_b64 v[7:8], 2, v[7:8]
	s_delay_alu instid0(VALU_DEP_1) | instskip(NEXT) | instid1(VALU_DEP_2)
	v_add_co_u32 v141, vcc_lo, s8, v7
	v_add_co_ci_u32_e32 v142, vcc_lo, s9, v8, vcc_lo
	v_add_co_u32 v7, vcc_lo, s10, v7
	v_add_co_ci_u32_e32 v8, vcc_lo, s11, v8, vcc_lo
	global_load_b32 v141, v[141:142], off
	global_load_b32 v142, v[7:8], off
.LBB74_6:                               ;   in Loop: Header=BB74_3 Depth=1
	s_or_b32 exec_lo, exec_lo, s4
	v_cmp_gt_i64_e32 vcc_lo, s[16:17], v[5:6]
	v_mov_b32_e32 v7, 0
	s_and_b32 s33, s3, vcc_lo
	s_delay_alu instid0(SALU_CYCLE_1)
	s_and_saveexec_b32 s4, s33
	s_cbranch_execz .LBB74_8
; %bb.7:                                ;   in Loop: Header=BB74_3 Depth=1
	v_add_co_u32 v7, vcc_lo, v136, v3
	v_add_co_ci_u32_e32 v8, vcc_lo, v137, v4, vcc_lo
	v_add_co_u32 v143, vcc_lo, v138, v3
	v_add_co_ci_u32_e32 v144, vcc_lo, v139, v4, vcc_lo
	global_load_u16 v7, v[7:8], off
	global_load_u16 v8, v[143:144], off
	s_waitcnt vmcnt(1)
	v_cvt_f32_f16_e64 v143, v7
	s_waitcnt vmcnt(0)
	v_cvt_f32_f16_e32 v7, v8
.LBB74_8:                               ;   in Loop: Header=BB74_3 Depth=1
	s_or_b32 exec_lo, exec_lo, s4
	v_add_co_u32 v144, vcc_lo, v5, 1
	v_add_co_ci_u32_e32 v145, vcc_lo, 0, v6, vcc_lo
	v_mov_b32_e32 v8, 0
	s_delay_alu instid0(VALU_DEP_2) | instskip(SKIP_2) | instid1(SALU_CYCLE_1)
	v_cmp_gt_i64_e32 vcc_lo, s[16:17], v[144:145]
	v_dual_mov_b32 v145, 0 :: v_dual_mov_b32 v144, 0
	s_and_b32 s33, s3, vcc_lo
	s_and_saveexec_b32 s4, s33
	s_cbranch_execz .LBB74_10
; %bb.9:                                ;   in Loop: Header=BB74_3 Depth=1
	v_add_co_u32 v144, vcc_lo, v132, v3
	v_add_co_ci_u32_e32 v145, vcc_lo, v133, v4, vcc_lo
	v_add_co_u32 v146, vcc_lo, v134, v3
	v_add_co_ci_u32_e32 v147, vcc_lo, v135, v4, vcc_lo
	global_load_u16 v144, v[144:145], off
	global_load_u16 v146, v[146:147], off
	s_waitcnt vmcnt(1)
	v_cvt_f32_f16_e64 v145, v144
	s_waitcnt vmcnt(0)
	v_cvt_f32_f16_e64 v144, v146
.LBB74_10:                              ;   in Loop: Header=BB74_3 Depth=1
	s_or_b32 exec_lo, exec_lo, s4
	v_add_co_u32 v146, vcc_lo, v5, 2
	v_add_co_ci_u32_e32 v147, vcc_lo, 0, v6, vcc_lo
	s_delay_alu instid0(VALU_DEP_1) | instskip(SKIP_2) | instid1(SALU_CYCLE_1)
	v_cmp_gt_i64_e32 vcc_lo, s[16:17], v[146:147]
	v_mov_b32_e32 v146, 0
	s_and_b32 s33, s3, vcc_lo
	s_and_saveexec_b32 s4, s33
	s_cbranch_execz .LBB74_12
; %bb.11:                               ;   in Loop: Header=BB74_3 Depth=1
	v_add_co_u32 v146, vcc_lo, v128, v3
	v_add_co_ci_u32_e32 v147, vcc_lo, v129, v4, vcc_lo
	v_add_co_u32 v148, vcc_lo, v130, v3
	v_add_co_ci_u32_e32 v149, vcc_lo, v131, v4, vcc_lo
	global_load_u16 v8, v[146:147], off
	global_load_u16 v146, v[148:149], off
	s_waitcnt vmcnt(1)
	v_cvt_f32_f16_e32 v8, v8
	s_waitcnt vmcnt(0)
	v_cvt_f32_f16_e64 v146, v146
.LBB74_12:                              ;   in Loop: Header=BB74_3 Depth=1
	s_or_b32 exec_lo, exec_lo, s4
	v_add_co_u32 v147, vcc_lo, v5, 3
	v_add_co_ci_u32_e32 v148, vcc_lo, 0, v6, vcc_lo
	v_mov_b32_e32 v149, 0
	s_delay_alu instid0(VALU_DEP_2) | instskip(SKIP_2) | instid1(SALU_CYCLE_1)
	v_cmp_gt_i64_e32 vcc_lo, s[16:17], v[147:148]
	v_dual_mov_b32 v147, 0 :: v_dual_mov_b32 v148, 0
	s_and_b32 s33, s3, vcc_lo
	s_and_saveexec_b32 s4, s33
	s_cbranch_execz .LBB74_14
; %bb.13:                               ;   in Loop: Header=BB74_3 Depth=1
	v_add_co_u32 v148, vcc_lo, v123, v3
	v_add_co_ci_u32_e32 v149, vcc_lo, v124, v4, vcc_lo
	v_add_co_u32 v150, vcc_lo, v126, v3
	v_add_co_ci_u32_e32 v151, vcc_lo, v127, v4, vcc_lo
	global_load_u16 v148, v[148:149], off
	global_load_u16 v149, v[150:151], off
	s_waitcnt vmcnt(1)
	v_cvt_f32_f16_e64 v148, v148
	s_waitcnt vmcnt(0)
	v_cvt_f32_f16_e64 v149, v149
.LBB74_14:                              ;   in Loop: Header=BB74_3 Depth=1
	s_or_b32 exec_lo, exec_lo, s4
	v_add_co_u32 v150, vcc_lo, v5, 4
	v_add_co_ci_u32_e32 v151, vcc_lo, 0, v6, vcc_lo
	s_delay_alu instid0(VALU_DEP_1) | instskip(SKIP_2) | instid1(SALU_CYCLE_1)
	v_cmp_gt_i64_e32 vcc_lo, s[16:17], v[150:151]
	v_mov_b32_e32 v150, 0
	s_and_b32 s33, s3, vcc_lo
	s_and_saveexec_b32 s4, s33
	s_cbranch_execz .LBB74_16
; %bb.15:                               ;   in Loop: Header=BB74_3 Depth=1
	v_add_co_u32 v150, vcc_lo, v119, v3
	v_add_co_ci_u32_e32 v151, vcc_lo, v120, v4, vcc_lo
	v_add_co_u32 v152, vcc_lo, v121, v3
	v_add_co_ci_u32_e32 v153, vcc_lo, v122, v4, vcc_lo
	global_load_u16 v147, v[150:151], off
	global_load_u16 v150, v[152:153], off
	s_waitcnt vmcnt(1)
	v_cvt_f32_f16_e64 v147, v147
	s_waitcnt vmcnt(0)
	v_cvt_f32_f16_e64 v150, v150
.LBB74_16:                              ;   in Loop: Header=BB74_3 Depth=1
	s_or_b32 exec_lo, exec_lo, s4
	v_add_co_u32 v151, vcc_lo, v5, 5
	v_add_co_ci_u32_e32 v152, vcc_lo, 0, v6, vcc_lo
	v_mov_b32_e32 v153, 0
	s_delay_alu instid0(VALU_DEP_2) | instskip(SKIP_2) | instid1(SALU_CYCLE_1)
	v_cmp_gt_i64_e32 vcc_lo, s[16:17], v[151:152]
	v_dual_mov_b32 v151, 0 :: v_dual_mov_b32 v152, 0
	s_and_b32 s33, s3, vcc_lo
	s_and_saveexec_b32 s4, s33
	s_cbranch_execz .LBB74_18
; %bb.17:                               ;   in Loop: Header=BB74_3 Depth=1
	v_add_co_u32 v152, vcc_lo, v115, v3
	v_add_co_ci_u32_e32 v153, vcc_lo, v116, v4, vcc_lo
	v_add_co_u32 v154, vcc_lo, v117, v3
	v_add_co_ci_u32_e32 v155, vcc_lo, v118, v4, vcc_lo
	global_load_u16 v152, v[152:153], off
	global_load_u16 v153, v[154:155], off
	s_waitcnt vmcnt(1)
	v_cvt_f32_f16_e64 v152, v152
	s_waitcnt vmcnt(0)
	v_cvt_f32_f16_e64 v153, v153
.LBB74_18:                              ;   in Loop: Header=BB74_3 Depth=1
	s_or_b32 exec_lo, exec_lo, s4
	v_add_co_u32 v154, vcc_lo, v5, 6
	v_add_co_ci_u32_e32 v155, vcc_lo, 0, v6, vcc_lo
	s_delay_alu instid0(VALU_DEP_1) | instskip(SKIP_2) | instid1(SALU_CYCLE_1)
	v_cmp_gt_i64_e32 vcc_lo, s[16:17], v[154:155]
	v_mov_b32_e32 v154, 0
	s_and_b32 s33, s3, vcc_lo
	s_and_saveexec_b32 s4, s33
	s_cbranch_execz .LBB74_20
; %bb.19:                               ;   in Loop: Header=BB74_3 Depth=1
	v_add_co_u32 v154, vcc_lo, v111, v3
	v_add_co_ci_u32_e32 v155, vcc_lo, v112, v4, vcc_lo
	v_add_co_u32 v156, vcc_lo, v113, v3
	v_add_co_ci_u32_e32 v157, vcc_lo, v114, v4, vcc_lo
	global_load_u16 v151, v[154:155], off
	global_load_u16 v154, v[156:157], off
	s_waitcnt vmcnt(1)
	v_cvt_f32_f16_e64 v151, v151
	s_waitcnt vmcnt(0)
	v_cvt_f32_f16_e64 v154, v154
.LBB74_20:                              ;   in Loop: Header=BB74_3 Depth=1
	;; [unrolled: 43-line block ×5, first 2 shown]
	s_or_b32 exec_lo, exec_lo, s4
	v_add_co_u32 v168, vcc_lo, v5, 13
	v_add_co_ci_u32_e32 v169, vcc_lo, 0, v6, vcc_lo
	v_mov_b32_e32 v166, 0
	s_delay_alu instid0(VALU_DEP_2) | instskip(SKIP_2) | instid1(SALU_CYCLE_1)
	v_cmp_gt_i64_e32 vcc_lo, s[16:17], v[168:169]
	v_dual_mov_b32 v169, 0 :: v_dual_mov_b32 v168, 0
	s_and_b32 s33, s3, vcc_lo
	s_and_saveexec_b32 s4, s33
	s_cbranch_execz .LBB74_34
; %bb.33:                               ;   in Loop: Header=BB74_3 Depth=1
	v_add_co_u32 v168, vcc_lo, v83, v3
	v_add_co_ci_u32_e32 v169, vcc_lo, v84, v4, vcc_lo
	v_add_co_u32 v170, vcc_lo, v85, v3
	v_add_co_ci_u32_e32 v171, vcc_lo, v86, v4, vcc_lo
	global_load_u16 v168, v[168:169], off
	global_load_u16 v169, v[170:171], off
	s_waitcnt vmcnt(1)
	v_cvt_f32_f16_e64 v168, v168
	s_waitcnt vmcnt(0)
	v_cvt_f32_f16_e64 v169, v169
.LBB74_34:                              ;   in Loop: Header=BB74_3 Depth=1
	s_or_b32 exec_lo, exec_lo, s4
	v_add_co_u32 v170, vcc_lo, v5, 14
	v_add_co_ci_u32_e32 v171, vcc_lo, 0, v6, vcc_lo
	v_mov_b32_e32 v172, 0
	s_delay_alu instid0(VALU_DEP_2) | instskip(SKIP_1) | instid1(SALU_CYCLE_1)
	v_cmp_gt_i64_e32 vcc_lo, s[16:17], v[170:171]
	s_and_b32 s33, s3, vcc_lo
	s_and_saveexec_b32 s4, s33
	s_cbranch_execz .LBB74_36
; %bb.35:                               ;   in Loop: Header=BB74_3 Depth=1
	v_add_co_u32 v170, vcc_lo, v79, v3
	v_add_co_ci_u32_e32 v171, vcc_lo, v80, v4, vcc_lo
	v_add_co_u32 v172, vcc_lo, v81, v3
	v_add_co_ci_u32_e32 v173, vcc_lo, v82, v4, vcc_lo
	global_load_u16 v166, v[170:171], off
	global_load_u16 v170, v[172:173], off
	s_waitcnt vmcnt(1)
	v_cvt_f32_f16_e64 v166, v166
	s_waitcnt vmcnt(0)
	v_cvt_f32_f16_e64 v172, v170
.LBB74_36:                              ;   in Loop: Header=BB74_3 Depth=1
	s_or_b32 exec_lo, exec_lo, s4
	v_add_co_u32 v170, vcc_lo, v5, 15
	v_add_co_ci_u32_e32 v171, vcc_lo, 0, v6, vcc_lo
	v_mov_b32_e32 v175, 0
	v_mov_b32_e32 v173, 0
	s_delay_alu instid0(VALU_DEP_3) | instskip(SKIP_2) | instid1(SALU_CYCLE_1)
	v_cmp_gt_i64_e32 vcc_lo, s[16:17], v[170:171]
	v_mov_b32_e32 v170, 0
	s_and_b32 s33, s3, vcc_lo
	s_and_saveexec_b32 s4, s33
	s_cbranch_execz .LBB74_38
; %bb.37:                               ;   in Loop: Header=BB74_3 Depth=1
	v_add_co_u32 v173, vcc_lo, v75, v3
	v_add_co_ci_u32_e32 v174, vcc_lo, v76, v4, vcc_lo
	v_add_co_u32 v175, vcc_lo, v77, v3
	v_add_co_ci_u32_e32 v176, vcc_lo, v78, v4, vcc_lo
	global_load_u16 v171, v[173:174], off
	global_load_u16 v174, v[175:176], off
	s_waitcnt vmcnt(1)
	v_cvt_f32_f16_e64 v173, v171
	s_waitcnt vmcnt(0)
	v_cvt_f32_f16_e64 v175, v174
.LBB74_38:                              ;   in Loop: Header=BB74_3 Depth=1
	s_or_b32 exec_lo, exec_lo, s4
	v_add_co_u32 v176, vcc_lo, v5, 16
	v_add_co_ci_u32_e32 v177, vcc_lo, 0, v6, vcc_lo
	v_mov_b32_e32 v178, 0
	s_delay_alu instid0(VALU_DEP_2) | instskip(SKIP_1) | instid1(SALU_CYCLE_1)
	v_cmp_gt_i64_e32 vcc_lo, s[16:17], v[176:177]
	s_and_b32 s33, s3, vcc_lo
	s_and_saveexec_b32 s4, s33
	s_cbranch_execz .LBB74_40
; %bb.39:                               ;   in Loop: Header=BB74_3 Depth=1
	v_add_co_u32 v170, vcc_lo, v71, v3
	v_add_co_ci_u32_e32 v171, vcc_lo, v72, v4, vcc_lo
	v_add_co_u32 v176, vcc_lo, v73, v3
	v_add_co_ci_u32_e32 v177, vcc_lo, v74, v4, vcc_lo
	global_load_u16 v170, v[170:171], off
	global_load_u16 v171, v[176:177], off
	s_waitcnt vmcnt(1)
	v_cvt_f32_f16_e64 v170, v170
	s_waitcnt vmcnt(0)
	v_cvt_f32_f16_e64 v178, v171
.LBB74_40:                              ;   in Loop: Header=BB74_3 Depth=1
	s_or_b32 exec_lo, exec_lo, s4
	v_add_co_u32 v176, vcc_lo, v5, 17
	v_add_co_ci_u32_e32 v177, vcc_lo, 0, v6, vcc_lo
	v_mov_b32_e32 v179, 0
	s_delay_alu instid0(VALU_DEP_2) | instskip(SKIP_2) | instid1(SALU_CYCLE_1)
	v_cmp_gt_i64_e32 vcc_lo, s[16:17], v[176:177]
	v_dual_mov_b32 v176, 0 :: v_dual_mov_b32 v177, 0
	s_and_b32 s33, s3, vcc_lo
	s_and_saveexec_b32 s4, s33
	s_cbranch_execz .LBB74_42
; %bb.41:                               ;   in Loop: Header=BB74_3 Depth=1
	v_add_co_u32 v179, vcc_lo, v67, v3
	v_add_co_ci_u32_e32 v180, vcc_lo, v68, v4, vcc_lo
	v_add_co_u32 v181, vcc_lo, v69, v3
	v_add_co_ci_u32_e32 v182, vcc_lo, v70, v4, vcc_lo
	global_load_u16 v171, v[179:180], off
	global_load_u16 v174, v[181:182], off
	s_waitcnt vmcnt(1)
	v_cvt_f32_f16_e64 v177, v171
	s_waitcnt vmcnt(0)
	v_cvt_f32_f16_e64 v179, v174
.LBB74_42:                              ;   in Loop: Header=BB74_3 Depth=1
	s_or_b32 exec_lo, exec_lo, s4
	v_add_co_u32 v180, vcc_lo, v5, 18
	v_add_co_ci_u32_e32 v181, vcc_lo, 0, v6, vcc_lo
	v_mov_b32_e32 v182, 0
	s_delay_alu instid0(VALU_DEP_2) | instskip(SKIP_1) | instid1(SALU_CYCLE_1)
	v_cmp_gt_i64_e32 vcc_lo, s[16:17], v[180:181]
	s_and_b32 s33, s3, vcc_lo
	s_and_saveexec_b32 s4, s33
	s_cbranch_execz .LBB74_44
; %bb.43:                               ;   in Loop: Header=BB74_3 Depth=1
	v_add_co_u32 v180, vcc_lo, v63, v3
	v_add_co_ci_u32_e32 v181, vcc_lo, v64, v4, vcc_lo
	v_add_co_u32 v182, vcc_lo, v65, v3
	v_add_co_ci_u32_e32 v183, vcc_lo, v66, v4, vcc_lo
	global_load_u16 v171, v[180:181], off
	global_load_u16 v174, v[182:183], off
	s_waitcnt vmcnt(1)
	v_cvt_f32_f16_e64 v176, v171
	s_waitcnt vmcnt(0)
	v_cvt_f32_f16_e64 v182, v174
.LBB74_44:                              ;   in Loop: Header=BB74_3 Depth=1
	s_or_b32 exec_lo, exec_lo, s4
	v_add_co_u32 v180, vcc_lo, v5, 19
	v_add_co_ci_u32_e32 v181, vcc_lo, 0, v6, vcc_lo
	v_mov_b32_e32 v183, 0
	s_delay_alu instid0(VALU_DEP_2) | instskip(SKIP_2) | instid1(SALU_CYCLE_1)
	v_cmp_gt_i64_e32 vcc_lo, s[16:17], v[180:181]
	v_dual_mov_b32 v180, 0 :: v_dual_mov_b32 v181, 0
	;; [unrolled: 43-line block ×5, first 2 shown]
	s_and_b32 s33, s3, vcc_lo
	s_and_saveexec_b32 s4, s33
	s_cbranch_execz .LBB74_58
; %bb.57:                               ;   in Loop: Header=BB74_3 Depth=1
	v_add_co_u32 v195, vcc_lo, v36, v3
	v_add_co_ci_u32_e32 v196, vcc_lo, v37, v4, vcc_lo
	v_add_co_u32 v197, vcc_lo, v38, v3
	v_add_co_ci_u32_e32 v198, vcc_lo, v39, v4, vcc_lo
	global_load_u16 v171, v[195:196], off
	global_load_u16 v174, v[197:198], off
	s_waitcnt vmcnt(1)
	v_cvt_f32_f16_e64 v193, v171
	s_waitcnt vmcnt(0)
	v_cvt_f32_f16_e64 v195, v174
.LBB74_58:                              ;   in Loop: Header=BB74_3 Depth=1
	s_or_b32 exec_lo, exec_lo, s4
	v_add_co_u32 v196, vcc_lo, v5, 26
	v_add_co_ci_u32_e32 v197, vcc_lo, 0, v6, vcc_lo
	s_delay_alu instid0(VALU_DEP_1) | instskip(SKIP_2) | instid1(SALU_CYCLE_1)
	v_cmp_gt_i64_e32 vcc_lo, s[16:17], v[196:197]
	v_mov_b32_e32 v197, 0
	s_and_b32 s33, s3, vcc_lo
	s_and_saveexec_b32 s4, s33
	s_cbranch_execz .LBB74_60
; %bb.59:                               ;   in Loop: Header=BB74_3 Depth=1
	v_add_co_u32 v196, vcc_lo, v32, v3
	v_add_co_ci_u32_e32 v197, vcc_lo, v33, v4, vcc_lo
	v_add_co_u32 v198, vcc_lo, v34, v3
	v_add_co_ci_u32_e32 v199, vcc_lo, v35, v4, vcc_lo
	global_load_u16 v171, v[196:197], off
	global_load_u16 v174, v[198:199], off
	s_waitcnt vmcnt(1)
	v_cvt_f32_f16_e64 v192, v171
	s_waitcnt vmcnt(0)
	v_cvt_f32_f16_e64 v197, v174
.LBB74_60:                              ;   in Loop: Header=BB74_3 Depth=1
	s_or_b32 exec_lo, exec_lo, s4
	v_add_co_u32 v198, vcc_lo, v5, 27
	v_add_co_ci_u32_e32 v199, vcc_lo, 0, v6, vcc_lo
	v_mov_b32_e32 v196, 0
	s_delay_alu instid0(VALU_DEP_2) | instskip(SKIP_2) | instid1(SALU_CYCLE_1)
	v_cmp_gt_i64_e32 vcc_lo, s[16:17], v[198:199]
	v_dual_mov_b32 v199, 0 :: v_dual_mov_b32 v198, 0
	s_and_b32 s33, s3, vcc_lo
	s_and_saveexec_b32 s4, s33
	s_cbranch_execz .LBB74_62
; %bb.61:                               ;   in Loop: Header=BB74_3 Depth=1
	v_add_co_u32 v198, vcc_lo, v28, v3
	v_add_co_ci_u32_e32 v199, vcc_lo, v29, v4, vcc_lo
	v_add_co_u32 v200, vcc_lo, v30, v3
	v_add_co_ci_u32_e32 v201, vcc_lo, v31, v4, vcc_lo
	global_load_u16 v171, v[198:199], off
	global_load_u16 v174, v[200:201], off
	s_waitcnt vmcnt(1)
	v_cvt_f32_f16_e64 v198, v171
	s_waitcnt vmcnt(0)
	v_cvt_f32_f16_e64 v199, v174
.LBB74_62:                              ;   in Loop: Header=BB74_3 Depth=1
	s_or_b32 exec_lo, exec_lo, s4
	v_add_co_u32 v200, vcc_lo, v5, 28
	v_add_co_ci_u32_e32 v201, vcc_lo, 0, v6, vcc_lo
	s_delay_alu instid0(VALU_DEP_1) | instskip(SKIP_2) | instid1(SALU_CYCLE_1)
	v_cmp_gt_i64_e32 vcc_lo, s[16:17], v[200:201]
	v_mov_b32_e32 v200, 0
	s_and_b32 s33, s3, vcc_lo
	s_and_saveexec_b32 s4, s33
	s_cbranch_execz .LBB74_64
; %bb.63:                               ;   in Loop: Header=BB74_3 Depth=1
	v_add_co_u32 v200, vcc_lo, v24, v3
	v_add_co_ci_u32_e32 v201, vcc_lo, v25, v4, vcc_lo
	v_add_co_u32 v202, vcc_lo, v26, v3
	v_add_co_ci_u32_e32 v203, vcc_lo, v27, v4, vcc_lo
	global_load_u16 v171, v[200:201], off
	global_load_u16 v174, v[202:203], off
	s_waitcnt vmcnt(1)
	v_cvt_f32_f16_e64 v196, v171
	s_waitcnt vmcnt(0)
	v_cvt_f32_f16_e64 v200, v174
.LBB74_64:                              ;   in Loop: Header=BB74_3 Depth=1
	s_or_b32 exec_lo, exec_lo, s4
	v_add_co_u32 v201, vcc_lo, v5, 29
	v_add_co_ci_u32_e32 v202, vcc_lo, 0, v6, vcc_lo
	v_mov_b32_e32 v203, 0
	s_delay_alu instid0(VALU_DEP_2) | instskip(SKIP_2) | instid1(SALU_CYCLE_1)
	v_cmp_gt_i64_e32 vcc_lo, s[16:17], v[201:202]
	v_dual_mov_b32 v201, 0 :: v_dual_mov_b32 v202, 0
	s_and_b32 s33, s3, vcc_lo
	s_and_saveexec_b32 s4, s33
	s_cbranch_execz .LBB74_66
; %bb.65:                               ;   in Loop: Header=BB74_3 Depth=1
	v_add_co_u32 v202, vcc_lo, v20, v3
	v_add_co_ci_u32_e32 v203, vcc_lo, v21, v4, vcc_lo
	v_add_co_u32 v204, vcc_lo, v22, v3
	v_add_co_ci_u32_e32 v205, vcc_lo, v23, v4, vcc_lo
	global_load_u16 v171, v[202:203], off
	global_load_u16 v174, v[204:205], off
	s_waitcnt vmcnt(1)
	v_cvt_f32_f16_e64 v202, v171
	s_waitcnt vmcnt(0)
	v_cvt_f32_f16_e64 v203, v174
.LBB74_66:                              ;   in Loop: Header=BB74_3 Depth=1
	s_or_b32 exec_lo, exec_lo, s4
	v_add_co_u32 v204, vcc_lo, v5, 30
	v_add_co_ci_u32_e32 v205, vcc_lo, 0, v6, vcc_lo
	s_delay_alu instid0(VALU_DEP_1) | instskip(SKIP_2) | instid1(SALU_CYCLE_1)
	v_cmp_gt_i64_e32 vcc_lo, s[16:17], v[204:205]
	v_mov_b32_e32 v204, 0
	s_and_b32 s33, s3, vcc_lo
	s_and_saveexec_b32 s4, s33
	s_cbranch_execz .LBB74_68
; %bb.67:                               ;   in Loop: Header=BB74_3 Depth=1
	v_add_co_u32 v204, vcc_lo, v16, v3
	v_add_co_ci_u32_e32 v205, vcc_lo, v17, v4, vcc_lo
	v_add_co_u32 v206, vcc_lo, v18, v3
	v_add_co_ci_u32_e32 v207, vcc_lo, v19, v4, vcc_lo
	global_load_u16 v171, v[204:205], off
	global_load_u16 v174, v[206:207], off
	s_waitcnt vmcnt(1)
	v_cvt_f32_f16_e64 v201, v171
	s_waitcnt vmcnt(0)
	v_cvt_f32_f16_e64 v204, v174
.LBB74_68:                              ;   in Loop: Header=BB74_3 Depth=1
	s_or_b32 exec_lo, exec_lo, s4
	v_add_co_u32 v205, vcc_lo, v5, 31
	v_add_co_ci_u32_e32 v206, vcc_lo, 0, v6, vcc_lo
	v_dual_mov_b32 v171, 0 :: v_dual_mov_b32 v174, 0
	s_mov_b32 s4, 0
	s_delay_alu instid0(VALU_DEP_2) | instskip(SKIP_1) | instid1(SALU_CYCLE_1)
	v_cmp_gt_i64_e32 vcc_lo, s[16:17], v[205:206]
	s_and_b32 s34, s3, vcc_lo
	s_and_saveexec_b32 s33, s34
	s_cbranch_execz .LBB74_70
; %bb.69:                               ;   in Loop: Header=BB74_3 Depth=1
	v_add_co_u32 v205, vcc_lo, v1, v3
	v_add_co_ci_u32_e32 v206, vcc_lo, v13, v4, vcc_lo
	v_add_co_u32 v207, vcc_lo, v14, v3
	v_add_co_ci_u32_e32 v208, vcc_lo, v15, v4, vcc_lo
	global_load_u16 v171, v[205:206], off
	global_load_u16 v174, v[207:208], off
	s_waitcnt vmcnt(1)
	v_cvt_f32_f16_e64 v171, v171
	s_waitcnt vmcnt(0)
	v_cvt_f32_f16_e64 v174, v174
.LBB74_70:                              ;   in Loop: Header=BB74_3 Depth=1
	s_or_b32 exec_lo, exec_lo, s33
	s_waitcnt vmcnt(1)
	ds_bpermute_b32 v205, v2, v141
	ds_bpermute_b32 v209, v2, v141 offset:4
	ds_bpermute_b32 v211, v2, v141 offset:8
	s_waitcnt vmcnt(0)
	ds_bpermute_b32 v206, v2, v142
	ds_bpermute_b32 v208, v2, v142 offset:4
	ds_bpermute_b32 v213, v2, v141 offset:12
	;; [unrolled: 1-line block ×4, first 2 shown]
	v_add_f32_e32 v207, v125, v143
	ds_bpermute_b32 v212, v2, v142 offset:12
	ds_bpermute_b32 v217, v2, v141 offset:20
	;; [unrolled: 1-line block ×11, first 2 shown]
	s_waitcnt lgkmcnt(18)
	v_sub_f32_e32 v7, v7, v205
	s_waitcnt lgkmcnt(17)
	v_sub_f32_e32 v144, v144, v209
	;; [unrolled: 2-line block ×3, first 2 shown]
	ds_bpermute_b32 v205, v2, v141 offset:36
	ds_bpermute_b32 v224, v2, v142 offset:36
	v_mul_f32_e32 v7, v143, v7
	ds_bpermute_b32 v209, v2, v141 offset:44
	v_dual_mul_f32 v146, v8, v146 :: v_dual_mul_f32 v211, v145, v144
	v_add_f32_e32 v145, v207, v145
	s_waitcnt lgkmcnt(18)
	v_fma_f32 v144, v7, v206, v140
	s_waitcnt lgkmcnt(16)
	v_sub_f32_e32 v149, v149, v213
	ds_bpermute_b32 v206, v2, v141 offset:48
	ds_bpermute_b32 v225, v2, v142 offset:40
	s_waitcnt lgkmcnt(17)
	v_dual_add_f32 v8, v145, v8 :: v_dual_sub_f32 v145, v150, v215
	v_fmac_f32_e32 v144, v211, v208
	s_waitcnt lgkmcnt(13)
	v_sub_f32_e32 v150, v157, v221
	ds_bpermute_b32 v143, v2, v142 offset:44
	v_add_f32_e32 v8, v8, v148
	ds_bpermute_b32 v7, v2, v142 offset:48
	v_dual_fmac_f32 v144, v146, v210 :: v_dual_mul_f32 v145, v147, v145
	v_mul_f32_e32 v149, v148, v149
	v_add_f32_e32 v8, v8, v147
	s_waitcnt lgkmcnt(12)
	v_dual_sub_f32 v148, v153, v217 :: v_dual_sub_f32 v147, v154, v219
	s_delay_alu instid0(VALU_DEP_3) | instskip(SKIP_4) | instid1(VALU_DEP_3)
	v_dual_sub_f32 v153, v163, v226 :: v_dual_fmac_f32 v144, v149, v212
	ds_bpermute_b32 v149, v2, v141 offset:52
	v_add_f32_e32 v8, v8, v152
	v_dual_mul_f32 v148, v152, v148 :: v_dual_mul_f32 v147, v151, v147
	v_dual_fmac_f32 v144, v145, v214 :: v_dual_mul_f32 v153, v159, v153
	v_add_f32_e32 v8, v8, v151
	s_waitcnt lgkmcnt(7)
	v_dual_sub_f32 v152, v158, v223 :: v_dual_sub_f32 v151, v161, v205
	s_delay_alu instid0(VALU_DEP_3)
	v_fmac_f32_e32 v144, v148, v216
	ds_bpermute_b32 v148, v2, v141 offset:56
	v_add_f32_e32 v8, v8, v156
	ds_bpermute_b32 v146, v2, v142 offset:52
	s_waitcnt lgkmcnt(7)
	v_sub_f32_e32 v154, v165, v209
	ds_bpermute_b32 v145, v2, v142 offset:56
	v_mul_f32_e32 v151, v160, v151
	v_add_f32_e32 v8, v8, v155
	s_waitcnt lgkmcnt(3)
	v_dual_mul_f32 v154, v164, v154 :: v_dual_sub_f32 v149, v169, v149
	v_mul_f32_e32 v152, v155, v152
	v_sub_f32_e32 v155, v167, v206
	v_mul_f32_e32 v150, v156, v150
	s_delay_alu instid0(VALU_DEP_4)
	v_dual_fmac_f32 v144, v147, v218 :: v_dual_mul_f32 v149, v168, v149
	ds_bpermute_b32 v147, v2, v142 offset:60
	v_mul_f32_e32 v155, v162, v155
	v_fmac_f32_e32 v144, v150, v220
	ds_bpermute_b32 v150, v2, v141 offset:60
	s_waitcnt lgkmcnt(4)
	v_sub_f32_e32 v148, v172, v148
	v_fmac_f32_e32 v144, v152, v222
	ds_bpermute_b32 v152, v2, v142 offset:64
	v_mul_f32_e32 v148, v166, v148
	v_fmac_f32_e32 v144, v151, v224
	ds_bpermute_b32 v151, v2, v141 offset:64
	v_fmac_f32_e32 v144, v153, v225
	ds_bpermute_b32 v153, v2, v141 offset:68
	;; [unrolled: 2-line block ×3, first 2 shown]
	s_waitcnt lgkmcnt(4)
	v_sub_f32_e32 v150, v175, v150
	v_fmac_f32_e32 v144, v155, v7
	ds_bpermute_b32 v7, v2, v142 offset:68
	v_mul_f32_e32 v150, v173, v150
	v_fmac_f32_e32 v144, v149, v146
	ds_bpermute_b32 v149, v2, v141 offset:76
	ds_bpermute_b32 v146, v2, v142 offset:72
	s_waitcnt lgkmcnt(5)
	v_dual_fmac_f32 v144, v148, v145 :: v_dual_sub_f32 v145, v178, v151
	ds_bpermute_b32 v148, v2, v141 offset:80
	s_waitcnt lgkmcnt(5)
	v_dual_sub_f32 v151, v179, v153 :: v_dual_fmac_f32 v144, v150, v147
	v_mul_f32_e32 v145, v170, v145
	ds_bpermute_b32 v147, v2, v142 offset:76
	v_mul_f32_e32 v150, v177, v151
	s_waitcnt lgkmcnt(5)
	v_sub_f32_e32 v143, v182, v143
	ds_bpermute_b32 v151, v2, v141 offset:84
	v_fmac_f32_e32 v144, v145, v152
	v_add_f32_e32 v8, v8, v160
	ds_bpermute_b32 v145, v2, v142 offset:80
	v_mul_f32_e32 v143, v176, v143
	s_waitcnt lgkmcnt(5)
	v_dual_fmac_f32 v144, v150, v7 :: v_dual_sub_f32 v7, v183, v149
	ds_bpermute_b32 v149, v2, v141 offset:88
	ds_bpermute_b32 v150, v2, v142 offset:84
	s_waitcnt lgkmcnt(6)
	v_dual_fmac_f32 v144, v143, v146 :: v_dual_mul_f32 v7, v181, v7
	ds_bpermute_b32 v143, v2, v141 offset:92
	s_waitcnt lgkmcnt(6)
	v_sub_f32_e32 v146, v186, v148
	ds_bpermute_b32 v148, v2, v141 offset:96
	v_add_f32_e32 v8, v8, v159
	s_waitcnt lgkmcnt(6)
	v_fmac_f32_e32 v144, v7, v147
	ds_bpermute_b32 v7, v2, v142 offset:88
	s_waitcnt lgkmcnt(6)
	v_dual_mul_f32 v146, v180, v146 :: v_dual_sub_f32 v147, v187, v151
	ds_bpermute_b32 v151, v2, v142 offset:116
	s_waitcnt lgkmcnt(6)
	v_fmac_f32_e32 v144, v146, v145
	ds_bpermute_b32 v145, v2, v142 offset:92
	s_waitcnt lgkmcnt(6)
	v_dual_mul_f32 v146, v185, v147 :: v_dual_sub_f32 v147, v190, v149
	ds_bpermute_b32 v149, v2, v141 offset:100
	s_waitcnt lgkmcnt(6)
	v_fmac_f32_e32 v144, v146, v150
	ds_bpermute_b32 v146, v2, v142 offset:96
	v_mul_f32_e32 v147, v184, v147
	ds_bpermute_b32 v150, v2, v141 offset:104
	s_waitcnt lgkmcnt(7)
	v_sub_f32_e32 v143, v191, v143
	s_waitcnt lgkmcnt(5)
	v_dual_fmac_f32 v144, v147, v7 :: v_dual_sub_f32 v147, v194, v148
	v_add_f32_e32 v8, v8, v164
	ds_bpermute_b32 v7, v2, v142 offset:100
	v_mul_f32_e32 v143, v189, v143
	ds_bpermute_b32 v148, v2, v141 offset:108
	s_waitcnt lgkmcnt(5)
	v_dual_fmac_f32 v144, v143, v145 :: v_dual_mul_f32 v143, v188, v147
	ds_bpermute_b32 v145, v2, v142 offset:104
	s_waitcnt lgkmcnt(5)
	v_sub_f32_e32 v147, v195, v149
	ds_bpermute_b32 v149, v2, v141 offset:112
	s_waitcnt lgkmcnt(5)
	v_fmac_f32_e32 v144, v143, v146
	ds_bpermute_b32 v143, v2, v142 offset:108
	v_mul_f32_e32 v146, v193, v147
	s_waitcnt lgkmcnt(5)
	v_sub_f32_e32 v147, v197, v150
	ds_bpermute_b32 v150, v2, v141 offset:116
	s_waitcnt lgkmcnt(5)
	v_fmac_f32_e32 v144, v146, v7
	s_waitcnt lgkmcnt(4)
	v_dual_mul_f32 v7, v192, v147 :: v_dual_sub_f32 v148, v199, v148
	v_add_f32_e32 v8, v8, v162
	ds_bpermute_b32 v147, v2, v141 offset:120
	ds_bpermute_b32 v146, v2, v142 offset:112
	s_waitcnt lgkmcnt(5)
	v_dual_fmac_f32 v144, v7, v145 :: v_dual_mul_f32 v7, v198, v148
	v_add_f32_e32 v8, v8, v168
	s_waitcnt lgkmcnt(4)
	v_sub_f32_e32 v145, v200, v149
	ds_bpermute_b32 v148, v2, v142 offset:120
	s_waitcnt lgkmcnt(4)
	v_fmac_f32_e32 v144, v7, v143
	ds_bpermute_b32 v7, v2, v141 offset:124
	s_waitcnt lgkmcnt(4)
	v_sub_f32_e32 v149, v203, v150
	v_add_f32_e32 v8, v8, v166
	v_mul_f32_e32 v145, v196, v145
	s_delay_alu instid0(VALU_DEP_3) | instskip(NEXT) | instid1(VALU_DEP_3)
	v_mul_f32_e32 v141, v202, v149
	v_add_f32_e32 v8, v8, v173
	s_waitcnt lgkmcnt(2)
	s_delay_alu instid0(VALU_DEP_3) | instskip(NEXT) | instid1(VALU_DEP_2)
	v_fmac_f32_e32 v144, v145, v146
	v_add_f32_e32 v8, v8, v170
	s_delay_alu instid0(VALU_DEP_2) | instskip(NEXT) | instid1(VALU_DEP_2)
	v_fmac_f32_e32 v144, v141, v151
	v_add_f32_e32 v8, v8, v177
	s_delay_alu instid0(VALU_DEP_1) | instskip(NEXT) | instid1(VALU_DEP_1)
	v_add_f32_e32 v8, v8, v176
	v_add_f32_e32 v8, v8, v181
	s_delay_alu instid0(VALU_DEP_1) | instskip(NEXT) | instid1(VALU_DEP_1)
	v_add_f32_e32 v8, v8, v180
	v_add_f32_e32 v8, v8, v185
	s_delay_alu instid0(VALU_DEP_1) | instskip(NEXT) | instid1(VALU_DEP_1)
	v_add_f32_e32 v8, v8, v184
	v_add_f32_e32 v8, v8, v189
	s_delay_alu instid0(VALU_DEP_1) | instskip(NEXT) | instid1(VALU_DEP_1)
	v_add_f32_e32 v8, v8, v188
	v_add_f32_e32 v8, v8, v193
	s_delay_alu instid0(VALU_DEP_1) | instskip(NEXT) | instid1(VALU_DEP_1)
	v_add_f32_e32 v8, v8, v192
	v_add_f32_e32 v143, v8, v198
	ds_bpermute_b32 v8, v2, v142 offset:124
	v_dual_sub_f32 v142, v204, v147 :: v_dual_add_f32 v143, v143, v196
	s_delay_alu instid0(VALU_DEP_1) | instskip(NEXT) | instid1(VALU_DEP_2)
	v_mul_f32_e32 v141, v201, v142
	v_add_f32_e32 v142, v143, v202
	s_waitcnt lgkmcnt(2)
	s_delay_alu instid0(VALU_DEP_1)
	v_dual_fmac_f32 v144, v141, v148 :: v_dual_add_f32 v141, v142, v201
	s_and_b32 vcc_lo, exec_lo, s4
	s_cbranch_vccnz .LBB74_72
	s_branch .LBB74_139
.LBB74_71:                              ;   in Loop: Header=BB74_3 Depth=1
                                        ; implicit-def: $vgpr8
                                        ; implicit-def: $vgpr171
                                        ; implicit-def: $vgpr174
                                        ; implicit-def: $vgpr7
                                        ; implicit-def: $vgpr144
                                        ; implicit-def: $vgpr141
	s_cbranch_execz .LBB74_139
.LBB74_72:                              ;   in Loop: Header=BB74_3 Depth=1
	s_load_b32 s4, s[12:13], 0x0
	s_waitcnt lgkmcnt(0)
	v_dual_mov_b32 v141, 0 :: v_dual_mov_b32 v8, 0
	s_cmp_lt_u32 s14, s4
	s_cselect_b32 s4, 12, 18
	s_delay_alu instid0(SALU_CYCLE_1)
	s_add_u32 s34, s12, s4
	s_addc_u32 s35, s13, 0
	s_mov_b32 s4, exec_lo
	global_load_u16 v7, v2, s[34:35]
	s_waitcnt vmcnt(0)
	v_mad_u32_u24 v7, v9, v7, v11
	s_delay_alu instid0(VALU_DEP_1) | instskip(NEXT) | instid1(VALU_DEP_1)
	v_and_b32_e32 v7, 31, v7
	v_add_co_u32 v5, vcc_lo, v5, v7
	v_add_co_ci_u32_e32 v6, vcc_lo, 0, v6, vcc_lo
	v_mov_b32_e32 v7, 0
	s_delay_alu instid0(VALU_DEP_2)
	v_cmpx_gt_i64_e64 s[16:17], v[5:6]
	s_cbranch_execz .LBB74_74
; %bb.73:                               ;   in Loop: Header=BB74_3 Depth=1
	v_lshlrev_b64 v[5:6], 2, v[5:6]
	s_delay_alu instid0(VALU_DEP_1) | instskip(NEXT) | instid1(VALU_DEP_2)
	v_add_co_u32 v7, vcc_lo, s8, v5
	v_add_co_ci_u32_e32 v8, vcc_lo, s9, v6, vcc_lo
	v_add_co_u32 v5, vcc_lo, s10, v5
	v_add_co_ci_u32_e32 v6, vcc_lo, s11, v6, vcc_lo
	global_load_b32 v7, v[7:8], off
	global_load_b32 v8, v[5:6], off
.LBB74_74:                              ;   in Loop: Header=BB74_3 Depth=1
	s_or_b32 exec_lo, exec_lo, s4
	v_mov_b32_e32 v6, 0
	s_and_saveexec_b32 s4, s3
	s_cbranch_execz .LBB74_76
; %bb.75:                               ;   in Loop: Header=BB74_3 Depth=1
	v_add_co_u32 v5, vcc_lo, v136, v3
	v_add_co_ci_u32_e32 v6, vcc_lo, v137, v4, vcc_lo
	v_add_co_u32 v141, vcc_lo, v138, v3
	v_add_co_ci_u32_e32 v142, vcc_lo, v139, v4, vcc_lo
	global_load_u16 v5, v[5:6], off
	global_load_u16 v6, v[141:142], off
	s_waitcnt vmcnt(1)
	v_cvt_f32_f16_e64 v141, v5
	s_waitcnt vmcnt(0)
	v_cvt_f32_f16_e32 v6, v6
.LBB74_76:                              ;   in Loop: Header=BB74_3 Depth=1
	s_or_b32 exec_lo, exec_lo, s4
	v_dual_mov_b32 v5, 0 :: v_dual_mov_b32 v142, 0
	v_mov_b32_e32 v143, 0
	s_and_saveexec_b32 s4, s3
	s_cbranch_execz .LBB74_78
; %bb.77:                               ;   in Loop: Header=BB74_3 Depth=1
	v_add_co_u32 v142, vcc_lo, v132, v3
	v_add_co_ci_u32_e32 v143, vcc_lo, v133, v4, vcc_lo
	v_add_co_u32 v144, vcc_lo, v134, v3
	v_add_co_ci_u32_e32 v145, vcc_lo, v135, v4, vcc_lo
	global_load_u16 v142, v[142:143], off
	global_load_u16 v143, v[144:145], off
	s_waitcnt vmcnt(1)
	v_cvt_f32_f16_e64 v142, v142
	s_waitcnt vmcnt(0)
	v_cvt_f32_f16_e64 v143, v143
.LBB74_78:                              ;   in Loop: Header=BB74_3 Depth=1
	s_or_b32 exec_lo, exec_lo, s4
	v_mov_b32_e32 v145, 0
	s_and_saveexec_b32 s4, s3
	s_cbranch_execz .LBB74_80
; %bb.79:                               ;   in Loop: Header=BB74_3 Depth=1
	v_add_co_u32 v144, vcc_lo, v128, v3
	v_add_co_ci_u32_e32 v145, vcc_lo, v129, v4, vcc_lo
	v_add_co_u32 v146, vcc_lo, v130, v3
	v_add_co_ci_u32_e32 v147, vcc_lo, v131, v4, vcc_lo
	global_load_u16 v5, v[144:145], off
	global_load_u16 v144, v[146:147], off
	s_waitcnt vmcnt(1)
	v_cvt_f32_f16_e32 v5, v5
	s_waitcnt vmcnt(0)
	v_cvt_f32_f16_e64 v145, v144
.LBB74_80:                              ;   in Loop: Header=BB74_3 Depth=1
	s_or_b32 exec_lo, exec_lo, s4
	v_dual_mov_b32 v144, 0 :: v_dual_mov_b32 v147, 0
	v_mov_b32_e32 v146, 0
	s_and_saveexec_b32 s4, s3
	s_cbranch_execz .LBB74_82
; %bb.81:                               ;   in Loop: Header=BB74_3 Depth=1
	v_add_co_u32 v146, vcc_lo, v123, v3
	v_add_co_ci_u32_e32 v147, vcc_lo, v124, v4, vcc_lo
	v_add_co_u32 v148, vcc_lo, v126, v3
	v_add_co_ci_u32_e32 v149, vcc_lo, v127, v4, vcc_lo
	global_load_u16 v146, v[146:147], off
	global_load_u16 v147, v[148:149], off
	s_waitcnt vmcnt(1)
	v_cvt_f32_f16_e64 v146, v146
	s_waitcnt vmcnt(0)
	v_cvt_f32_f16_e64 v147, v147
.LBB74_82:                              ;   in Loop: Header=BB74_3 Depth=1
	s_or_b32 exec_lo, exec_lo, s4
	v_mov_b32_e32 v149, 0
	s_and_saveexec_b32 s4, s3
	s_cbranch_execz .LBB74_84
; %bb.83:                               ;   in Loop: Header=BB74_3 Depth=1
	v_add_co_u32 v148, vcc_lo, v119, v3
	v_add_co_ci_u32_e32 v149, vcc_lo, v120, v4, vcc_lo
	v_add_co_u32 v150, vcc_lo, v121, v3
	v_add_co_ci_u32_e32 v151, vcc_lo, v122, v4, vcc_lo
	global_load_u16 v144, v[148:149], off
	global_load_u16 v148, v[150:151], off
	s_waitcnt vmcnt(1)
	v_cvt_f32_f16_e64 v144, v144
	s_waitcnt vmcnt(0)
	v_cvt_f32_f16_e64 v149, v148
.LBB74_84:                              ;   in Loop: Header=BB74_3 Depth=1
	s_or_b32 exec_lo, exec_lo, s4
	v_dual_mov_b32 v148, 0 :: v_dual_mov_b32 v151, 0
	v_mov_b32_e32 v150, 0
	s_and_saveexec_b32 s4, s3
	s_cbranch_execz .LBB74_86
; %bb.85:                               ;   in Loop: Header=BB74_3 Depth=1
	v_add_co_u32 v150, vcc_lo, v115, v3
	v_add_co_ci_u32_e32 v151, vcc_lo, v116, v4, vcc_lo
	v_add_co_u32 v152, vcc_lo, v117, v3
	v_add_co_ci_u32_e32 v153, vcc_lo, v118, v4, vcc_lo
	global_load_u16 v150, v[150:151], off
	global_load_u16 v151, v[152:153], off
	s_waitcnt vmcnt(1)
	v_cvt_f32_f16_e64 v150, v150
	s_waitcnt vmcnt(0)
	v_cvt_f32_f16_e64 v151, v151
.LBB74_86:                              ;   in Loop: Header=BB74_3 Depth=1
	s_or_b32 exec_lo, exec_lo, s4
	v_mov_b32_e32 v153, 0
	s_and_saveexec_b32 s4, s3
	s_cbranch_execz .LBB74_88
; %bb.87:                               ;   in Loop: Header=BB74_3 Depth=1
	v_add_co_u32 v152, vcc_lo, v111, v3
	v_add_co_ci_u32_e32 v153, vcc_lo, v112, v4, vcc_lo
	v_add_co_u32 v154, vcc_lo, v113, v3
	v_add_co_ci_u32_e32 v155, vcc_lo, v114, v4, vcc_lo
	global_load_u16 v148, v[152:153], off
	global_load_u16 v152, v[154:155], off
	s_waitcnt vmcnt(1)
	v_cvt_f32_f16_e64 v148, v148
	s_waitcnt vmcnt(0)
	v_cvt_f32_f16_e64 v153, v152
.LBB74_88:                              ;   in Loop: Header=BB74_3 Depth=1
	;; [unrolled: 33-line block ×4, first 2 shown]
	s_or_b32 exec_lo, exec_lo, s4
	v_dual_mov_b32 v160, 0 :: v_dual_mov_b32 v161, 0
	v_mov_b32_e32 v163, 0
	s_and_saveexec_b32 s4, s3
	s_cbranch_execz .LBB74_98
; %bb.97:                               ;   in Loop: Header=BB74_3 Depth=1
	v_add_co_u32 v163, vcc_lo, v91, v3
	v_add_co_ci_u32_e32 v164, vcc_lo, v92, v4, vcc_lo
	v_add_co_u32 v165, vcc_lo, v93, v3
	v_add_co_ci_u32_e32 v166, vcc_lo, v94, v4, vcc_lo
	global_load_u16 v161, v[163:164], off
	global_load_u16 v163, v[165:166], off
	s_waitcnt vmcnt(1)
	v_cvt_f32_f16_e64 v161, v161
	s_waitcnt vmcnt(0)
	v_cvt_f32_f16_e64 v163, v163
.LBB74_98:                              ;   in Loop: Header=BB74_3 Depth=1
	s_or_b32 exec_lo, exec_lo, s4
	v_mov_b32_e32 v166, 0
	s_and_saveexec_b32 s4, s3
	s_cbranch_execz .LBB74_100
; %bb.99:                               ;   in Loop: Header=BB74_3 Depth=1
	v_add_co_u32 v164, vcc_lo, v87, v3
	v_add_co_ci_u32_e32 v165, vcc_lo, v88, v4, vcc_lo
	v_add_co_u32 v166, vcc_lo, v89, v3
	v_add_co_ci_u32_e32 v167, vcc_lo, v90, v4, vcc_lo
	global_load_u16 v160, v[164:165], off
	global_load_u16 v164, v[166:167], off
	s_waitcnt vmcnt(1)
	v_cvt_f32_f16_e64 v160, v160
	s_waitcnt vmcnt(0)
	v_cvt_f32_f16_e64 v166, v164
.LBB74_100:                             ;   in Loop: Header=BB74_3 Depth=1
	s_or_b32 exec_lo, exec_lo, s4
	v_dual_mov_b32 v164, 0 :: v_dual_mov_b32 v165, 0
	v_mov_b32_e32 v168, 0
	s_and_saveexec_b32 s4, s3
	s_cbranch_execz .LBB74_102
; %bb.101:                              ;   in Loop: Header=BB74_3 Depth=1
	v_add_co_u32 v167, vcc_lo, v83, v3
	v_add_co_ci_u32_e32 v168, vcc_lo, v84, v4, vcc_lo
	v_add_co_u32 v169, vcc_lo, v85, v3
	v_add_co_ci_u32_e32 v170, vcc_lo, v86, v4, vcc_lo
	global_load_u16 v165, v[167:168], off
	global_load_u16 v167, v[169:170], off
	s_waitcnt vmcnt(1)
	v_cvt_f32_f16_e64 v165, v165
	s_waitcnt vmcnt(0)
	v_cvt_f32_f16_e64 v168, v167
.LBB74_102:                             ;   in Loop: Header=BB74_3 Depth=1
	s_or_b32 exec_lo, exec_lo, s4
	v_mov_b32_e32 v170, 0
	s_and_saveexec_b32 s4, s3
	s_cbranch_execz .LBB74_104
; %bb.103:                              ;   in Loop: Header=BB74_3 Depth=1
	v_add_co_u32 v169, vcc_lo, v79, v3
	v_add_co_ci_u32_e32 v170, vcc_lo, v80, v4, vcc_lo
	v_add_co_u32 v171, vcc_lo, v81, v3
	v_add_co_ci_u32_e32 v172, vcc_lo, v82, v4, vcc_lo
	global_load_u16 v164, v[169:170], off
	global_load_u16 v167, v[171:172], off
	s_waitcnt vmcnt(1)
	v_cvt_f32_f16_e64 v164, v164
	s_waitcnt vmcnt(0)
	v_cvt_f32_f16_e64 v170, v167
.LBB74_104:                             ;   in Loop: Header=BB74_3 Depth=1
	s_or_b32 exec_lo, exec_lo, s4
	v_mov_b32_e32 v167, 0
	v_mov_b32_e32 v169, 0
	;; [unrolled: 1-line block ×3, first 2 shown]
	s_and_saveexec_b32 s4, s3
	s_cbranch_execz .LBB74_106
; %bb.105:                              ;   in Loop: Header=BB74_3 Depth=1
	v_add_co_u32 v171, vcc_lo, v75, v3
	v_add_co_ci_u32_e32 v172, vcc_lo, v76, v4, vcc_lo
	v_add_co_u32 v173, vcc_lo, v77, v3
	v_add_co_ci_u32_e32 v174, vcc_lo, v78, v4, vcc_lo
	global_load_u16 v169, v[171:172], off
	global_load_u16 v171, v[173:174], off
	s_waitcnt vmcnt(1)
	v_cvt_f32_f16_e64 v169, v169
	s_waitcnt vmcnt(0)
	v_cvt_f32_f16_e64 v173, v171
.LBB74_106:                             ;   in Loop: Header=BB74_3 Depth=1
	s_or_b32 exec_lo, exec_lo, s4
	v_mov_b32_e32 v176, 0
	s_and_saveexec_b32 s4, s3
	s_cbranch_execz .LBB74_108
; %bb.107:                              ;   in Loop: Header=BB74_3 Depth=1
	v_add_co_u32 v171, vcc_lo, v71, v3
	v_add_co_ci_u32_e32 v172, vcc_lo, v72, v4, vcc_lo
	v_add_co_u32 v174, vcc_lo, v73, v3
	v_add_co_ci_u32_e32 v175, vcc_lo, v74, v4, vcc_lo
	global_load_u16 v167, v[171:172], off
	global_load_u16 v171, v[174:175], off
	s_waitcnt vmcnt(1)
	v_cvt_f32_f16_e64 v167, v167
	s_waitcnt vmcnt(0)
	v_cvt_f32_f16_e64 v176, v171
.LBB74_108:                             ;   in Loop: Header=BB74_3 Depth=1
	s_or_b32 exec_lo, exec_lo, s4
	v_dual_mov_b32 v172, 0 :: v_dual_mov_b32 v175, 0
	v_mov_b32_e32 v179, 0
	s_and_saveexec_b32 s4, s3
	s_cbranch_execz .LBB74_110
; %bb.109:                              ;   in Loop: Header=BB74_3 Depth=1
	v_add_co_u32 v174, vcc_lo, v67, v3
	v_add_co_ci_u32_e32 v175, vcc_lo, v68, v4, vcc_lo
	v_add_co_u32 v177, vcc_lo, v69, v3
	v_add_co_ci_u32_e32 v178, vcc_lo, v70, v4, vcc_lo
	global_load_u16 v171, v[174:175], off
	global_load_u16 v174, v[177:178], off
	s_waitcnt vmcnt(1)
	v_cvt_f32_f16_e64 v175, v171
	s_waitcnt vmcnt(0)
	v_cvt_f32_f16_e64 v179, v174
.LBB74_110:                             ;   in Loop: Header=BB74_3 Depth=1
	s_or_b32 exec_lo, exec_lo, s4
	v_mov_b32_e32 v180, 0
	s_and_saveexec_b32 s4, s3
	s_cbranch_execz .LBB74_112
; %bb.111:                              ;   in Loop: Header=BB74_3 Depth=1
	v_add_co_u32 v171, vcc_lo, v63, v3
	v_add_co_ci_u32_e32 v172, vcc_lo, v64, v4, vcc_lo
	v_add_co_u32 v177, vcc_lo, v65, v3
	v_add_co_ci_u32_e32 v178, vcc_lo, v66, v4, vcc_lo
	global_load_u16 v171, v[171:172], off
	global_load_u16 v174, v[177:178], off
	s_waitcnt vmcnt(1)
	v_cvt_f32_f16_e64 v172, v171
	s_waitcnt vmcnt(0)
	v_cvt_f32_f16_e64 v180, v174
.LBB74_112:                             ;   in Loop: Header=BB74_3 Depth=1
	s_or_b32 exec_lo, exec_lo, s4
	v_dual_mov_b32 v177, 0 :: v_dual_mov_b32 v178, 0
	v_mov_b32_e32 v182, 0
	;; [unrolled: 33-line block ×3, first 2 shown]
	s_and_saveexec_b32 s4, s3
	s_cbranch_execz .LBB74_118
; %bb.117:                              ;   in Loop: Header=BB74_3 Depth=1
	v_add_co_u32 v185, vcc_lo, v51, v3
	v_add_co_ci_u32_e32 v186, vcc_lo, v52, v4, vcc_lo
	v_add_co_u32 v187, vcc_lo, v53, v3
	v_add_co_ci_u32_e32 v188, vcc_lo, v54, v4, vcc_lo
	global_load_u16 v171, v[185:186], off
	global_load_u16 v174, v[187:188], off
	s_waitcnt vmcnt(1)
	v_cvt_f32_f16_e64 v183, v171
	s_waitcnt vmcnt(0)
	v_cvt_f32_f16_e64 v186, v174
.LBB74_118:                             ;   in Loop: Header=BB74_3 Depth=1
	s_or_b32 exec_lo, exec_lo, s4
	v_mov_b32_e32 v188, 0
	s_and_saveexec_b32 s4, s3
	s_cbranch_execz .LBB74_120
; %bb.119:                              ;   in Loop: Header=BB74_3 Depth=1
	v_add_co_u32 v187, vcc_lo, v47, v3
	v_add_co_ci_u32_e32 v188, vcc_lo, v48, v4, vcc_lo
	v_add_co_u32 v189, vcc_lo, v49, v3
	v_add_co_ci_u32_e32 v190, vcc_lo, v50, v4, vcc_lo
	global_load_u16 v171, v[187:188], off
	global_load_u16 v174, v[189:190], off
	s_waitcnt vmcnt(1)
	v_cvt_f32_f16_e64 v181, v171
	s_waitcnt vmcnt(0)
	v_cvt_f32_f16_e64 v188, v174
.LBB74_120:                             ;   in Loop: Header=BB74_3 Depth=1
	s_or_b32 exec_lo, exec_lo, s4
	v_mov_b32_e32 v185, 0
	v_mov_b32_e32 v187, 0
	;; [unrolled: 1-line block ×3, first 2 shown]
	s_and_saveexec_b32 s4, s3
	s_cbranch_execz .LBB74_122
; %bb.121:                              ;   in Loop: Header=BB74_3 Depth=1
	v_add_co_u32 v189, vcc_lo, v44, v3
	v_add_co_ci_u32_e32 v190, vcc_lo, v45, v4, vcc_lo
	v_add_co_u32 v191, vcc_lo, v46, v3
	v_add_co_ci_u32_e32 v192, vcc_lo, v0, v4, vcc_lo
	global_load_u16 v171, v[189:190], off
	global_load_u16 v174, v[191:192], off
	s_waitcnt vmcnt(1)
	v_cvt_f32_f16_e64 v187, v171
	s_waitcnt vmcnt(0)
	v_cvt_f32_f16_e64 v191, v174
.LBB74_122:                             ;   in Loop: Header=BB74_3 Depth=1
	s_or_b32 exec_lo, exec_lo, s4
	v_mov_b32_e32 v192, 0
	s_and_saveexec_b32 s4, s3
	s_cbranch_execz .LBB74_124
; %bb.123:                              ;   in Loop: Header=BB74_3 Depth=1
	v_add_co_u32 v189, vcc_lo, v40, v3
	v_add_co_ci_u32_e32 v190, vcc_lo, v41, v4, vcc_lo
	v_add_co_u32 v192, vcc_lo, v42, v3
	v_add_co_ci_u32_e32 v193, vcc_lo, v43, v4, vcc_lo
	global_load_u16 v171, v[189:190], off
	global_load_u16 v174, v[192:193], off
	s_waitcnt vmcnt(1)
	v_cvt_f32_f16_e64 v185, v171
	s_waitcnt vmcnt(0)
	v_cvt_f32_f16_e64 v192, v174
.LBB74_124:                             ;   in Loop: Header=BB74_3 Depth=1
	s_or_b32 exec_lo, exec_lo, s4
	v_dual_mov_b32 v189, 0 :: v_dual_mov_b32 v190, 0
	v_mov_b32_e32 v193, 0
	s_and_saveexec_b32 s4, s3
	s_cbranch_execz .LBB74_126
; %bb.125:                              ;   in Loop: Header=BB74_3 Depth=1
	v_add_co_u32 v193, vcc_lo, v36, v3
	v_add_co_ci_u32_e32 v194, vcc_lo, v37, v4, vcc_lo
	v_add_co_u32 v195, vcc_lo, v38, v3
	v_add_co_ci_u32_e32 v196, vcc_lo, v39, v4, vcc_lo
	global_load_u16 v171, v[193:194], off
	global_load_u16 v174, v[195:196], off
	s_waitcnt vmcnt(1)
	v_cvt_f32_f16_e64 v190, v171
	s_waitcnt vmcnt(0)
	v_cvt_f32_f16_e64 v193, v174
.LBB74_126:                             ;   in Loop: Header=BB74_3 Depth=1
	s_or_b32 exec_lo, exec_lo, s4
	v_mov_b32_e32 v196, 0
	s_and_saveexec_b32 s4, s3
	s_cbranch_execz .LBB74_128
; %bb.127:                              ;   in Loop: Header=BB74_3 Depth=1
	v_add_co_u32 v194, vcc_lo, v32, v3
	v_add_co_ci_u32_e32 v195, vcc_lo, v33, v4, vcc_lo
	v_add_co_u32 v196, vcc_lo, v34, v3
	v_add_co_ci_u32_e32 v197, vcc_lo, v35, v4, vcc_lo
	global_load_u16 v171, v[194:195], off
	global_load_u16 v174, v[196:197], off
	s_waitcnt vmcnt(1)
	v_cvt_f32_f16_e64 v189, v171
	s_waitcnt vmcnt(0)
	v_cvt_f32_f16_e64 v196, v174
.LBB74_128:                             ;   in Loop: Header=BB74_3 Depth=1
	s_or_b32 exec_lo, exec_lo, s4
	v_dual_mov_b32 v194, 0 :: v_dual_mov_b32 v195, 0
	v_mov_b32_e32 v197, 0
	s_and_saveexec_b32 s4, s3
	s_cbranch_execz .LBB74_130
; %bb.129:                              ;   in Loop: Header=BB74_3 Depth=1
	v_add_co_u32 v197, vcc_lo, v28, v3
	v_add_co_ci_u32_e32 v198, vcc_lo, v29, v4, vcc_lo
	v_add_co_u32 v199, vcc_lo, v30, v3
	v_add_co_ci_u32_e32 v200, vcc_lo, v31, v4, vcc_lo
	global_load_u16 v171, v[197:198], off
	global_load_u16 v174, v[199:200], off
	s_waitcnt vmcnt(1)
	v_cvt_f32_f16_e64 v195, v171
	s_waitcnt vmcnt(0)
	v_cvt_f32_f16_e64 v197, v174
.LBB74_130:                             ;   in Loop: Header=BB74_3 Depth=1
	s_or_b32 exec_lo, exec_lo, s4
	v_mov_b32_e32 v198, 0
	s_and_saveexec_b32 s4, s3
	s_cbranch_execz .LBB74_132
; %bb.131:                              ;   in Loop: Header=BB74_3 Depth=1
	v_add_co_u32 v198, vcc_lo, v24, v3
	v_add_co_ci_u32_e32 v199, vcc_lo, v25, v4, vcc_lo
	v_add_co_u32 v200, vcc_lo, v26, v3
	v_add_co_ci_u32_e32 v201, vcc_lo, v27, v4, vcc_lo
	global_load_u16 v171, v[198:199], off
	global_load_u16 v174, v[200:201], off
	s_waitcnt vmcnt(1)
	v_cvt_f32_f16_e64 v194, v171
	s_waitcnt vmcnt(0)
	v_cvt_f32_f16_e64 v198, v174
.LBB74_132:                             ;   in Loop: Header=BB74_3 Depth=1
	s_or_b32 exec_lo, exec_lo, s4
	v_dual_mov_b32 v199, 0 :: v_dual_mov_b32 v200, 0
	v_mov_b32_e32 v201, 0
	s_and_saveexec_b32 s4, s3
	s_cbranch_execz .LBB74_134
; %bb.133:                              ;   in Loop: Header=BB74_3 Depth=1
	v_add_co_u32 v200, vcc_lo, v20, v3
	v_add_co_ci_u32_e32 v201, vcc_lo, v21, v4, vcc_lo
	v_add_co_u32 v202, vcc_lo, v22, v3
	v_add_co_ci_u32_e32 v203, vcc_lo, v23, v4, vcc_lo
	global_load_u16 v171, v[200:201], off
	global_load_u16 v174, v[202:203], off
	s_waitcnt vmcnt(1)
	v_cvt_f32_f16_e64 v200, v171
	s_waitcnt vmcnt(0)
	v_cvt_f32_f16_e64 v201, v174
.LBB74_134:                             ;   in Loop: Header=BB74_3 Depth=1
	s_or_b32 exec_lo, exec_lo, s4
	v_mov_b32_e32 v202, 0
	s_and_saveexec_b32 s4, s3
	s_cbranch_execz .LBB74_136
; %bb.135:                              ;   in Loop: Header=BB74_3 Depth=1
	v_add_co_u32 v202, vcc_lo, v16, v3
	v_add_co_ci_u32_e32 v203, vcc_lo, v17, v4, vcc_lo
	v_add_co_u32 v204, vcc_lo, v18, v3
	v_add_co_ci_u32_e32 v205, vcc_lo, v19, v4, vcc_lo
	global_load_u16 v171, v[202:203], off
	global_load_u16 v174, v[204:205], off
	s_waitcnt vmcnt(1)
	v_cvt_f32_f16_e64 v199, v171
	s_waitcnt vmcnt(0)
	v_cvt_f32_f16_e64 v202, v174
.LBB74_136:                             ;   in Loop: Header=BB74_3 Depth=1
	s_or_b32 exec_lo, exec_lo, s4
	v_dual_mov_b32 v171, 0 :: v_dual_mov_b32 v174, 0
	s_and_saveexec_b32 s4, s3
	s_cbranch_execz .LBB74_138
; %bb.137:                              ;   in Loop: Header=BB74_3 Depth=1
	v_add_co_u32 v203, vcc_lo, v1, v3
	v_add_co_ci_u32_e32 v204, vcc_lo, v13, v4, vcc_lo
	v_add_co_u32 v205, vcc_lo, v14, v3
	v_add_co_ci_u32_e32 v206, vcc_lo, v15, v4, vcc_lo
	global_load_u16 v171, v[203:204], off
	global_load_u16 v174, v[205:206], off
	s_waitcnt vmcnt(1)
	v_cvt_f32_f16_e64 v171, v171
	s_waitcnt vmcnt(0)
	v_cvt_f32_f16_e64 v174, v174
.LBB74_138:                             ;   in Loop: Header=BB74_3 Depth=1
	s_or_b32 exec_lo, exec_lo, s4
	s_waitcnt vmcnt(1)
	ds_bpermute_b32 v203, v2, v7
	ds_bpermute_b32 v206, v2, v7 offset:4
	s_waitcnt vmcnt(0)
	ds_bpermute_b32 v204, v2, v8
	ds_bpermute_b32 v208, v2, v7 offset:8
	ds_bpermute_b32 v205, v2, v8 offset:4
	;; [unrolled: 1-line block ×3, first 2 shown]
	v_add_f32_e32 v125, v125, v141
	ds_bpermute_b32 v207, v2, v8 offset:8
	ds_bpermute_b32 v212, v2, v7 offset:16
	;; [unrolled: 1-line block ×13, first 2 shown]
	s_waitcnt lgkmcnt(18)
	v_sub_f32_e32 v6, v6, v203
	ds_bpermute_b32 v203, v2, v7 offset:36
	ds_bpermute_b32 v221, v2, v8 offset:36
	s_waitcnt lgkmcnt(17)
	v_sub_f32_e32 v145, v145, v208
	ds_bpermute_b32 v222, v2, v8 offset:40
	v_mul_f32_e32 v6, v141, v6
	v_sub_f32_e32 v143, v143, v206
	ds_bpermute_b32 v206, v2, v7 offset:44
	ds_bpermute_b32 v141, v2, v8 offset:44
	v_fmac_f32_e32 v140, v6, v204
	v_mul_f32_e32 v143, v142, v143
	v_add_f32_e32 v125, v125, v142
	s_waitcnt lgkmcnt(18)
	v_dual_sub_f32 v142, v147, v210 :: v_dual_mul_f32 v145, v5, v145
	ds_bpermute_b32 v6, v2, v8 offset:48
	v_fmac_f32_e32 v140, v143, v205
	v_dual_add_f32 v5, v125, v5 :: v_dual_mul_f32 v142, v146, v142
	ds_bpermute_b32 v143, v2, v7 offset:48
	s_waitcnt lgkmcnt(13)
	v_dual_sub_f32 v147, v155, v218 :: v_dual_fmac_f32 v140, v145, v207
	v_sub_f32_e32 v125, v149, v212
	v_add_f32_e32 v5, v5, v146
	v_sub_f32_e32 v146, v151, v214
	ds_bpermute_b32 v145, v2, v8 offset:52
	v_fmac_f32_e32 v140, v142, v209
	v_mul_f32_e32 v125, v144, v125
	v_dual_add_f32 v5, v5, v144 :: v_dual_mul_f32 v146, v150, v146
	v_sub_f32_e32 v144, v153, v216
	ds_bpermute_b32 v142, v2, v7 offset:52
	s_waitcnt lgkmcnt(5)
	v_dual_sub_f32 v151, v163, v206 :: v_dual_mul_f32 v144, v148, v144
	v_sub_f32_e32 v149, v157, v220
	v_fmac_f32_e32 v140, v125, v211
	ds_bpermute_b32 v125, v2, v8 offset:56
	s_waitcnt lgkmcnt(3)
	v_sub_f32_e32 v143, v166, v143
	v_mul_f32_e32 v149, v152, v149
	v_dual_add_f32 v5, v5, v150 :: v_dual_fmac_f32 v140, v146, v213
	v_sub_f32_e32 v150, v162, v223
	v_mul_f32_e32 v147, v154, v147
	ds_bpermute_b32 v146, v2, v7 offset:56
	v_dual_add_f32 v5, v5, v148 :: v_dual_sub_f32 v148, v159, v203
	v_fmac_f32_e32 v140, v144, v215
	v_mul_f32_e32 v150, v156, v150
	ds_bpermute_b32 v144, v2, v8 offset:60
	v_dual_add_f32 v5, v5, v154 :: v_dual_mul_f32 v148, v158, v148
	v_fmac_f32_e32 v140, v147, v217
	ds_bpermute_b32 v147, v2, v7 offset:60
	s_waitcnt lgkmcnt(4)
	v_dual_sub_f32 v142, v168, v142 :: v_dual_add_f32 v5, v5, v152
	v_mul_f32_e32 v143, v160, v143
	v_fmac_f32_e32 v140, v149, v219
	ds_bpermute_b32 v149, v2, v8 offset:64
	v_mul_f32_e32 v142, v165, v142
	v_dual_add_f32 v5, v5, v158 :: v_dual_fmac_f32 v140, v148, v221
	ds_bpermute_b32 v148, v2, v7 offset:64
	s_waitcnt lgkmcnt(4)
	v_dual_mul_f32 v151, v161, v151 :: v_dual_sub_f32 v146, v170, v146
	v_dual_fmac_f32 v140, v150, v222 :: v_dual_add_f32 v5, v5, v156
	ds_bpermute_b32 v150, v2, v7 offset:68
	v_mul_f32_e32 v146, v164, v146
	v_fmac_f32_e32 v140, v151, v141
	v_add_f32_e32 v5, v5, v161
	ds_bpermute_b32 v141, v2, v7 offset:72
	v_dual_fmac_f32 v140, v143, v6 :: v_dual_add_f32 v5, v5, v160
	ds_bpermute_b32 v6, v2, v8 offset:68
	s_waitcnt lgkmcnt(5)
	v_sub_f32_e32 v143, v173, v147
	ds_bpermute_b32 v147, v2, v7 offset:80
	v_fmac_f32_e32 v140, v142, v145
	v_add_f32_e32 v5, v5, v165
	ds_bpermute_b32 v142, v2, v8 offset:72
	v_mul_f32_e32 v143, v169, v143
	ds_bpermute_b32 v145, v2, v7 offset:76
	s_waitcnt lgkmcnt(6)
	v_dual_fmac_f32 v140, v146, v125 :: v_dual_sub_f32 v125, v176, v148
	s_waitcnt lgkmcnt(5)
	v_sub_f32_e32 v146, v179, v150
	s_delay_alu instid0(VALU_DEP_2) | instskip(NEXT) | instid1(VALU_DEP_3)
	v_fmac_f32_e32 v140, v143, v144
	v_mul_f32_e32 v125, v167, v125
	s_waitcnt lgkmcnt(4)
	v_sub_f32_e32 v141, v180, v141
	v_mul_f32_e32 v143, v175, v146
	ds_bpermute_b32 v144, v2, v8 offset:76
	ds_bpermute_b32 v146, v2, v7 offset:84
	v_fmac_f32_e32 v140, v125, v149
	v_add_f32_e32 v5, v5, v164
	ds_bpermute_b32 v125, v2, v8 offset:80
	s_waitcnt lgkmcnt(6)
	v_fmac_f32_e32 v140, v143, v6
	ds_bpermute_b32 v6, v2, v7 offset:88
	s_waitcnt lgkmcnt(0)
	v_dual_add_f32 v5, v5, v169 :: v_dual_sub_f32 v6, v188, v6
	s_delay_alu instid0(VALU_DEP_1) | instskip(NEXT) | instid1(VALU_DEP_1)
	v_dual_mul_f32 v141, v172, v141 :: v_dual_mul_f32 v6, v181, v6
	v_dual_sub_f32 v143, v182, v145 :: v_dual_fmac_f32 v140, v141, v142
	ds_bpermute_b32 v142, v2, v7 offset:92
	ds_bpermute_b32 v145, v2, v8 offset:84
	s_waitcnt lgkmcnt(1)
	v_dual_mul_f32 v141, v178, v143 :: v_dual_sub_f32 v142, v191, v142
	s_delay_alu instid0(VALU_DEP_1) | instskip(SKIP_4) | instid1(VALU_DEP_1)
	v_dual_sub_f32 v143, v184, v147 :: v_dual_fmac_f32 v140, v141, v144
	ds_bpermute_b32 v141, v2, v8 offset:88
	v_sub_f32_e32 v144, v186, v146
	ds_bpermute_b32 v146, v2, v7 offset:96
	v_mul_f32_e32 v143, v177, v143
	v_dual_add_f32 v5, v5, v167 :: v_dual_fmac_f32 v140, v143, v125
	ds_bpermute_b32 v125, v2, v8 offset:92
	v_mul_f32_e32 v143, v183, v144
	ds_bpermute_b32 v144, v2, v7 offset:100
	s_waitcnt lgkmcnt(4)
	v_dual_add_f32 v5, v5, v175 :: v_dual_fmac_f32 v140, v143, v145
	ds_bpermute_b32 v143, v2, v8 offset:96
	ds_bpermute_b32 v145, v2, v7 offset:104
	s_waitcnt lgkmcnt(5)
	v_dual_add_f32 v5, v5, v172 :: v_dual_fmac_f32 v140, v6, v141
	ds_bpermute_b32 v6, v2, v8 offset:100
	v_mul_f32_e32 v141, v187, v142
	s_waitcnt lgkmcnt(5)
	v_sub_f32_e32 v142, v192, v146
	ds_bpermute_b32 v146, v2, v7 offset:108
	s_waitcnt lgkmcnt(5)
	v_fmac_f32_e32 v140, v141, v125
	ds_bpermute_b32 v141, v2, v8 offset:104
	v_mul_f32_e32 v125, v185, v142
	s_waitcnt lgkmcnt(5)
	v_sub_f32_e32 v142, v193, v144
	ds_bpermute_b32 v144, v2, v7 offset:112
	s_waitcnt lgkmcnt(5)
	v_dual_fmac_f32 v140, v125, v143 :: v_dual_mul_f32 v125, v190, v142
	ds_bpermute_b32 v142, v2, v8 offset:108
	s_waitcnt lgkmcnt(5)
	v_sub_f32_e32 v143, v196, v145
	ds_bpermute_b32 v145, v2, v7 offset:116
	s_waitcnt lgkmcnt(5)
	v_fmac_f32_e32 v140, v125, v6
	ds_bpermute_b32 v125, v2, v8 offset:112
	v_mul_f32_e32 v6, v189, v143
	v_add_f32_e32 v5, v5, v178
	s_waitcnt lgkmcnt(5)
	v_sub_f32_e32 v143, v197, v146
	ds_bpermute_b32 v146, v2, v7 offset:120
	ds_bpermute_b32 v7, v2, v7 offset:124
	s_waitcnt lgkmcnt(6)
	v_fmac_f32_e32 v140, v6, v141
	v_dual_add_f32 v5, v5, v177 :: v_dual_mul_f32 v6, v195, v143
	s_waitcnt lgkmcnt(5)
	v_sub_f32_e32 v143, v198, v144
	ds_bpermute_b32 v141, v2, v8 offset:116
	s_waitcnt lgkmcnt(5)
	v_dual_add_f32 v5, v5, v183 :: v_dual_fmac_f32 v140, v6, v142
	v_mul_f32_e32 v142, v194, v143
	ds_bpermute_b32 v6, v2, v8 offset:120
	v_add_f32_e32 v5, v5, v181
	s_waitcnt lgkmcnt(5)
	v_sub_f32_e32 v143, v201, v145
	ds_bpermute_b32 v8, v2, v8 offset:124
	s_waitcnt lgkmcnt(5)
	v_dual_fmac_f32 v140, v142, v125 :: v_dual_add_f32 v5, v5, v187
	s_waitcnt lgkmcnt(4)
	v_dual_sub_f32 v142, v202, v146 :: v_dual_mul_f32 v125, v200, v143
	s_delay_alu instid0(VALU_DEP_2) | instskip(SKIP_1) | instid1(VALU_DEP_2)
	v_add_f32_e32 v5, v5, v185
	s_waitcnt lgkmcnt(2)
	v_dual_fmac_f32 v140, v125, v141 :: v_dual_mul_f32 v125, v199, v142
	s_delay_alu instid0(VALU_DEP_2) | instskip(SKIP_1) | instid1(VALU_DEP_2)
	v_add_f32_e32 v5, v5, v190
	s_waitcnt lgkmcnt(1)
	v_fmac_f32_e32 v140, v125, v6
	s_delay_alu instid0(VALU_DEP_1) | instskip(NEXT) | instid1(VALU_DEP_1)
	v_dual_add_f32 v5, v5, v189 :: v_dual_mov_b32 v144, v140
	v_add_f32_e32 v5, v5, v195
	s_delay_alu instid0(VALU_DEP_1) | instskip(NEXT) | instid1(VALU_DEP_1)
	v_add_f32_e32 v5, v5, v194
	v_add_f32_e32 v5, v5, v200
	s_delay_alu instid0(VALU_DEP_1)
	v_add_f32_e32 v141, v5, v199
.LBB74_139:                             ;   in Loop: Header=BB74_3 Depth=1
	v_add_co_u32 v1, vcc_lo, v1, s26
	v_add_co_ci_u32_e32 v13, vcc_lo, s27, v13, vcc_lo
	v_add_co_u32 v14, vcc_lo, v14, s26
	v_add_co_ci_u32_e32 v15, vcc_lo, s27, v15, vcc_lo
	;; [unrolled: 2-line block ×61, first 2 shown]
	v_add_co_u32 v134, vcc_lo, v134, s26
	s_waitcnt lgkmcnt(1)
	v_sub_f32_e32 v5, v174, v7
	v_add_co_ci_u32_e32 v135, vcc_lo, s27, v135, vcc_lo
	v_add_co_u32 v136, vcc_lo, v136, s26
	s_add_u32 s28, s28, s31
	v_add_co_ci_u32_e32 v137, vcc_lo, s27, v137, vcc_lo
	v_mul_f32_e32 v5, v171, v5
	s_addc_u32 s29, s29, 0
	v_add_co_u32 v138, vcc_lo, v138, s26
	v_add_co_ci_u32_e32 v139, vcc_lo, s27, v139, vcc_lo
	v_cmp_lt_i64_e64 s4, s[28:29], s[16:17]
	v_add_co_u32 v10, vcc_lo, v10, s31
	v_add_f32_e32 v125, v141, v171
	s_waitcnt lgkmcnt(0)
	v_fmac_f32_e32 v144, v5, v8
	v_add_co_ci_u32_e32 v12, vcc_lo, 0, v12, vcc_lo
	s_add_u32 s24, s24, s31
	s_addc_u32 s25, s25, 0
	s_and_b32 vcc_lo, exec_lo, s4
	s_cbranch_vccz .LBB74_142
; %bb.140:                              ;   in Loop: Header=BB74_3 Depth=1
	v_mov_b32_e32 v140, v144
	s_branch .LBB74_3
.LBB74_141:
	s_mov_b32 s5, -1
                                        ; implicit-def: $vgpr144
                                        ; implicit-def: $vgpr125
.LBB74_142:
	s_delay_alu instid0(SALU_CYCLE_1)
	s_and_not1_b32 vcc_lo, exec_lo, s5
	s_cbranch_vccnz .LBB74_220
; %bb.143:
	v_dual_mov_b32 v144, 0 :: v_dual_mov_b32 v125, 0
	s_and_not1_b32 vcc_lo, exec_lo, s30
	s_cbranch_vccnz .LBB74_220
; %bb.144:
	v_bfe_u32 v7, v227, 10, 10
	s_add_u32 s4, s0, 64
	s_addc_u32 s5, s1, 0
	s_lshl_b64 s[12:13], s[6:7], 1
	s_delay_alu instid0(VALU_DEP_1) | instskip(SKIP_2) | instid1(VALU_DEP_1)
	v_dual_mov_b32 v177, v227 :: v_dual_lshlrev_b32 v0, 6, v7
	scratch_store_b32 off, v177, off offset:308 ; 4-byte Folded Spill
	v_add_co_u32 v121, s3, v0, s12
	v_add_co_ci_u32_e64 v122, null, 0, s13, s3
	s_delay_alu instid0(VALU_DEP_2) | instskip(NEXT) | instid1(VALU_DEP_2)
	v_add_co_u32 v11, vcc_lo, v121, 2
	v_add_co_ci_u32_e32 v0, vcc_lo, 0, v122, vcc_lo
	v_add_co_u32 v15, vcc_lo, v121, 4
	v_add_co_ci_u32_e32 v5, vcc_lo, 0, v122, vcc_lo
	v_add_co_u32 v19, vcc_lo, v121, 6
	s_delay_alu instid0(VALU_DEP_4) | instskip(SKIP_3) | instid1(VALU_DEP_3)
	v_mul_lo_u32 v18, s18, v0
	v_add_co_ci_u32_e32 v0, vcc_lo, 0, v122, vcc_lo
	v_add_co_u32 v24, vcc_lo, v121, 8
	v_add_co_ci_u32_e32 v9, vcc_lo, 0, v122, vcc_lo
	v_mul_lo_u32 v22, s18, v0
	v_lshlrev_b32_e32 v0, 5, v7
	scratch_store_b32 off, v7, off offset:300 ; 4-byte Folded Spill
	v_add_co_u32 v25, vcc_lo, v121, 10
	v_mad_u64_u32 v[1:2], null, s18, v11, s[20:21]
	scratch_store_b32 off, v0, off          ; 4-byte Folded Spill
	v_add_co_u32 v0, s3, v0, s6
	s_delay_alu instid0(VALU_DEP_1) | instskip(SKIP_1) | instid1(VALU_DEP_3)
	v_add_co_ci_u32_e64 v133, null, 0, 0, s3
	v_mul_lo_u32 v17, s19, v11
	v_mul_lo_u32 v14, s19, v0
	v_mad_u64_u32 v[135:136], null, s18, v0, 0
	s_delay_alu instid0(VALU_DEP_4)
	v_mul_lo_u32 v16, s18, v133
	v_add_co_ci_u32_e32 v13, vcc_lo, 0, v122, vcc_lo
	v_mul_lo_u32 v26, s18, v9
	v_mad_u64_u32 v[9:10], null, s18, v11, s[22:23]
	v_mad_u64_u32 v[3:4], null, s18, v15, s[20:21]
	v_mul_lo_u32 v20, s18, v5
	v_mul_lo_u32 v21, s19, v15
	v_mad_u64_u32 v[5:6], null, s18, v19, s[20:21]
	v_mul_lo_u32 v23, s19, v19
	v_mul_lo_u32 v28, s18, v13
	v_add3_u32 v136, v136, v16, v14
	v_mad_u64_u32 v[13:14], null, s18, v15, s[22:23]
	v_mad_u64_u32 v[15:16], null, s18, v19, s[22:23]
	v_add3_u32 v2, v17, v2, v18
	v_mad_u64_u32 v[7:8], null, s18, v24, s[20:21]
	v_mul_lo_u32 v27, s19, v24
	v_add3_u32 v10, v17, v10, v18
	v_mad_u64_u32 v[17:18], null, s18, v24, s[22:23]
	v_add_co_u32 v30, vcc_lo, v121, 12
	v_add3_u32 v4, v21, v4, v20
	v_add3_u32 v6, v23, v6, v22
	v_mad_u64_u32 v[11:12], null, s18, v25, s[20:21]
	v_mul_lo_u32 v29, s19, v25
	v_add_co_ci_u32_e32 v31, vcc_lo, 0, v122, vcc_lo
	v_add3_u32 v14, v21, v14, v20
	v_add3_u32 v16, v23, v16, v22
	v_mad_u64_u32 v[21:22], null, s18, v25, s[22:23]
	v_mad_u64_u32 v[19:20], null, s18, v30, s[20:21]
	v_mul_lo_u32 v32, s19, v30
	v_mad_u64_u32 v[23:24], null, s18, v30, s[22:23]
	v_add_co_u32 v30, vcc_lo, v121, 14
	v_add3_u32 v8, v27, v8, v26
	v_add3_u32 v18, v27, v18, v26
	v_add_co_ci_u32_e32 v27, vcc_lo, 0, v122, vcc_lo
	v_mul_lo_u32 v31, s18, v31
	v_add3_u32 v12, v29, v12, v28
	v_add3_u32 v22, v29, v22, v28
	v_mad_u64_u32 v[25:26], null, s18, v30, s[20:21]
	v_mul_lo_u32 v29, s18, v27
	v_mul_lo_u32 v33, s19, v30
	v_mad_u64_u32 v[27:28], null, s18, v30, s[22:23]
	v_add_co_u32 v34, vcc_lo, v121, 16
	v_add_co_ci_u32_e32 v30, vcc_lo, 0, v122, vcc_lo
	v_add3_u32 v20, v32, v20, v31
	v_add3_u32 v24, v32, v24, v31
	;; [unrolled: 1-line block ×4, first 2 shown]
	v_mul_lo_u32 v33, s18, v30
	v_mul_lo_u32 v35, s19, v34
	v_mad_u64_u32 v[29:30], null, s18, v34, s[20:21]
	v_mad_u64_u32 v[31:32], null, s18, v34, s[22:23]
	v_add_co_u32 v37, vcc_lo, v121, 18
	v_lshlrev_b64 v[137:138], 1, v[135:136]
	s_load_b32 s3, s[0:1], 0x44
	s_delay_alu instid0(VALU_DEP_4) | instskip(NEXT) | instid1(VALU_DEP_3)
	v_add3_u32 v30, v35, v30, v33
	v_mul_lo_u32 v39, s19, v37
	v_add3_u32 v32, v35, v32, v33
	v_add_co_ci_u32_e32 v33, vcc_lo, 0, v122, vcc_lo
	v_mad_u64_u32 v[35:36], null, s18, v37, s[22:23]
	v_add_co_u32 v41, vcc_lo, v121, 20
	s_delay_alu instid0(VALU_DEP_3) | instskip(SKIP_2) | instid1(VALU_DEP_4)
	v_mul_lo_u32 v38, s18, v33
	v_mad_u64_u32 v[33:34], null, s18, v37, s[20:21]
	v_add_co_ci_u32_e32 v37, vcc_lo, 0, v122, vcc_lo
	v_mul_lo_u32 v43, s19, v41
	v_add_co_u32 v45, vcc_lo, v121, 22
	v_add3_u32 v36, v39, v36, v38
	v_add3_u32 v34, v39, v34, v38
	v_mul_lo_u32 v42, s18, v37
	v_mad_u64_u32 v[37:38], null, s18, v41, s[20:21]
	v_mad_u64_u32 v[39:40], null, s18, v41, s[22:23]
	v_add_co_ci_u32_e32 v41, vcc_lo, 0, v122, vcc_lo
	v_mul_lo_u32 v47, s19, v45
	v_add_co_u32 v49, vcc_lo, v121, 24
	v_add3_u32 v38, v43, v38, v42
	v_add3_u32 v40, v43, v40, v42
	v_mul_lo_u32 v46, s18, v41
	v_mad_u64_u32 v[41:42], null, s18, v45, s[20:21]
	;; [unrolled: 8-line block ×20, first 2 shown]
	v_mad_u64_u32 v[115:116], null, s18, v117, s[22:23]
	v_add_co_ci_u32_e32 v117, vcc_lo, 0, v122, vcc_lo
	v_mul_lo_u32 v125, s19, v123
	s_waitcnt lgkmcnt(0)
	s_lshl_b32 s3, s3, 5
	s_delay_alu instid0(VALU_DEP_4)
	v_add3_u32 v114, v119, v114, v118
	v_mul_lo_u32 v124, s18, v117
	v_add3_u32 v116, v119, v116, v118
	v_mad_u64_u32 v[117:118], null, s18, v123, s[20:21]
	v_mad_u64_u32 v[119:120], null, s18, v123, s[22:23]
	s_mul_i32 s12, s19, s3
	s_mul_hi_u32 s13, s18, s3
	s_delay_alu instid0(SALU_CYCLE_1) | instskip(NEXT) | instid1(VALU_DEP_2)
	s_add_i32 s13, s13, s12
	v_add3_u32 v118, v125, v118, v124
	s_mul_i32 s12, s18, s3
	s_delay_alu instid0(VALU_DEP_2) | instskip(SKIP_3) | instid1(VALU_DEP_2)
	v_add3_u32 v120, v125, v120, v124
	v_add_co_u32 v125, vcc_lo, v121, 62
	v_add_co_ci_u32_e32 v121, vcc_lo, 0, v122, vcc_lo
	s_lshl_b64 s[12:13], s[12:13], 1
	v_mul_lo_u32 v127, s19, v125
	v_mad_u64_u32 v[123:124], null, s18, v125, s[22:23]
	s_delay_alu instid0(VALU_DEP_3) | instskip(SKIP_2) | instid1(VALU_DEP_3)
	v_mul_lo_u32 v126, s18, v121
	v_mad_u64_u32 v[121:122], null, s18, v125, s[20:21]
	v_add_co_u32 v125, vcc_lo, v0, 31
	v_add3_u32 v124, v127, v124, v126
	s_delay_alu instid0(VALU_DEP_3) | instskip(SKIP_1) | instid1(VALU_DEP_4)
	v_add3_u32 v122, v127, v122, v126
	v_add_co_ci_u32_e32 v126, vcc_lo, 0, v133, vcc_lo
	v_mul_lo_u32 v129, s19, v125
	v_mad_u64_u32 v[127:128], null, s18, v125, 0
	s_delay_alu instid0(VALU_DEP_3) | instskip(SKIP_1) | instid1(VALU_DEP_1)
	v_mul_lo_u32 v126, s18, v126
	v_add_co_u32 v125, vcc_lo, v0, 30
	v_mul_lo_u32 v131, s19, v125
	s_delay_alu instid0(VALU_DEP_3) | instskip(SKIP_3) | instid1(VALU_DEP_3)
	v_add3_u32 v128, v128, v126, v129
	v_add_co_ci_u32_e32 v126, vcc_lo, 0, v133, vcc_lo
	v_mad_u64_u32 v[129:130], null, s18, v125, 0
	v_add_co_u32 v125, vcc_lo, v0, 29
	v_mul_lo_u32 v126, s18, v126
	v_lshlrev_b64 v[127:128], 1, v[127:128]
	s_delay_alu instid0(VALU_DEP_3) | instskip(NEXT) | instid1(VALU_DEP_3)
	v_mul_lo_u32 v134, s19, v125
	v_add3_u32 v130, v130, v126, v131
	v_add_co_ci_u32_e32 v126, vcc_lo, 0, v133, vcc_lo
	v_mad_u64_u32 v[131:132], null, s18, v125, 0
	v_add_co_u32 v125, vcc_lo, v0, 28
	s_delay_alu instid0(VALU_DEP_3) | instskip(NEXT) | instid1(VALU_DEP_2)
	v_mul_lo_u32 v126, s18, v126
	v_mad_u64_u32 v[139:140], null, s18, v125, 0
	s_delay_alu instid0(VALU_DEP_2) | instskip(SKIP_3) | instid1(VALU_DEP_3)
	v_add3_u32 v132, v132, v126, v134
	v_add_co_ci_u32_e32 v126, vcc_lo, 0, v133, vcc_lo
	v_mul_lo_u32 v134, s19, v125
	v_add_co_u32 v125, vcc_lo, v0, 27
	v_mul_lo_u32 v126, s18, v126
	s_delay_alu instid0(VALU_DEP_2) | instskip(NEXT) | instid1(VALU_DEP_2)
	v_mad_u64_u32 v[141:142], null, s18, v125, 0
	v_add3_u32 v140, v140, v126, v134
	v_add_co_ci_u32_e32 v126, vcc_lo, 0, v133, vcc_lo
	v_mul_lo_u32 v134, s19, v125
	v_add_co_u32 v125, vcc_lo, v0, 26
	s_delay_alu instid0(VALU_DEP_3) | instskip(NEXT) | instid1(VALU_DEP_2)
	v_mul_lo_u32 v126, s18, v126
	v_mad_u64_u32 v[143:144], null, s18, v125, 0
	s_delay_alu instid0(VALU_DEP_2) | instskip(SKIP_3) | instid1(VALU_DEP_3)
	v_add3_u32 v142, v142, v126, v134
	v_add_co_ci_u32_e32 v126, vcc_lo, 0, v133, vcc_lo
	v_mul_lo_u32 v134, s19, v125
	v_add_co_u32 v125, vcc_lo, v0, 25
	v_mul_lo_u32 v126, s18, v126
	s_delay_alu instid0(VALU_DEP_2) | instskip(NEXT) | instid1(VALU_DEP_2)
	v_mad_u64_u32 v[145:146], null, s18, v125, 0
	v_add3_u32 v144, v144, v126, v134
	v_add_co_ci_u32_e32 v126, vcc_lo, 0, v133, vcc_lo
	v_mul_lo_u32 v134, s19, v125
	;; [unrolled: 15-line block ×13, first 2 shown]
	v_add_co_u32 v0, vcc_lo, v0, 2
	s_delay_alu instid0(VALU_DEP_3) | instskip(SKIP_1) | instid1(VALU_DEP_1)
	v_mul_lo_u32 v126, s18, v126
	v_add_co_ci_u32_e32 v125, vcc_lo, 0, v133, vcc_lo
	v_mul_lo_u32 v125, s18, v125
	s_delay_alu instid0(VALU_DEP_3) | instskip(SKIP_2) | instid1(VALU_DEP_1)
	v_add3_u32 v252, v252, v126, v134
	v_mul_lo_u32 v126, s19, v0
	v_mad_u64_u32 v[133:134], null, s18, v0, 0
	v_add3_u32 v134, v134, v125, v126
	v_add_co_u32 v125, vcc_lo, v135, s18
	v_add_co_ci_u32_e32 v126, vcc_lo, s19, v136, vcc_lo
	v_add_co_u32 v135, vcc_lo, s20, v137
	v_add_co_ci_u32_e32 v136, vcc_lo, s21, v138, vcc_lo
	v_add_co_u32 v137, vcc_lo, s22, v137
	v_add_co_ci_u32_e32 v138, vcc_lo, s23, v138, vcc_lo
	v_add_co_u32 v0, vcc_lo, s20, v127
	v_lshlrev_b64 v[125:126], 1, v[125:126]
	scratch_store_b32 off, v0, off offset:4 ; 4-byte Folded Spill
	v_add_co_ci_u32_e32 v0, vcc_lo, s21, v128, vcc_lo
	scratch_store_b32 off, v0, off offset:8 ; 4-byte Folded Spill
	v_add_co_u32 v0, vcc_lo, s22, v127
	scratch_store_b32 off, v0, off offset:12 ; 4-byte Folded Spill
	v_add_co_ci_u32_e32 v0, vcc_lo, s23, v128, vcc_lo
	v_lshlrev_b64 v[127:128], 1, v[129:130]
	scratch_store_b32 off, v0, off offset:16 ; 4-byte Folded Spill
	v_add_co_u32 v0, vcc_lo, s20, v127
	scratch_store_b32 off, v0, off offset:20 ; 4-byte Folded Spill
	v_add_co_ci_u32_e32 v0, vcc_lo, s21, v128, vcc_lo
	scratch_store_b32 off, v0, off offset:24 ; 4-byte Folded Spill
	v_add_co_u32 v0, vcc_lo, s22, v127
	scratch_store_b32 off, v0, off offset:28 ; 4-byte Folded Spill
	v_add_co_ci_u32_e32 v0, vcc_lo, s23, v128, vcc_lo
	v_lshlrev_b64 v[127:128], 1, v[131:132]
	v_mov_b32_e32 v131, 0
	scratch_store_b32 off, v0, off offset:32 ; 4-byte Folded Spill
	v_add_co_u32 v0, vcc_lo, s20, v127
	scratch_store_b32 off, v0, off offset:36 ; 4-byte Folded Spill
	v_add_co_ci_u32_e32 v0, vcc_lo, s21, v128, vcc_lo
	scratch_store_b32 off, v0, off offset:40 ; 4-byte Folded Spill
	v_add_co_u32 v0, vcc_lo, s22, v127
	scratch_store_b32 off, v0, off offset:44 ; 4-byte Folded Spill
	v_add_co_ci_u32_e32 v0, vcc_lo, s23, v128, vcc_lo
	v_lshlrev_b64 v[127:128], 1, v[139:140]
	scratch_store_b32 off, v0, off offset:48 ; 4-byte Folded Spill
	v_add_co_u32 v0, vcc_lo, s20, v127
	scratch_store_b32 off, v0, off offset:52 ; 4-byte Folded Spill
	v_add_co_ci_u32_e32 v0, vcc_lo, s21, v128, vcc_lo
	scratch_store_b32 off, v0, off offset:56 ; 4-byte Folded Spill
	v_add_co_u32 v0, vcc_lo, s22, v127
	scratch_store_b32 off, v0, off offset:60 ; 4-byte Folded Spill
	v_add_co_ci_u32_e32 v0, vcc_lo, s23, v128, vcc_lo
	v_lshlrev_b64 v[127:128], 1, v[141:142]
	;; [unrolled: 9-line block ×4, first 2 shown]
	v_mov_b32_e32 v145, 0
	scratch_store_b32 off, v0, off offset:96 ; 4-byte Folded Spill
	v_add_co_u32 v0, vcc_lo, s20, v127
	scratch_store_b32 off, v0, off offset:100 ; 4-byte Folded Spill
	v_add_co_ci_u32_e32 v0, vcc_lo, s21, v128, vcc_lo
	scratch_store_b32 off, v0, off offset:104 ; 4-byte Folded Spill
	v_add_co_u32 v0, vcc_lo, s22, v127
	scratch_store_b32 off, v0, off offset:108 ; 4-byte Folded Spill
	v_add_co_ci_u32_e32 v0, vcc_lo, s23, v128, vcc_lo
	v_lshlrev_b64 v[127:128], 1, v[147:148]
	scratch_store_b32 off, v0, off offset:112 ; 4-byte Folded Spill
	v_add_co_u32 v0, vcc_lo, s20, v127
	scratch_store_b32 off, v0, off offset:116 ; 4-byte Folded Spill
	v_add_co_ci_u32_e32 v0, vcc_lo, s21, v128, vcc_lo
	scratch_store_b32 off, v0, off offset:120 ; 4-byte Folded Spill
	v_add_co_u32 v0, vcc_lo, s22, v127
	scratch_store_b32 off, v0, off offset:124 ; 4-byte Folded Spill
	v_add_co_ci_u32_e32 v0, vcc_lo, s23, v128, vcc_lo
	v_lshlrev_b64 v[127:128], 1, v[149:150]
	;; [unrolled: 9-line block ×7, first 2 shown]
	scratch_store_b32 off, v0, off offset:208 ; 4-byte Folded Spill
	v_add_co_u32 v191, vcc_lo, s20, v127
	v_add_co_ci_u32_e32 v192, vcc_lo, s21, v128, vcc_lo
	v_add_co_u32 v193, vcc_lo, s22, v127
	v_add_co_ci_u32_e32 v194, vcc_lo, s23, v128, vcc_lo
	v_lshlrev_b64 v[127:128], 1, v[161:162]
	s_delay_alu instid0(VALU_DEP_1) | instskip(NEXT) | instid1(VALU_DEP_2)
	v_add_co_u32 v195, vcc_lo, s20, v127
	v_add_co_ci_u32_e32 v196, vcc_lo, s21, v128, vcc_lo
	v_add_co_u32 v197, vcc_lo, s22, v127
	v_add_co_ci_u32_e32 v198, vcc_lo, s23, v128, vcc_lo
	v_lshlrev_b64 v[127:128], 1, v[163:164]
	s_delay_alu instid0(VALU_DEP_1) | instskip(NEXT) | instid1(VALU_DEP_2)
	;; [unrolled: 6-line block ×16, first 2 shown]
	v_add_co_u32 v255, vcc_lo, s20, v127
	v_add_co_ci_u32_e32 v133, vcc_lo, s21, v128, vcc_lo
	v_add_co_u32 v0, vcc_lo, s22, v127
	v_add_co_ci_u32_e32 v134, vcc_lo, s23, v128, vcc_lo
	v_add_co_u32 v139, vcc_lo, s20, v125
	v_add_co_ci_u32_e32 v140, vcc_lo, s21, v126, vcc_lo
	v_add_co_u32 v141, vcc_lo, s22, v125
	v_and_b32_e32 v125, 0x3ff, v177
	v_add_co_ci_u32_e32 v142, vcc_lo, s23, v126, vcc_lo
	v_mov_b32_e32 v126, 0
	s_mov_b64 s[20:21], 31
	scratch_store_b32 off, v125, off offset:304 ; 4-byte Folded Spill
	v_add_nc_u32_e32 v125, s15, v125
	s_mov_b64 s[22:23], s[6:7]
	v_mov_b32_e32 v143, v126
	s_delay_alu instid0(VALU_DEP_2)
	v_lshlrev_b64 v[127:128], 1, v[125:126]
.LBB74_145:                             ; =>This Inner Loop Header: Depth=1
	scratch_load_b32 v125, off, off         ; 4-byte Folded Reload
	s_add_u32 s24, s6, s20
	s_addc_u32 s25, 0, s21
	scratch_store_b32 off, v131, off offset:212 ; 4-byte Folded Spill
	v_cmp_ge_i64_e64 s7, s[24:25], s[16:17]
	s_waitcnt vmcnt(0)
	v_add_co_u32 v129, vcc_lo, s6, v125
	v_add_co_ci_u32_e32 v130, vcc_lo, 0, v143, vcc_lo
	s_delay_alu instid0(VALU_DEP_3)
	s_and_b32 vcc_lo, exec_lo, s7
	s_cbranch_vccz .LBB74_213
; %bb.146:                              ;   in Loop: Header=BB74_145 Depth=1
	s_load_b32 s7, s[4:5], 0xc
	s_clause 0x1
	scratch_load_b32 v125, off, off offset:300
	scratch_load_b32 v131, off, off offset:304
	v_mov_b32_e32 v180, 0
	v_mov_b32_e32 v146, 0
	s_waitcnt lgkmcnt(0)
	s_and_b32 s7, s7, 0xffff
	s_waitcnt vmcnt(0)
	v_mad_u32_u24 v125, v125, s7, v131
	s_mov_b32 s7, exec_lo
	s_delay_alu instid0(VALU_DEP_1) | instskip(NEXT) | instid1(VALU_DEP_1)
	v_and_b32_e32 v125, 31, v125
	v_add_co_u32 v131, vcc_lo, v129, v125
	v_add_co_ci_u32_e32 v132, vcc_lo, 0, v130, vcc_lo
	v_mov_b32_e32 v125, 0
	s_delay_alu instid0(VALU_DEP_2)
	v_cmpx_gt_i64_e64 s[16:17], v[131:132]
	s_cbranch_execz .LBB74_148
; %bb.147:                              ;   in Loop: Header=BB74_145 Depth=1
	v_lshlrev_b64 v[131:132], 2, v[131:132]
	s_delay_alu instid0(VALU_DEP_1) | instskip(NEXT) | instid1(VALU_DEP_2)
	v_add_co_u32 v146, vcc_lo, s8, v131
	v_add_co_ci_u32_e32 v147, vcc_lo, s9, v132, vcc_lo
	v_add_co_u32 v131, vcc_lo, s10, v131
	v_add_co_ci_u32_e32 v132, vcc_lo, s11, v132, vcc_lo
	global_load_b32 v146, v[146:147], off
	global_load_b32 v125, v[131:132], off
.LBB74_148:                             ;   in Loop: Header=BB74_145 Depth=1
	s_or_b32 exec_lo, exec_lo, s7
	v_mov_b32_e32 v188, 0
	s_mov_b32 s7, exec_lo
	v_cmpx_gt_i64_e64 s[16:17], v[129:130]
	s_cbranch_execz .LBB74_150
; %bb.149:                              ;   in Loop: Header=BB74_145 Depth=1
	v_add_co_u32 v131, vcc_lo, v135, v127
	v_add_co_ci_u32_e32 v132, vcc_lo, v136, v128, vcc_lo
	v_add_co_u32 v147, vcc_lo, v137, v127
	v_add_co_ci_u32_e32 v148, vcc_lo, v138, v128, vcc_lo
	global_load_u16 v131, v[131:132], off
	global_load_u16 v132, v[147:148], off
	s_waitcnt vmcnt(1)
	v_cvt_f32_f16_e64 v180, v131
	s_waitcnt vmcnt(0)
	v_cvt_f32_f16_e64 v188, v132
.LBB74_150:                             ;   in Loop: Header=BB74_145 Depth=1
	s_or_b32 exec_lo, exec_lo, s7
	v_add_co_u32 v131, vcc_lo, v129, 1
	v_add_co_ci_u32_e32 v132, vcc_lo, 0, v130, vcc_lo
	v_mov_b32_e32 v144, 0
	v_mov_b32_e32 v182, 0
	;; [unrolled: 1-line block ×3, first 2 shown]
	s_mov_b32 s7, exec_lo
	v_cmpx_gt_i64_e64 s[16:17], v[131:132]
	s_cbranch_execz .LBB74_152
; %bb.151:                              ;   in Loop: Header=BB74_145 Depth=1
	v_add_co_u32 v131, vcc_lo, v139, v127
	v_add_co_ci_u32_e32 v132, vcc_lo, v140, v128, vcc_lo
	v_add_co_u32 v147, vcc_lo, v141, v127
	v_add_co_ci_u32_e32 v148, vcc_lo, v142, v128, vcc_lo
	global_load_u16 v131, v[131:132], off
	global_load_u16 v132, v[147:148], off
	s_waitcnt vmcnt(1)
	v_cvt_f32_f16_e64 v182, v131
	s_waitcnt vmcnt(0)
	v_cvt_f32_f16_e64 v190, v132
.LBB74_152:                             ;   in Loop: Header=BB74_145 Depth=1
	s_or_b32 exec_lo, exec_lo, s7
	v_add_co_u32 v131, vcc_lo, v129, 2
	v_add_co_ci_u32_e32 v132, vcc_lo, 0, v130, vcc_lo
	s_delay_alu instid0(VALU_DEP_1)
	v_cmp_gt_i64_e32 vcc_lo, s[16:17], v[131:132]
	v_mov_b32_e32 v131, 0
	scratch_store_b32 off, v131, off offset:228 ; 4-byte Folded Spill
	s_and_saveexec_b32 s7, vcc_lo
	s_cbranch_execz .LBB74_154
; %bb.153:                              ;   in Loop: Header=BB74_145 Depth=1
	v_add_co_u32 v131, vcc_lo, v255, v127
	v_add_co_ci_u32_e32 v132, vcc_lo, v133, v128, vcc_lo
	v_add_co_u32 v147, vcc_lo, v0, v127
	v_add_co_ci_u32_e32 v148, vcc_lo, v134, v128, vcc_lo
	global_load_u16 v131, v[131:132], off
	global_load_u16 v132, v[147:148], off
	s_waitcnt vmcnt(1)
	v_cvt_f32_f16_e64 v144, v131
	s_waitcnt vmcnt(0)
	v_cvt_f32_f16_e64 v131, v132
	scratch_store_b32 off, v131, off offset:228 ; 4-byte Folded Spill
.LBB74_154:                             ;   in Loop: Header=BB74_145 Depth=1
	s_or_b32 exec_lo, exec_lo, s7
	v_add_co_u32 v131, vcc_lo, v129, 3
	v_add_co_ci_u32_e32 v132, vcc_lo, 0, v130, vcc_lo
	v_mov_b32_e32 v183, 0
	s_delay_alu instid0(VALU_DEP_2)
	v_cmp_gt_i64_e32 vcc_lo, s[16:17], v[131:132]
	v_mov_b32_e32 v131, 0
	scratch_store_b32 off, v131, off offset:216 ; 4-byte Folded Spill
	v_mov_b32_e32 v131, 0
	scratch_store_b32 off, v131, off offset:232 ; 4-byte Folded Spill
	s_and_saveexec_b32 s7, vcc_lo
	s_cbranch_execz .LBB74_156
; %bb.155:                              ;   in Loop: Header=BB74_145 Depth=1
	v_add_co_u32 v131, vcc_lo, v251, v127
	v_add_co_ci_u32_e32 v132, vcc_lo, v252, v128, vcc_lo
	v_add_co_u32 v147, vcc_lo, v253, v127
	v_add_co_ci_u32_e32 v148, vcc_lo, v254, v128, vcc_lo
	global_load_u16 v131, v[131:132], off
	global_load_u16 v132, v[147:148], off
	s_waitcnt vmcnt(1)
	v_cvt_f32_f16_e64 v131, v131
	scratch_store_b32 off, v131, off offset:216 ; 4-byte Folded Spill
	s_waitcnt vmcnt(0)
	v_cvt_f32_f16_e64 v131, v132
	scratch_store_b32 off, v131, off offset:232 ; 4-byte Folded Spill
.LBB74_156:                             ;   in Loop: Header=BB74_145 Depth=1
	s_or_b32 exec_lo, exec_lo, s7
	v_add_co_u32 v131, vcc_lo, v129, 4
	v_add_co_ci_u32_e32 v132, vcc_lo, 0, v130, vcc_lo
	s_delay_alu instid0(VALU_DEP_1)
	v_cmp_gt_i64_e32 vcc_lo, s[16:17], v[131:132]
	v_mov_b32_e32 v131, 0
	scratch_store_b32 off, v131, off offset:236 ; 4-byte Folded Spill
	s_and_saveexec_b32 s7, vcc_lo
	s_cbranch_execz .LBB74_158
; %bb.157:                              ;   in Loop: Header=BB74_145 Depth=1
	v_add_co_u32 v131, vcc_lo, v247, v127
	v_add_co_ci_u32_e32 v132, vcc_lo, v248, v128, vcc_lo
	v_add_co_u32 v147, vcc_lo, v249, v127
	v_add_co_ci_u32_e32 v148, vcc_lo, v250, v128, vcc_lo
	global_load_u16 v131, v[131:132], off
	global_load_u16 v132, v[147:148], off
	s_waitcnt vmcnt(1)
	v_cvt_f32_f16_e64 v183, v131
	s_waitcnt vmcnt(0)
	v_cvt_f32_f16_e64 v131, v132
	scratch_store_b32 off, v131, off offset:236 ; 4-byte Folded Spill
.LBB74_158:                             ;   in Loop: Header=BB74_145 Depth=1
	s_or_b32 exec_lo, exec_lo, s7
	v_add_co_u32 v131, vcc_lo, v129, 5
	v_add_co_ci_u32_e32 v132, vcc_lo, 0, v130, vcc_lo
	v_dual_mov_b32 v185, 0 :: v_dual_mov_b32 v186, 0
	s_delay_alu instid0(VALU_DEP_2)
	v_cmp_gt_i64_e32 vcc_lo, s[16:17], v[131:132]
	v_mov_b32_e32 v131, 0
	scratch_store_b32 off, v131, off offset:240 ; 4-byte Folded Spill
	s_and_saveexec_b32 s7, vcc_lo
	s_cbranch_execz .LBB74_160
; %bb.159:                              ;   in Loop: Header=BB74_145 Depth=1
	v_add_co_u32 v131, vcc_lo, v243, v127
	v_add_co_ci_u32_e32 v132, vcc_lo, v244, v128, vcc_lo
	v_add_co_u32 v147, vcc_lo, v245, v127
	v_add_co_ci_u32_e32 v148, vcc_lo, v246, v128, vcc_lo
	global_load_u16 v131, v[131:132], off
	global_load_u16 v132, v[147:148], off
	s_waitcnt vmcnt(1)
	v_cvt_f32_f16_e64 v186, v131
	s_waitcnt vmcnt(0)
	v_cvt_f32_f16_e64 v131, v132
	scratch_store_b32 off, v131, off offset:240 ; 4-byte Folded Spill
.LBB74_160:                             ;   in Loop: Header=BB74_145 Depth=1
	s_or_b32 exec_lo, exec_lo, s7
	v_add_co_u32 v131, vcc_lo, v129, 6
	v_add_co_ci_u32_e32 v132, vcc_lo, 0, v130, vcc_lo
	s_delay_alu instid0(VALU_DEP_1)
	v_cmp_gt_i64_e32 vcc_lo, s[16:17], v[131:132]
	v_mov_b32_e32 v131, 0
	scratch_store_b32 off, v131, off offset:244 ; 4-byte Folded Spill
	s_and_saveexec_b32 s7, vcc_lo
	s_cbranch_execz .LBB74_162
; %bb.161:                              ;   in Loop: Header=BB74_145 Depth=1
	v_add_co_u32 v131, vcc_lo, v239, v127
	v_add_co_ci_u32_e32 v132, vcc_lo, v240, v128, vcc_lo
	v_add_co_u32 v147, vcc_lo, v241, v127
	v_add_co_ci_u32_e32 v148, vcc_lo, v242, v128, vcc_lo
	global_load_u16 v131, v[131:132], off
	global_load_u16 v132, v[147:148], off
	s_waitcnt vmcnt(1)
	v_cvt_f32_f16_e64 v185, v131
	s_waitcnt vmcnt(0)
	v_cvt_f32_f16_e64 v131, v132
	scratch_store_b32 off, v131, off offset:244 ; 4-byte Folded Spill
.LBB74_162:                             ;   in Loop: Header=BB74_145 Depth=1
	s_or_b32 exec_lo, exec_lo, s7
	v_add_co_u32 v131, vcc_lo, v129, 7
	v_add_co_ci_u32_e32 v132, vcc_lo, 0, v130, vcc_lo
	v_mov_b32_e32 v147, 0
	v_mov_b32_e32 v187, 0
	s_delay_alu instid0(VALU_DEP_3)
	v_cmp_gt_i64_e32 vcc_lo, s[16:17], v[131:132]
	v_mov_b32_e32 v131, 0
	s_clause 0x1
	scratch_store_b32 off, v147, off offset:220
	scratch_store_b32 off, v131, off offset:248
	s_and_saveexec_b32 s7, vcc_lo
	s_cbranch_execz .LBB74_164
; %bb.163:                              ;   in Loop: Header=BB74_145 Depth=1
	v_add_co_u32 v131, vcc_lo, v235, v127
	v_add_co_ci_u32_e32 v132, vcc_lo, v236, v128, vcc_lo
	v_add_co_u32 v147, vcc_lo, v237, v127
	v_add_co_ci_u32_e32 v148, vcc_lo, v238, v128, vcc_lo
	global_load_u16 v131, v[131:132], off
	global_load_u16 v132, v[147:148], off
	s_waitcnt vmcnt(1)
	v_cvt_f32_f16_e64 v187, v131
	s_waitcnt vmcnt(0)
	v_cvt_f32_f16_e64 v131, v132
	scratch_store_b32 off, v131, off offset:248 ; 4-byte Folded Spill
.LBB74_164:                             ;   in Loop: Header=BB74_145 Depth=1
	s_or_b32 exec_lo, exec_lo, s7
	v_add_co_u32 v131, vcc_lo, v129, 8
	v_add_co_ci_u32_e32 v132, vcc_lo, 0, v130, vcc_lo
	s_delay_alu instid0(VALU_DEP_1)
	v_cmp_gt_i64_e32 vcc_lo, s[16:17], v[131:132]
	v_mov_b32_e32 v131, 0
	scratch_store_b32 off, v131, off offset:252 ; 4-byte Folded Spill
	s_and_saveexec_b32 s7, vcc_lo
	s_cbranch_execz .LBB74_166
; %bb.165:                              ;   in Loop: Header=BB74_145 Depth=1
	v_add_co_u32 v131, vcc_lo, v231, v127
	v_add_co_ci_u32_e32 v132, vcc_lo, v232, v128, vcc_lo
	v_add_co_u32 v147, vcc_lo, v233, v127
	v_add_co_ci_u32_e32 v148, vcc_lo, v234, v128, vcc_lo
	global_load_u16 v131, v[131:132], off
	global_load_u16 v132, v[147:148], off
	s_waitcnt vmcnt(1)
	v_cvt_f32_f16_e64 v131, v131
	scratch_store_b32 off, v131, off offset:220 ; 4-byte Folded Spill
	s_waitcnt vmcnt(0)
	v_cvt_f32_f16_e64 v131, v132
	scratch_store_b32 off, v131, off offset:252 ; 4-byte Folded Spill
.LBB74_166:                             ;   in Loop: Header=BB74_145 Depth=1
	s_or_b32 exec_lo, exec_lo, s7
	v_add_co_u32 v131, vcc_lo, v129, 9
	v_add_co_ci_u32_e32 v132, vcc_lo, 0, v130, vcc_lo
	v_mov_b32_e32 v147, 0
	v_mov_b32_e32 v189, 0
	s_delay_alu instid0(VALU_DEP_3)
	v_cmp_gt_i64_e32 vcc_lo, s[16:17], v[131:132]
	v_mov_b32_e32 v131, 0
	s_clause 0x1
	scratch_store_b32 off, v147, off offset:224
	scratch_store_b32 off, v131, off offset:256
	s_and_saveexec_b32 s7, vcc_lo
	s_cbranch_execz .LBB74_168
; %bb.167:                              ;   in Loop: Header=BB74_145 Depth=1
	v_add_co_u32 v131, vcc_lo, v227, v127
	v_add_co_ci_u32_e32 v132, vcc_lo, v228, v128, vcc_lo
	v_add_co_u32 v147, vcc_lo, v229, v127
	v_add_co_ci_u32_e32 v148, vcc_lo, v230, v128, vcc_lo
	global_load_u16 v131, v[131:132], off
	global_load_u16 v132, v[147:148], off
	s_waitcnt vmcnt(1)
	v_cvt_f32_f16_e64 v189, v131
	s_waitcnt vmcnt(0)
	v_cvt_f32_f16_e64 v131, v132
	scratch_store_b32 off, v131, off offset:256 ; 4-byte Folded Spill
.LBB74_168:                             ;   in Loop: Header=BB74_145 Depth=1
	s_or_b32 exec_lo, exec_lo, s7
	v_add_co_u32 v131, vcc_lo, v129, 10
	v_add_co_ci_u32_e32 v132, vcc_lo, 0, v130, vcc_lo
	s_delay_alu instid0(VALU_DEP_1)
	v_cmp_gt_i64_e32 vcc_lo, s[16:17], v[131:132]
	v_mov_b32_e32 v131, 0
	scratch_store_b32 off, v131, off offset:260 ; 4-byte Folded Spill
	s_and_saveexec_b32 s7, vcc_lo
	s_cbranch_execz .LBB74_170
; %bb.169:                              ;   in Loop: Header=BB74_145 Depth=1
	v_add_co_u32 v131, vcc_lo, v223, v127
	v_add_co_ci_u32_e32 v132, vcc_lo, v224, v128, vcc_lo
	v_add_co_u32 v147, vcc_lo, v225, v127
	v_add_co_ci_u32_e32 v148, vcc_lo, v226, v128, vcc_lo
	global_load_u16 v131, v[131:132], off
	global_load_u16 v132, v[147:148], off
	s_waitcnt vmcnt(1)
	v_cvt_f32_f16_e64 v131, v131
	scratch_store_b32 off, v131, off offset:224 ; 4-byte Folded Spill
	s_waitcnt vmcnt(0)
	v_cvt_f32_f16_e64 v131, v132
	scratch_store_b32 off, v131, off offset:260 ; 4-byte Folded Spill
.LBB74_170:                             ;   in Loop: Header=BB74_145 Depth=1
	s_or_b32 exec_lo, exec_lo, s7
	v_add_co_u32 v147, vcc_lo, v129, 11
	v_add_co_ci_u32_e32 v148, vcc_lo, 0, v130, vcc_lo
	v_dual_mov_b32 v131, 0 :: v_dual_mov_b32 v132, 0
	s_delay_alu instid0(VALU_DEP_2)
	v_cmp_gt_i64_e32 vcc_lo, s[16:17], v[147:148]
	v_mov_b32_e32 v147, 0
	scratch_store_b32 off, v147, off offset:264 ; 4-byte Folded Spill
	s_and_saveexec_b32 s7, vcc_lo
	s_cbranch_execz .LBB74_172
; %bb.171:                              ;   in Loop: Header=BB74_145 Depth=1
	v_add_co_u32 v147, vcc_lo, v219, v127
	v_add_co_ci_u32_e32 v148, vcc_lo, v220, v128, vcc_lo
	v_add_co_u32 v149, vcc_lo, v221, v127
	v_add_co_ci_u32_e32 v150, vcc_lo, v222, v128, vcc_lo
	global_load_u16 v132, v[147:148], off
	global_load_u16 v147, v[149:150], off
	s_waitcnt vmcnt(1)
	v_cvt_f32_f16_e64 v132, v132
	s_waitcnt vmcnt(0)
	v_cvt_f32_f16_e64 v147, v147
	scratch_store_b32 off, v147, off offset:264 ; 4-byte Folded Spill
.LBB74_172:                             ;   in Loop: Header=BB74_145 Depth=1
	s_or_b32 exec_lo, exec_lo, s7
	v_add_co_u32 v147, vcc_lo, v129, 12
	v_add_co_ci_u32_e32 v148, vcc_lo, 0, v130, vcc_lo
	s_delay_alu instid0(VALU_DEP_1)
	v_cmp_gt_i64_e32 vcc_lo, s[16:17], v[147:148]
	v_mov_b32_e32 v147, 0
	scratch_store_b32 off, v147, off offset:268 ; 4-byte Folded Spill
	s_and_saveexec_b32 s7, vcc_lo
	s_cbranch_execz .LBB74_174
; %bb.173:                              ;   in Loop: Header=BB74_145 Depth=1
	v_add_co_u32 v147, vcc_lo, v215, v127
	v_add_co_ci_u32_e32 v148, vcc_lo, v216, v128, vcc_lo
	v_add_co_u32 v149, vcc_lo, v217, v127
	v_add_co_ci_u32_e32 v150, vcc_lo, v218, v128, vcc_lo
	global_load_u16 v131, v[147:148], off
	global_load_u16 v147, v[149:150], off
	s_waitcnt vmcnt(1)
	v_cvt_f32_f16_e64 v131, v131
	s_waitcnt vmcnt(0)
	v_cvt_f32_f16_e64 v147, v147
	scratch_store_b32 off, v147, off offset:268 ; 4-byte Folded Spill
.LBB74_174:                             ;   in Loop: Header=BB74_145 Depth=1
	s_or_b32 exec_lo, exec_lo, s7
	v_add_co_u32 v148, vcc_lo, v129, 13
	v_add_co_ci_u32_e32 v149, vcc_lo, 0, v130, vcc_lo
	v_mov_b32_e32 v147, 0
	s_delay_alu instid0(VALU_DEP_2)
	v_cmp_gt_i64_e32 vcc_lo, s[16:17], v[148:149]
	v_dual_mov_b32 v148, 0 :: v_dual_mov_b32 v149, 0
	scratch_store_b32 off, v149, off offset:272 ; 4-byte Folded Spill
	s_and_saveexec_b32 s7, vcc_lo
	s_cbranch_execz .LBB74_176
; %bb.175:                              ;   in Loop: Header=BB74_145 Depth=1
	v_add_co_u32 v148, vcc_lo, v211, v127
	v_add_co_ci_u32_e32 v149, vcc_lo, v212, v128, vcc_lo
	v_add_co_u32 v150, vcc_lo, v213, v127
	v_add_co_ci_u32_e32 v151, vcc_lo, v214, v128, vcc_lo
	global_load_u16 v148, v[148:149], off
	global_load_u16 v149, v[150:151], off
	s_waitcnt vmcnt(1)
	v_cvt_f32_f16_e64 v148, v148
	s_waitcnt vmcnt(0)
	v_cvt_f32_f16_e64 v149, v149
	scratch_store_b32 off, v149, off offset:272 ; 4-byte Folded Spill
.LBB74_176:                             ;   in Loop: Header=BB74_145 Depth=1
	s_or_b32 exec_lo, exec_lo, s7
	v_add_co_u32 v149, vcc_lo, v129, 14
	v_add_co_ci_u32_e32 v150, vcc_lo, 0, v130, vcc_lo
	s_delay_alu instid0(VALU_DEP_1)
	v_cmp_gt_i64_e32 vcc_lo, s[16:17], v[149:150]
	v_mov_b32_e32 v149, 0
	scratch_store_b32 off, v149, off offset:276 ; 4-byte Folded Spill
	s_and_saveexec_b32 s7, vcc_lo
	s_cbranch_execz .LBB74_178
; %bb.177:                              ;   in Loop: Header=BB74_145 Depth=1
	v_add_co_u32 v149, vcc_lo, v207, v127
	v_add_co_ci_u32_e32 v150, vcc_lo, v208, v128, vcc_lo
	v_add_co_u32 v151, vcc_lo, v209, v127
	v_add_co_ci_u32_e32 v152, vcc_lo, v210, v128, vcc_lo
	global_load_u16 v147, v[149:150], off
	global_load_u16 v149, v[151:152], off
	s_waitcnt vmcnt(1)
	v_cvt_f32_f16_e64 v147, v147
	s_waitcnt vmcnt(0)
	v_cvt_f32_f16_e64 v149, v149
	scratch_store_b32 off, v149, off offset:276 ; 4-byte Folded Spill
.LBB74_178:                             ;   in Loop: Header=BB74_145 Depth=1
	s_or_b32 exec_lo, exec_lo, s7
	v_add_co_u32 v150, vcc_lo, v129, 15
	v_add_co_ci_u32_e32 v151, vcc_lo, 0, v130, vcc_lo
	v_mov_b32_e32 v149, 0
	s_delay_alu instid0(VALU_DEP_2)
	v_cmp_gt_i64_e32 vcc_lo, s[16:17], v[150:151]
	v_dual_mov_b32 v150, 0 :: v_dual_mov_b32 v151, 0
	scratch_store_b32 off, v151, off offset:280 ; 4-byte Folded Spill
	s_and_saveexec_b32 s7, vcc_lo
	s_cbranch_execz .LBB74_180
; %bb.179:                              ;   in Loop: Header=BB74_145 Depth=1
	v_add_co_u32 v150, vcc_lo, v203, v127
	v_add_co_ci_u32_e32 v151, vcc_lo, v204, v128, vcc_lo
	v_add_co_u32 v152, vcc_lo, v205, v127
	v_add_co_ci_u32_e32 v153, vcc_lo, v206, v128, vcc_lo
	global_load_u16 v150, v[150:151], off
	global_load_u16 v151, v[152:153], off
	s_waitcnt vmcnt(1)
	v_cvt_f32_f16_e64 v150, v150
	s_waitcnt vmcnt(0)
	v_cvt_f32_f16_e64 v151, v151
	scratch_store_b32 off, v151, off offset:280 ; 4-byte Folded Spill
.LBB74_180:                             ;   in Loop: Header=BB74_145 Depth=1
	s_or_b32 exec_lo, exec_lo, s7
	v_add_co_u32 v151, vcc_lo, v129, 16
	v_add_co_ci_u32_e32 v152, vcc_lo, 0, v130, vcc_lo
	s_delay_alu instid0(VALU_DEP_1)
	v_cmp_gt_i64_e32 vcc_lo, s[16:17], v[151:152]
	v_mov_b32_e32 v151, 0
	scratch_store_b32 off, v151, off offset:288 ; 4-byte Folded Spill
	s_and_saveexec_b32 s7, vcc_lo
	s_cbranch_execz .LBB74_182
; %bb.181:                              ;   in Loop: Header=BB74_145 Depth=1
	v_add_co_u32 v151, vcc_lo, v199, v127
	v_add_co_ci_u32_e32 v152, vcc_lo, v200, v128, vcc_lo
	v_add_co_u32 v153, vcc_lo, v201, v127
	v_add_co_ci_u32_e32 v154, vcc_lo, v202, v128, vcc_lo
	global_load_u16 v149, v[151:152], off
	global_load_u16 v151, v[153:154], off
	s_waitcnt vmcnt(1)
	v_cvt_f32_f16_e64 v149, v149
	s_waitcnt vmcnt(0)
	v_cvt_f32_f16_e64 v151, v151
	scratch_store_b32 off, v151, off offset:288 ; 4-byte Folded Spill
.LBB74_182:                             ;   in Loop: Header=BB74_145 Depth=1
	s_or_b32 exec_lo, exec_lo, s7
	v_add_co_u32 v152, vcc_lo, v129, 17
	v_add_co_ci_u32_e32 v153, vcc_lo, 0, v130, vcc_lo
	v_mov_b32_e32 v151, 0
	s_delay_alu instid0(VALU_DEP_2)
	v_cmp_gt_i64_e32 vcc_lo, s[16:17], v[152:153]
	v_dual_mov_b32 v152, 0 :: v_dual_mov_b32 v153, 0
	scratch_store_b32 off, v153, off offset:296 ; 4-byte Folded Spill
	s_and_saveexec_b32 s7, vcc_lo
	s_cbranch_execz .LBB74_184
; %bb.183:                              ;   in Loop: Header=BB74_145 Depth=1
	v_add_co_u32 v152, vcc_lo, v195, v127
	v_add_co_ci_u32_e32 v153, vcc_lo, v196, v128, vcc_lo
	v_add_co_u32 v154, vcc_lo, v197, v127
	v_add_co_ci_u32_e32 v155, vcc_lo, v198, v128, vcc_lo
	global_load_u16 v152, v[152:153], off
	global_load_u16 v153, v[154:155], off
	s_waitcnt vmcnt(1)
	v_cvt_f32_f16_e64 v152, v152
	s_waitcnt vmcnt(0)
	v_cvt_f32_f16_e64 v153, v153
	scratch_store_b32 off, v153, off offset:296 ; 4-byte Folded Spill
.LBB74_184:                             ;   in Loop: Header=BB74_145 Depth=1
	s_or_b32 exec_lo, exec_lo, s7
	v_add_co_u32 v153, vcc_lo, v129, 18
	v_add_co_ci_u32_e32 v154, vcc_lo, 0, v130, vcc_lo
	s_delay_alu instid0(VALU_DEP_1)
	v_cmp_gt_i64_e32 vcc_lo, s[16:17], v[153:154]
	v_mov_b32_e32 v153, 0
	scratch_store_b32 off, v153, off offset:284 ; 4-byte Folded Spill
	s_and_saveexec_b32 s7, vcc_lo
	s_cbranch_execz .LBB74_186
; %bb.185:                              ;   in Loop: Header=BB74_145 Depth=1
	v_add_co_u32 v153, vcc_lo, v191, v127
	v_add_co_ci_u32_e32 v154, vcc_lo, v192, v128, vcc_lo
	v_add_co_u32 v155, vcc_lo, v193, v127
	v_add_co_ci_u32_e32 v156, vcc_lo, v194, v128, vcc_lo
	global_load_u16 v151, v[153:154], off
	global_load_u16 v153, v[155:156], off
	s_waitcnt vmcnt(1)
	v_cvt_f32_f16_e64 v151, v151
	s_waitcnt vmcnt(0)
	v_cvt_f32_f16_e64 v153, v153
	scratch_store_b32 off, v153, off offset:284 ; 4-byte Folded Spill
.LBB74_186:                             ;   in Loop: Header=BB74_145 Depth=1
	s_or_b32 exec_lo, exec_lo, s7
	v_add_co_u32 v154, vcc_lo, v129, 19
	v_add_co_ci_u32_e32 v155, vcc_lo, 0, v130, vcc_lo
	v_mov_b32_e32 v153, 0
	s_delay_alu instid0(VALU_DEP_2)
	v_cmp_gt_i64_e32 vcc_lo, s[16:17], v[154:155]
	v_dual_mov_b32 v154, 0 :: v_dual_mov_b32 v155, 0
	scratch_store_b32 off, v155, off offset:292 ; 4-byte Folded Spill
	s_and_saveexec_b32 s7, vcc_lo
	s_cbranch_execz .LBB74_188
; %bb.187:                              ;   in Loop: Header=BB74_145 Depth=1
	s_clause 0x3
	scratch_load_b32 v154, off, off offset:196
	scratch_load_b32 v155, off, off offset:200
	;; [unrolled: 1-line block ×4, first 2 shown]
	s_waitcnt vmcnt(3)
	v_add_co_u32 v154, vcc_lo, v154, v127
	s_waitcnt vmcnt(2)
	v_add_co_ci_u32_e32 v155, vcc_lo, v155, v128, vcc_lo
	s_waitcnt vmcnt(1)
	v_add_co_u32 v156, vcc_lo, v156, v127
	s_waitcnt vmcnt(0)
	v_add_co_ci_u32_e32 v157, vcc_lo, v157, v128, vcc_lo
	global_load_u16 v154, v[154:155], off
	global_load_u16 v155, v[156:157], off
	s_waitcnt vmcnt(1)
	v_cvt_f32_f16_e64 v154, v154
	s_waitcnt vmcnt(0)
	v_cvt_f32_f16_e64 v155, v155
	scratch_store_b32 off, v155, off offset:292 ; 4-byte Folded Spill
.LBB74_188:                             ;   in Loop: Header=BB74_145 Depth=1
	s_or_b32 exec_lo, exec_lo, s7
	v_add_co_u32 v155, vcc_lo, v129, 20
	v_add_co_ci_u32_e32 v156, vcc_lo, 0, v130, vcc_lo
	v_mov_b32_e32 v158, 0
	s_mov_b32 s7, exec_lo
	s_delay_alu instid0(VALU_DEP_2)
	v_cmpx_gt_i64_e64 s[16:17], v[155:156]
	s_cbranch_execz .LBB74_190
; %bb.189:                              ;   in Loop: Header=BB74_145 Depth=1
	scratch_load_b32 v153, off, off offset:180 ; 4-byte Folded Reload
	s_waitcnt vmcnt(0)
	v_add_co_u32 v155, vcc_lo, v153, v127
	scratch_load_b32 v153, off, off offset:184 ; 4-byte Folded Reload
	s_waitcnt vmcnt(0)
	v_add_co_ci_u32_e32 v156, vcc_lo, v153, v128, vcc_lo
	scratch_load_b32 v153, off, off offset:188 ; 4-byte Folded Reload
	s_waitcnt vmcnt(0)
	v_add_co_u32 v157, vcc_lo, v153, v127
	scratch_load_b32 v153, off, off offset:192 ; 4-byte Folded Reload
	s_waitcnt vmcnt(0)
	v_add_co_ci_u32_e32 v158, vcc_lo, v153, v128, vcc_lo
	global_load_u16 v153, v[155:156], off
	global_load_u16 v155, v[157:158], off
	s_waitcnt vmcnt(1)
	v_cvt_f32_f16_e64 v153, v153
	s_waitcnt vmcnt(0)
	v_cvt_f32_f16_e64 v158, v155
.LBB74_190:                             ;   in Loop: Header=BB74_145 Depth=1
	s_or_b32 exec_lo, exec_lo, s7
	v_add_co_u32 v159, vcc_lo, v129, 21
	v_add_co_ci_u32_e32 v160, vcc_lo, 0, v130, vcc_lo
	v_dual_mov_b32 v156, 0 :: v_dual_mov_b32 v157, 0
	s_delay_alu instid0(VALU_DEP_2)
	v_cmp_gt_i64_e32 vcc_lo, s[16:17], v[159:160]
	v_mov_b32_e32 v159, 0
	s_and_saveexec_b32 s7, vcc_lo
	s_cbranch_execz .LBB74_192
; %bb.191:                              ;   in Loop: Header=BB74_145 Depth=1
	scratch_load_b32 v155, off, off offset:164 ; 4-byte Folded Reload
	s_waitcnt vmcnt(0)
	v_add_co_u32 v159, vcc_lo, v155, v127
	scratch_load_b32 v155, off, off offset:168 ; 4-byte Folded Reload
	s_waitcnt vmcnt(0)
	v_add_co_ci_u32_e32 v160, vcc_lo, v155, v128, vcc_lo
	scratch_load_b32 v155, off, off offset:172 ; 4-byte Folded Reload
	s_waitcnt vmcnt(0)
	v_add_co_u32 v161, vcc_lo, v155, v127
	scratch_load_b32 v155, off, off offset:176 ; 4-byte Folded Reload
	s_waitcnt vmcnt(0)
	v_add_co_ci_u32_e32 v162, vcc_lo, v155, v128, vcc_lo
	global_load_u16 v155, v[159:160], off
	global_load_u16 v159, v[161:162], off
	s_waitcnt vmcnt(1)
	v_cvt_f32_f16_e64 v157, v155
	s_waitcnt vmcnt(0)
	v_cvt_f32_f16_e64 v159, v159
.LBB74_192:                             ;   in Loop: Header=BB74_145 Depth=1
	s_or_b32 exec_lo, exec_lo, s7
	v_add_co_u32 v160, vcc_lo, v129, 22
	v_add_co_ci_u32_e32 v161, vcc_lo, 0, v130, vcc_lo
	v_mov_b32_e32 v162, 0
	s_mov_b32 s7, exec_lo
	s_delay_alu instid0(VALU_DEP_2)
	v_cmpx_gt_i64_e64 s[16:17], v[160:161]
	s_cbranch_execz .LBB74_194
; %bb.193:                              ;   in Loop: Header=BB74_145 Depth=1
	s_clause 0x3
	scratch_load_b32 v155, off, off offset:148
	scratch_load_b32 v156, off, off offset:152
	;; [unrolled: 1-line block ×4, first 2 shown]
	s_waitcnt vmcnt(3)
	v_add_co_u32 v155, vcc_lo, v155, v127
	s_waitcnt vmcnt(2)
	v_add_co_ci_u32_e32 v156, vcc_lo, v156, v128, vcc_lo
	s_waitcnt vmcnt(1)
	v_add_co_u32 v160, vcc_lo, v160, v127
	s_waitcnt vmcnt(0)
	v_add_co_ci_u32_e32 v161, vcc_lo, v161, v128, vcc_lo
	global_load_u16 v155, v[155:156], off
	global_load_u16 v160, v[160:161], off
	s_waitcnt vmcnt(1)
	v_cvt_f32_f16_e64 v156, v155
	s_waitcnt vmcnt(0)
	v_cvt_f32_f16_e64 v162, v160
.LBB74_194:                             ;   in Loop: Header=BB74_145 Depth=1
	s_or_b32 exec_lo, exec_lo, s7
	v_add_co_u32 v163, vcc_lo, v129, 23
	v_add_co_ci_u32_e32 v164, vcc_lo, 0, v130, vcc_lo
	v_dual_mov_b32 v160, 0 :: v_dual_mov_b32 v161, 0
	s_delay_alu instid0(VALU_DEP_2)
	v_cmp_gt_i64_e32 vcc_lo, s[16:17], v[163:164]
	v_mov_b32_e32 v164, 0
	s_and_saveexec_b32 s7, vcc_lo
	s_cbranch_execz .LBB74_196
; %bb.195:                              ;   in Loop: Header=BB74_145 Depth=1
	scratch_load_b32 v155, off, off offset:132 ; 4-byte Folded Reload
	s_waitcnt vmcnt(0)
	v_add_co_u32 v163, vcc_lo, v155, v127
	scratch_load_b32 v155, off, off offset:136 ; 4-byte Folded Reload
	s_waitcnt vmcnt(0)
	v_add_co_ci_u32_e32 v164, vcc_lo, v155, v128, vcc_lo
	scratch_load_b32 v155, off, off offset:140 ; 4-byte Folded Reload
	s_waitcnt vmcnt(0)
	v_add_co_u32 v165, vcc_lo, v155, v127
	scratch_load_b32 v155, off, off offset:144 ; 4-byte Folded Reload
	s_waitcnt vmcnt(0)
	v_add_co_ci_u32_e32 v166, vcc_lo, v155, v128, vcc_lo
	global_load_u16 v155, v[163:164], off
	global_load_u16 v163, v[165:166], off
	s_waitcnt vmcnt(1)
	v_cvt_f32_f16_e64 v161, v155
	s_waitcnt vmcnt(0)
	v_cvt_f32_f16_e64 v164, v163
.LBB74_196:                             ;   in Loop: Header=BB74_145 Depth=1
	s_or_b32 exec_lo, exec_lo, s7
	v_add_co_u32 v165, vcc_lo, v129, 24
	v_add_co_ci_u32_e32 v166, vcc_lo, 0, v130, vcc_lo
	s_delay_alu instid0(VALU_DEP_1)
	v_cmp_gt_i64_e32 vcc_lo, s[16:17], v[165:166]
	v_mov_b32_e32 v166, 0
	s_and_saveexec_b32 s7, vcc_lo
	s_cbranch_execz .LBB74_198
; %bb.197:                              ;   in Loop: Header=BB74_145 Depth=1
	scratch_load_b32 v155, off, off offset:116 ; 4-byte Folded Reload
	s_waitcnt vmcnt(0)
	v_add_co_u32 v165, vcc_lo, v155, v127
	scratch_load_b32 v155, off, off offset:120 ; 4-byte Folded Reload
	s_waitcnt vmcnt(0)
	v_add_co_ci_u32_e32 v166, vcc_lo, v155, v128, vcc_lo
	scratch_load_b32 v155, off, off offset:124 ; 4-byte Folded Reload
	s_waitcnt vmcnt(0)
	v_add_co_u32 v167, vcc_lo, v155, v127
	scratch_load_b32 v155, off, off offset:128 ; 4-byte Folded Reload
	s_waitcnt vmcnt(0)
	v_add_co_ci_u32_e32 v168, vcc_lo, v155, v128, vcc_lo
	global_load_u16 v155, v[165:166], off
	global_load_u16 v163, v[167:168], off
	s_waitcnt vmcnt(1)
	v_cvt_f32_f16_e64 v160, v155
	s_waitcnt vmcnt(0)
	v_cvt_f32_f16_e64 v166, v163
.LBB74_198:                             ;   in Loop: Header=BB74_145 Depth=1
	s_or_b32 exec_lo, exec_lo, s7
	v_add_co_u32 v167, vcc_lo, v129, 25
	v_add_co_ci_u32_e32 v168, vcc_lo, 0, v130, vcc_lo
	v_mov_b32_e32 v163, 0
	v_mov_b32_e32 v165, 0
	s_delay_alu instid0(VALU_DEP_3)
	v_cmp_gt_i64_e32 vcc_lo, s[16:17], v[167:168]
	v_mov_b32_e32 v167, 0
	s_and_saveexec_b32 s7, vcc_lo
	s_cbranch_execz .LBB74_200
; %bb.199:                              ;   in Loop: Header=BB74_145 Depth=1
	scratch_load_b32 v155, off, off offset:100 ; 4-byte Folded Reload
	s_waitcnt vmcnt(0)
	v_add_co_u32 v167, vcc_lo, v155, v127
	scratch_load_b32 v155, off, off offset:104 ; 4-byte Folded Reload
	s_waitcnt vmcnt(0)
	v_add_co_ci_u32_e32 v168, vcc_lo, v155, v128, vcc_lo
	scratch_load_b32 v155, off, off offset:108 ; 4-byte Folded Reload
	s_waitcnt vmcnt(0)
	v_add_co_u32 v169, vcc_lo, v155, v127
	scratch_load_b32 v155, off, off offset:112 ; 4-byte Folded Reload
	s_waitcnt vmcnt(0)
	v_add_co_ci_u32_e32 v170, vcc_lo, v155, v128, vcc_lo
	global_load_u16 v155, v[167:168], off
	global_load_u16 v167, v[169:170], off
	s_waitcnt vmcnt(1)
	v_cvt_f32_f16_e64 v165, v155
	s_waitcnt vmcnt(0)
	v_cvt_f32_f16_e64 v167, v167
.LBB74_200:                             ;   in Loop: Header=BB74_145 Depth=1
	s_or_b32 exec_lo, exec_lo, s7
	v_add_co_u32 v168, vcc_lo, v129, 26
	v_add_co_ci_u32_e32 v169, vcc_lo, 0, v130, vcc_lo
	v_mov_b32_e32 v170, 0
	s_mov_b32 s7, exec_lo
	s_delay_alu instid0(VALU_DEP_2)
	v_cmpx_gt_i64_e64 s[16:17], v[168:169]
	s_cbranch_execz .LBB74_202
; %bb.201:                              ;   in Loop: Header=BB74_145 Depth=1
	scratch_load_b32 v155, off, off offset:84 ; 4-byte Folded Reload
	s_waitcnt vmcnt(0)
	v_add_co_u32 v168, vcc_lo, v155, v127
	scratch_load_b32 v155, off, off offset:88 ; 4-byte Folded Reload
	s_waitcnt vmcnt(0)
	v_add_co_ci_u32_e32 v169, vcc_lo, v155, v128, vcc_lo
	scratch_load_b32 v155, off, off offset:92 ; 4-byte Folded Reload
	s_waitcnt vmcnt(0)
	v_add_co_u32 v170, vcc_lo, v155, v127
	scratch_load_b32 v155, off, off offset:96 ; 4-byte Folded Reload
	s_waitcnt vmcnt(0)
	v_add_co_ci_u32_e32 v171, vcc_lo, v155, v128, vcc_lo
	global_load_u16 v155, v[168:169], off
	global_load_u16 v168, v[170:171], off
	s_waitcnt vmcnt(1)
	v_cvt_f32_f16_e64 v163, v155
	s_waitcnt vmcnt(0)
	v_cvt_f32_f16_e64 v170, v168
.LBB74_202:                             ;   in Loop: Header=BB74_145 Depth=1
	s_or_b32 exec_lo, exec_lo, s7
	v_add_co_u32 v171, vcc_lo, v129, 27
	v_add_co_ci_u32_e32 v172, vcc_lo, 0, v130, vcc_lo
	v_dual_mov_b32 v168, 0 :: v_dual_mov_b32 v169, 0
	s_delay_alu instid0(VALU_DEP_2)
	v_cmp_gt_i64_e32 vcc_lo, s[16:17], v[171:172]
	v_mov_b32_e32 v171, 0
	s_and_saveexec_b32 s7, vcc_lo
	s_cbranch_execz .LBB74_204
; %bb.203:                              ;   in Loop: Header=BB74_145 Depth=1
	scratch_load_b32 v155, off, off offset:68 ; 4-byte Folded Reload
	s_waitcnt vmcnt(0)
	v_add_co_u32 v171, vcc_lo, v155, v127
	scratch_load_b32 v155, off, off offset:72 ; 4-byte Folded Reload
	s_waitcnt vmcnt(0)
	v_add_co_ci_u32_e32 v172, vcc_lo, v155, v128, vcc_lo
	scratch_load_b32 v155, off, off offset:76 ; 4-byte Folded Reload
	s_waitcnt vmcnt(0)
	v_add_co_u32 v173, vcc_lo, v155, v127
	scratch_load_b32 v155, off, off offset:80 ; 4-byte Folded Reload
	s_waitcnt vmcnt(0)
	v_add_co_ci_u32_e32 v174, vcc_lo, v155, v128, vcc_lo
	global_load_u16 v155, v[171:172], off
	global_load_u16 v171, v[173:174], off
	s_waitcnt vmcnt(1)
	v_cvt_f32_f16_e64 v169, v155
	s_waitcnt vmcnt(0)
	v_cvt_f32_f16_e64 v171, v171
.LBB74_204:                             ;   in Loop: Header=BB74_145 Depth=1
	s_or_b32 exec_lo, exec_lo, s7
	v_add_co_u32 v172, vcc_lo, v129, 28
	v_add_co_ci_u32_e32 v173, vcc_lo, 0, v130, vcc_lo
	s_delay_alu instid0(VALU_DEP_1)
	v_cmp_gt_i64_e32 vcc_lo, s[16:17], v[172:173]
	v_mov_b32_e32 v172, 0
	s_and_saveexec_b32 s7, vcc_lo
	s_cbranch_execz .LBB74_206
; %bb.205:                              ;   in Loop: Header=BB74_145 Depth=1
	scratch_load_b32 v155, off, off offset:52 ; 4-byte Folded Reload
	s_waitcnt vmcnt(0)
	v_add_co_u32 v172, vcc_lo, v155, v127
	scratch_load_b32 v155, off, off offset:56 ; 4-byte Folded Reload
	s_waitcnt vmcnt(0)
	v_add_co_ci_u32_e32 v173, vcc_lo, v155, v128, vcc_lo
	scratch_load_b32 v155, off, off offset:60 ; 4-byte Folded Reload
	s_waitcnt vmcnt(0)
	v_add_co_u32 v174, vcc_lo, v155, v127
	scratch_load_b32 v155, off, off offset:64 ; 4-byte Folded Reload
	s_waitcnt vmcnt(0)
	v_add_co_ci_u32_e32 v175, vcc_lo, v155, v128, vcc_lo
	global_load_u16 v155, v[172:173], off
	global_load_u16 v172, v[174:175], off
	s_waitcnt vmcnt(1)
	v_cvt_f32_f16_e64 v168, v155
	s_waitcnt vmcnt(0)
	v_cvt_f32_f16_e64 v172, v172
.LBB74_206:                             ;   in Loop: Header=BB74_145 Depth=1
	s_or_b32 exec_lo, exec_lo, s7
	v_add_co_u32 v174, vcc_lo, v129, 29
	v_add_co_ci_u32_e32 v175, vcc_lo, 0, v130, vcc_lo
	v_mov_b32_e32 v173, 0
	s_delay_alu instid0(VALU_DEP_2)
	v_cmp_gt_i64_e32 vcc_lo, s[16:17], v[174:175]
	v_dual_mov_b32 v174, 0 :: v_dual_mov_b32 v175, 0
	s_and_saveexec_b32 s7, vcc_lo
	s_cbranch_execz .LBB74_208
; %bb.207:                              ;   in Loop: Header=BB74_145 Depth=1
	scratch_load_b32 v155, off, off offset:36 ; 4-byte Folded Reload
	s_waitcnt vmcnt(0)
	v_add_co_u32 v174, vcc_lo, v155, v127
	scratch_load_b32 v155, off, off offset:40 ; 4-byte Folded Reload
	s_waitcnt vmcnt(0)
	v_add_co_ci_u32_e32 v175, vcc_lo, v155, v128, vcc_lo
	scratch_load_b32 v155, off, off offset:44 ; 4-byte Folded Reload
	s_waitcnt vmcnt(0)
	v_add_co_u32 v176, vcc_lo, v155, v127
	scratch_load_b32 v155, off, off offset:48 ; 4-byte Folded Reload
	s_waitcnt vmcnt(0)
	v_add_co_ci_u32_e32 v177, vcc_lo, v155, v128, vcc_lo
	global_load_u16 v155, v[174:175], off
	global_load_u16 v175, v[176:177], off
	s_waitcnt vmcnt(1)
	v_cvt_f32_f16_e64 v174, v155
	s_waitcnt vmcnt(0)
	v_cvt_f32_f16_e64 v175, v175
.LBB74_208:                             ;   in Loop: Header=BB74_145 Depth=1
	s_or_b32 exec_lo, exec_lo, s7
	v_add_co_u32 v176, vcc_lo, v129, 30
	v_add_co_ci_u32_e32 v177, vcc_lo, 0, v130, vcc_lo
	s_delay_alu instid0(VALU_DEP_1)
	v_cmp_gt_i64_e32 vcc_lo, s[16:17], v[176:177]
	v_mov_b32_e32 v176, 0
	s_and_saveexec_b32 s7, vcc_lo
	s_cbranch_execz .LBB74_210
; %bb.209:                              ;   in Loop: Header=BB74_145 Depth=1
	scratch_load_b32 v155, off, off offset:20 ; 4-byte Folded Reload
	s_waitcnt vmcnt(0)
	v_add_co_u32 v176, vcc_lo, v155, v127
	scratch_load_b32 v155, off, off offset:24 ; 4-byte Folded Reload
	s_waitcnt vmcnt(0)
	v_add_co_ci_u32_e32 v177, vcc_lo, v155, v128, vcc_lo
	scratch_load_b32 v155, off, off offset:28 ; 4-byte Folded Reload
	s_waitcnt vmcnt(0)
	v_add_co_u32 v178, vcc_lo, v155, v127
	scratch_load_b32 v155, off, off offset:32 ; 4-byte Folded Reload
	s_waitcnt vmcnt(0)
	v_add_co_ci_u32_e32 v179, vcc_lo, v155, v128, vcc_lo
	global_load_u16 v155, v[176:177], off
	global_load_u16 v176, v[178:179], off
	s_waitcnt vmcnt(1)
	v_cvt_f32_f16_e64 v173, v155
	s_waitcnt vmcnt(0)
	v_cvt_f32_f16_e64 v176, v176
.LBB74_210:                             ;   in Loop: Header=BB74_145 Depth=1
	s_or_b32 exec_lo, exec_lo, s7
	v_add_co_u32 v177, vcc_lo, v129, 31
	v_add_co_ci_u32_e32 v178, vcc_lo, 0, v130, vcc_lo
	v_mov_b32_e32 v181, v144
	v_mov_b32_e32 v155, 0
	s_mov_b32 s7, 0
	s_delay_alu instid0(VALU_DEP_3)
	v_cmp_gt_i64_e32 vcc_lo, s[16:17], v[177:178]
	v_mov_b32_e32 v177, 0
	s_and_saveexec_b32 s15, vcc_lo
	s_cbranch_execz .LBB74_212
; %bb.211:                              ;   in Loop: Header=BB74_145 Depth=1
	scratch_load_b32 v155, off, off offset:4 ; 4-byte Folded Reload
	v_mov_b32_e32 v144, v180
	s_waitcnt vmcnt(0)
	v_add_co_u32 v177, vcc_lo, v155, v127
	scratch_load_b32 v155, off, off offset:8 ; 4-byte Folded Reload
	s_waitcnt vmcnt(0)
	v_add_co_ci_u32_e32 v178, vcc_lo, v155, v128, vcc_lo
	scratch_load_b32 v155, off, off offset:12 ; 4-byte Folded Reload
	s_waitcnt vmcnt(0)
	v_add_co_u32 v179, vcc_lo, v155, v127
	scratch_load_b32 v155, off, off offset:16 ; 4-byte Folded Reload
	s_waitcnt vmcnt(0)
	v_add_co_ci_u32_e32 v180, vcc_lo, v155, v128, vcc_lo
	global_load_u16 v155, v[177:178], off
	global_load_u16 v177, v[179:180], off
	v_mov_b32_e32 v180, v144
	s_waitcnt vmcnt(1)
	v_cvt_f32_f16_e64 v155, v155
	s_waitcnt vmcnt(0)
	v_cvt_f32_f16_e64 v177, v177
.LBB74_212:                             ;   in Loop: Header=BB74_145 Depth=1
	s_or_b32 exec_lo, exec_lo, s15
	s_waitcnt vmcnt(1)
	ds_bpermute_b32 v178, v126, v146
	ds_bpermute_b32 v179, v126, v146 offset:4
	v_mov_b32_e32 v184, v180
	scratch_load_b32 v180, off, off offset:216 ; 4-byte Folded Reload
	s_waitcnt lgkmcnt(0)
	v_dual_sub_f32 v178, v188, v178 :: v_dual_sub_f32 v179, v190, v179
	v_mov_b32_e32 v188, v187
	v_mov_b32_e32 v190, v189
	s_delay_alu instid0(VALU_DEP_3)
	v_mul_f32_e32 v144, v184, v178
	s_waitcnt vmcnt(1)
	ds_bpermute_b32 v178, v126, v125
	s_waitcnt lgkmcnt(0)
	v_fma_f32 v144, v144, v178, v145
	v_mul_f32_e32 v178, v182, v179
	ds_bpermute_b32 v179, v126, v125 offset:4
	s_waitcnt lgkmcnt(0)
	v_fmac_f32_e32 v144, v178, v179
	scratch_load_b32 v179, off, off offset:228 ; 4-byte Folded Reload
	ds_bpermute_b32 v178, v126, v146 offset:8
	s_waitcnt vmcnt(0) lgkmcnt(0)
	v_sub_f32_e32 v178, v179, v178
	ds_bpermute_b32 v179, v126, v125 offset:8
	v_mul_f32_e32 v178, v181, v178
	s_waitcnt lgkmcnt(0)
	s_delay_alu instid0(VALU_DEP_1)
	v_fmac_f32_e32 v144, v178, v179
	scratch_load_b32 v179, off, off offset:232 ; 4-byte Folded Reload
	ds_bpermute_b32 v178, v126, v146 offset:12
	s_waitcnt vmcnt(0) lgkmcnt(0)
	v_sub_f32_e32 v178, v179, v178
	ds_bpermute_b32 v179, v126, v125 offset:12
	v_mul_f32_e32 v178, v180, v178
	s_waitcnt lgkmcnt(0)
	s_delay_alu instid0(VALU_DEP_1)
	;; [unrolled: 9-line block ×5, first 2 shown]
	v_fmac_f32_e32 v144, v178, v179
	scratch_load_b32 v179, off, off offset:248 ; 4-byte Folded Reload
	ds_bpermute_b32 v178, v126, v146 offset:28
	s_waitcnt vmcnt(0) lgkmcnt(0)
	v_sub_f32_e32 v178, v179, v178
	ds_bpermute_b32 v179, v126, v125 offset:28
	v_mul_f32_e32 v178, v187, v178
	scratch_load_b32 v187, off, off offset:220 ; 4-byte Folded Reload
	s_waitcnt lgkmcnt(0)
	v_fmac_f32_e32 v144, v178, v179
	scratch_load_b32 v179, off, off offset:252 ; 4-byte Folded Reload
	ds_bpermute_b32 v178, v126, v146 offset:32
	s_waitcnt vmcnt(0) lgkmcnt(0)
	v_sub_f32_e32 v178, v179, v178
	ds_bpermute_b32 v179, v126, v125 offset:32
	v_mul_f32_e32 v178, v187, v178
	s_waitcnt lgkmcnt(0)
	s_delay_alu instid0(VALU_DEP_1)
	v_fmac_f32_e32 v144, v178, v179
	scratch_load_b32 v179, off, off offset:256 ; 4-byte Folded Reload
	ds_bpermute_b32 v178, v126, v146 offset:36
	s_waitcnt vmcnt(0) lgkmcnt(0)
	v_sub_f32_e32 v178, v179, v178
	ds_bpermute_b32 v179, v126, v125 offset:36
	v_mul_f32_e32 v178, v189, v178
	scratch_load_b32 v189, off, off offset:224 ; 4-byte Folded Reload
	s_waitcnt lgkmcnt(0)
	v_fmac_f32_e32 v144, v178, v179
	scratch_load_b32 v179, off, off offset:260 ; 4-byte Folded Reload
	ds_bpermute_b32 v178, v126, v146 offset:40
	s_waitcnt vmcnt(0) lgkmcnt(0)
	v_sub_f32_e32 v178, v179, v178
	ds_bpermute_b32 v179, v126, v125 offset:40
	v_mul_f32_e32 v178, v189, v178
	s_waitcnt lgkmcnt(0)
	s_delay_alu instid0(VALU_DEP_1)
	v_fmac_f32_e32 v144, v178, v179
	scratch_load_b32 v179, off, off offset:264 ; 4-byte Folded Reload
	ds_bpermute_b32 v178, v126, v146 offset:44
	s_waitcnt vmcnt(0) lgkmcnt(0)
	v_sub_f32_e32 v178, v179, v178
	ds_bpermute_b32 v179, v126, v125 offset:44
	v_mul_f32_e32 v178, v132, v178
	s_waitcnt lgkmcnt(0)
	s_delay_alu instid0(VALU_DEP_1)
	v_fmac_f32_e32 v144, v178, v179
	scratch_load_b32 v179, off, off offset:268 ; 4-byte Folded Reload
	ds_bpermute_b32 v178, v126, v146 offset:48
	s_waitcnt vmcnt(0) lgkmcnt(0)
	v_sub_f32_e32 v178, v179, v178
	ds_bpermute_b32 v179, v126, v125 offset:48
	v_mul_f32_e32 v178, v131, v178
	s_waitcnt lgkmcnt(0)
	s_delay_alu instid0(VALU_DEP_1)
	v_fmac_f32_e32 v144, v178, v179
	scratch_load_b32 v179, off, off offset:272 ; 4-byte Folded Reload
	ds_bpermute_b32 v178, v126, v146 offset:52
	s_waitcnt vmcnt(0) lgkmcnt(0)
	v_sub_f32_e32 v178, v179, v178
	ds_bpermute_b32 v179, v126, v125 offset:52
	v_mul_f32_e32 v178, v148, v178
	s_waitcnt lgkmcnt(0)
	s_delay_alu instid0(VALU_DEP_1)
	v_fmac_f32_e32 v144, v178, v179
	scratch_load_b32 v179, off, off offset:276 ; 4-byte Folded Reload
	ds_bpermute_b32 v178, v126, v146 offset:56
	s_waitcnt vmcnt(0) lgkmcnt(0)
	v_sub_f32_e32 v178, v179, v178
	ds_bpermute_b32 v179, v126, v125 offset:56
	v_mul_f32_e32 v178, v147, v178
	s_waitcnt lgkmcnt(0)
	s_delay_alu instid0(VALU_DEP_1)
	v_fmac_f32_e32 v144, v178, v179
	scratch_load_b32 v179, off, off offset:280 ; 4-byte Folded Reload
	ds_bpermute_b32 v178, v126, v146 offset:60
	s_waitcnt vmcnt(0) lgkmcnt(0)
	v_sub_f32_e32 v178, v179, v178
	ds_bpermute_b32 v179, v126, v125 offset:60
	v_mul_f32_e32 v178, v150, v178
	s_waitcnt lgkmcnt(0)
	s_delay_alu instid0(VALU_DEP_1)
	v_fmac_f32_e32 v144, v178, v179
	scratch_load_b32 v179, off, off offset:288 ; 4-byte Folded Reload
	ds_bpermute_b32 v178, v126, v146 offset:64
	s_waitcnt vmcnt(0) lgkmcnt(0)
	v_sub_f32_e32 v178, v179, v178
	ds_bpermute_b32 v179, v126, v125 offset:64
	v_mul_f32_e32 v178, v149, v178
	s_waitcnt lgkmcnt(0)
	s_delay_alu instid0(VALU_DEP_1)
	v_fmac_f32_e32 v144, v178, v179
	scratch_load_b32 v179, off, off offset:296 ; 4-byte Folded Reload
	ds_bpermute_b32 v178, v126, v146 offset:68
	s_waitcnt vmcnt(0) lgkmcnt(0)
	v_sub_f32_e32 v178, v179, v178
	ds_bpermute_b32 v179, v126, v125 offset:68
	v_mul_f32_e32 v178, v152, v178
	s_waitcnt lgkmcnt(0)
	s_delay_alu instid0(VALU_DEP_1) | instskip(SKIP_4) | instid1(VALU_DEP_1)
	v_fmac_f32_e32 v144, v178, v179
	scratch_load_b32 v178, off, off offset:212 ; 4-byte Folded Reload
	ds_bpermute_b32 v179, v126, v146 offset:72
	s_waitcnt vmcnt(0)
	v_add_f32_e32 v178, v178, v184
	v_add_f32_e32 v178, v178, v182
	s_delay_alu instid0(VALU_DEP_1) | instskip(SKIP_4) | instid1(VALU_DEP_1)
	v_add_f32_e32 v178, v178, v181
	scratch_load_b32 v181, off, off offset:292 ; 4-byte Folded Reload
	v_add_f32_e32 v178, v178, v180
	scratch_load_b32 v180, off, off offset:284 ; 4-byte Folded Reload
	v_add_f32_e32 v178, v178, v183
	v_add_f32_e32 v178, v178, v186
	s_delay_alu instid0(VALU_DEP_1) | instskip(NEXT) | instid1(VALU_DEP_1)
	v_add_f32_e32 v178, v178, v185
	v_add_f32_e32 v178, v178, v188
	s_delay_alu instid0(VALU_DEP_1) | instskip(NEXT) | instid1(VALU_DEP_1)
	;; [unrolled: 3-line block ×3, first 2 shown]
	v_add_f32_e32 v178, v178, v189
	v_add_f32_e32 v132, v178, v132
	ds_bpermute_b32 v178, v126, v146 offset:76
	v_add_f32_e32 v131, v132, v131
	ds_bpermute_b32 v132, v126, v146 offset:80
	;; [unrolled: 2-line block ×6, first 2 shown]
	s_waitcnt lgkmcnt(4)
	v_sub_f32_e32 v132, v158, v132
	ds_bpermute_b32 v158, v126, v146 offset:92
	v_add_f32_e32 v131, v131, v152
	ds_bpermute_b32 v152, v126, v146 offset:100
	v_dual_mul_f32 v132, v153, v132 :: v_dual_add_f32 v131, v131, v151
	s_delay_alu instid0(VALU_DEP_1) | instskip(NEXT) | instid1(VALU_DEP_1)
	v_add_f32_e32 v131, v131, v154
	v_add_f32_e32 v131, v131, v153
	ds_bpermute_b32 v153, v126, v146 offset:104
	v_add_f32_e32 v131, v131, v157
	s_delay_alu instid0(VALU_DEP_1) | instskip(NEXT) | instid1(VALU_DEP_1)
	v_add_f32_e32 v131, v131, v156
	v_add_f32_e32 v131, v131, v161
	s_delay_alu instid0(VALU_DEP_1) | instskip(NEXT) | instid1(VALU_DEP_1)
	v_add_f32_e32 v131, v131, v160
	v_add_f32_e32 v131, v131, v165
	s_delay_alu instid0(VALU_DEP_1) | instskip(NEXT) | instid1(VALU_DEP_1)
	v_add_f32_e32 v131, v131, v163
	v_add_f32_e32 v131, v131, v169
	s_delay_alu instid0(VALU_DEP_1) | instskip(NEXT) | instid1(VALU_DEP_1)
	v_add_f32_e32 v131, v131, v168
	v_add_f32_e32 v131, v131, v174
	s_waitcnt vmcnt(1)
	s_delay_alu instid0(VALU_DEP_1)
	v_dual_add_f32 v131, v131, v173 :: v_dual_sub_f32 v178, v181, v178
	ds_bpermute_b32 v181, v126, v146 offset:88
	s_waitcnt vmcnt(0)
	v_sub_f32_e32 v179, v180, v179
	ds_bpermute_b32 v180, v126, v146 offset:84
	v_mul_f32_e32 v179, v151, v179
	s_waitcnt lgkmcnt(8)
	s_delay_alu instid0(VALU_DEP_1)
	v_fmac_f32_e32 v144, v179, v148
	v_mul_f32_e32 v148, v154, v178
	ds_bpermute_b32 v154, v126, v125 offset:116
	s_waitcnt lgkmcnt(8)
	v_fmac_f32_e32 v144, v148, v147
	ds_bpermute_b32 v147, v126, v125 offset:88
	ds_bpermute_b32 v148, v126, v146 offset:96
	s_waitcnt lgkmcnt(3)
	v_dual_sub_f32 v151, v159, v180 :: v_dual_fmac_f32 v144, v132, v150
	ds_bpermute_b32 v132, v126, v125 offset:92
	v_dual_mul_f32 v150, v157, v151 :: v_dual_sub_f32 v151, v162, v181
	s_delay_alu instid0(VALU_DEP_1) | instskip(SKIP_3) | instid1(VALU_DEP_1)
	v_fmac_f32_e32 v144, v150, v149
	ds_bpermute_b32 v149, v126, v125 offset:96
	v_mul_f32_e32 v150, v156, v151
	s_waitcnt lgkmcnt(3)
	v_dual_sub_f32 v151, v164, v158 :: v_dual_fmac_f32 v144, v150, v147
	ds_bpermute_b32 v147, v126, v125 offset:100
	v_mul_f32_e32 v150, v161, v151
	s_waitcnt lgkmcnt(3)
	v_sub_f32_e32 v148, v166, v148
	ds_bpermute_b32 v151, v126, v146 offset:108
	s_waitcnt lgkmcnt(3)
	v_fmac_f32_e32 v144, v150, v132
	v_mul_f32_e32 v132, v160, v148
	ds_bpermute_b32 v148, v126, v125 offset:104
	v_sub_f32_e32 v150, v167, v152
	ds_bpermute_b32 v152, v126, v146 offset:112
	s_waitcnt lgkmcnt(4)
	v_fmac_f32_e32 v144, v132, v149
	v_mul_f32_e32 v132, v165, v150
	ds_bpermute_b32 v149, v126, v125 offset:108
	v_sub_f32_e32 v150, v170, v153
	ds_bpermute_b32 v153, v126, v146 offset:116
	s_waitcnt lgkmcnt(5)
	v_fmac_f32_e32 v144, v132, v147
	ds_bpermute_b32 v132, v126, v125 offset:112
	v_mul_f32_e32 v147, v163, v150
	ds_bpermute_b32 v150, v126, v146 offset:120
	s_waitcnt lgkmcnt(6)
	v_sub_f32_e32 v151, v171, v151
	ds_bpermute_b32 v146, v126, v146 offset:124
	s_waitcnt lgkmcnt(6)
	v_dual_fmac_f32 v144, v147, v148 :: v_dual_mul_f32 v147, v169, v151
	s_waitcnt lgkmcnt(5)
	v_sub_f32_e32 v148, v172, v152
	ds_bpermute_b32 v151, v126, v125 offset:120
	ds_bpermute_b32 v125, v126, v125 offset:124
	s_waitcnt lgkmcnt(6)
	v_dual_fmac_f32 v144, v147, v149 :: v_dual_mul_f32 v147, v168, v148
	s_waitcnt lgkmcnt(5)
	v_sub_f32_e32 v148, v175, v153
	s_waitcnt lgkmcnt(4)
	s_delay_alu instid0(VALU_DEP_2) | instskip(SKIP_1) | instid1(VALU_DEP_2)
	v_fmac_f32_e32 v144, v147, v132
	s_waitcnt lgkmcnt(3)
	v_dual_mul_f32 v132, v174, v148 :: v_dual_sub_f32 v147, v176, v150
	s_waitcnt lgkmcnt(2)
	v_sub_f32_e32 v146, v177, v146
	s_delay_alu instid0(VALU_DEP_2) | instskip(NEXT) | instid1(VALU_DEP_3)
	v_fmac_f32_e32 v144, v132, v154
	v_mul_f32_e32 v132, v173, v147
	s_waitcnt lgkmcnt(1)
	s_delay_alu instid0(VALU_DEP_1) | instskip(SKIP_2) | instid1(VALU_DEP_1)
	v_fmac_f32_e32 v144, v132, v151
	v_mul_f32_e32 v132, v155, v146
	s_waitcnt lgkmcnt(0)
	v_dual_fmac_f32 v144, v132, v125 :: v_dual_add_f32 v125, v131, v155
	s_and_b32 vcc_lo, exec_lo, s7
	s_cbranch_vccnz .LBB74_214
	s_branch .LBB74_217
.LBB74_213:                             ;   in Loop: Header=BB74_145 Depth=1
                                        ; implicit-def: $vgpr125
                                        ; implicit-def: $vgpr144
	s_cbranch_execz .LBB74_217
.LBB74_214:                             ;   in Loop: Header=BB74_145 Depth=1
	s_load_b32 s7, s[4:5], 0x0
	s_waitcnt lgkmcnt(0)
	s_cmp_lt_u32 s14, s7
	s_cselect_b32 s7, 12, 18
	s_delay_alu instid0(SALU_CYCLE_1)
	s_add_u32 s24, s4, s7
	s_addc_u32 s25, s5, 0
	s_mov_b32 s7, exec_lo
	global_load_u16 v125, v126, s[24:25]
	s_clause 0x1
	scratch_load_b32 v131, off, off offset:300
	scratch_load_b32 v132, off, off offset:304
	s_waitcnt vmcnt(0)
	v_mad_u32_u24 v125, v131, v125, v132
	v_mov_b32_e32 v131, 0
	s_delay_alu instid0(VALU_DEP_2) | instskip(NEXT) | instid1(VALU_DEP_1)
	v_and_b32_e32 v125, 31, v125
	v_add_co_u32 v129, vcc_lo, v129, v125
	v_add_co_ci_u32_e32 v130, vcc_lo, 0, v130, vcc_lo
	v_mov_b32_e32 v125, 0
	s_delay_alu instid0(VALU_DEP_2)
	v_cmpx_gt_i64_e64 s[16:17], v[129:130]
	s_cbranch_execz .LBB74_216
; %bb.215:                              ;   in Loop: Header=BB74_145 Depth=1
	v_lshlrev_b64 v[129:130], 2, v[129:130]
	s_delay_alu instid0(VALU_DEP_1) | instskip(NEXT) | instid1(VALU_DEP_2)
	v_add_co_u32 v131, vcc_lo, s8, v129
	v_add_co_ci_u32_e32 v132, vcc_lo, s9, v130, vcc_lo
	v_add_co_u32 v129, vcc_lo, s10, v129
	v_add_co_ci_u32_e32 v130, vcc_lo, s11, v130, vcc_lo
	global_load_b32 v131, v[131:132], off
	global_load_b32 v125, v[129:130], off
.LBB74_216:                             ;   in Loop: Header=BB74_145 Depth=1
	s_or_b32 exec_lo, exec_lo, s7
	v_add_co_u32 v129, vcc_lo, v137, v127
	v_add_co_ci_u32_e32 v130, vcc_lo, v138, v128, vcc_lo
	s_waitcnt vmcnt(1)
	ds_bpermute_b32 v144, v126, v131 offset:4
	global_load_u16 v132, v[129:130], off
	v_add_co_u32 v129, vcc_lo, v135, v127
	v_add_co_ci_u32_e32 v130, vcc_lo, v136, v128, vcc_lo
	v_add_co_u32 v146, vcc_lo, v9, v127
	v_add_co_ci_u32_e32 v147, vcc_lo, v10, v128, vcc_lo
	global_load_u16 v129, v[129:130], off
	s_waitcnt vmcnt(1)
	v_cvt_f32_f16_e64 v130, v132
	ds_bpermute_b32 v132, v126, v131
	s_waitcnt vmcnt(0)
	v_cvt_f32_f16_e64 v129, v129
	s_waitcnt lgkmcnt(0)
	v_sub_f32_e32 v130, v130, v132
	ds_bpermute_b32 v132, v126, v125
	v_mul_f32_e32 v130, v130, v129
	s_waitcnt lgkmcnt(0)
	s_delay_alu instid0(VALU_DEP_1)
	v_fmac_f32_e32 v145, v130, v132
	global_load_u16 v130, v[146:147], off
	v_add_co_u32 v146, vcc_lo, v1, v127
	v_add_co_ci_u32_e32 v147, vcc_lo, v2, v128, vcc_lo
	global_load_u16 v132, v[146:147], off
	v_add_co_u32 v146, vcc_lo, v13, v127
	v_add_co_ci_u32_e32 v147, vcc_lo, v14, v128, vcc_lo
	s_waitcnt vmcnt(1)
	v_cvt_f32_f16_e64 v130, v130
	s_delay_alu instid0(VALU_DEP_1) | instskip(SKIP_2) | instid1(VALU_DEP_1)
	v_sub_f32_e32 v144, v130, v144
	s_waitcnt vmcnt(0)
	v_cvt_f32_f16_e64 v130, v132
	v_mul_f32_e32 v132, v144, v130
	ds_bpermute_b32 v144, v126, v125 offset:4
	s_waitcnt lgkmcnt(0)
	v_fmac_f32_e32 v145, v132, v144
	global_load_u16 v132, v[146:147], off
	v_add_co_u32 v146, vcc_lo, v3, v127
	v_add_co_ci_u32_e32 v147, vcc_lo, v4, v128, vcc_lo
	global_load_u16 v144, v[146:147], off
	ds_bpermute_b32 v146, v126, v131 offset:8
	s_waitcnt vmcnt(1)
	v_cvt_f32_f16_e64 v132, v132
	s_waitcnt lgkmcnt(0)
	s_delay_alu instid0(VALU_DEP_1) | instskip(SKIP_2) | instid1(VALU_DEP_1)
	v_sub_f32_e32 v146, v132, v146
	s_waitcnt vmcnt(0)
	v_cvt_f32_f16_e64 v132, v144
	v_mul_f32_e32 v144, v146, v132
	ds_bpermute_b32 v146, v126, v125 offset:8
	s_waitcnt lgkmcnt(0)
	v_fmac_f32_e32 v145, v144, v146
	v_add_co_u32 v146, vcc_lo, v15, v127
	v_add_co_ci_u32_e32 v147, vcc_lo, v16, v128, vcc_lo
	global_load_u16 v144, v[146:147], off
	v_add_co_u32 v146, vcc_lo, v5, v127
	v_add_co_ci_u32_e32 v147, vcc_lo, v6, v128, vcc_lo
	global_load_u16 v146, v[146:147], off
	ds_bpermute_b32 v147, v126, v131 offset:12
	s_waitcnt vmcnt(1)
	v_cvt_f32_f16_e64 v144, v144
	s_waitcnt lgkmcnt(0)
	s_delay_alu instid0(VALU_DEP_1) | instskip(SKIP_2) | instid1(VALU_DEP_1)
	v_sub_f32_e32 v147, v144, v147
	s_waitcnt vmcnt(0)
	v_cvt_f32_f16_e64 v144, v146
	v_mul_f32_e32 v146, v147, v144
	ds_bpermute_b32 v147, v126, v125 offset:12
	s_waitcnt lgkmcnt(0)
	v_fmac_f32_e32 v145, v146, v147
	v_add_co_u32 v146, vcc_lo, v17, v127
	v_add_co_ci_u32_e32 v147, vcc_lo, v18, v128, vcc_lo
	global_load_u16 v148, v[146:147], off
	v_add_co_u32 v146, vcc_lo, v7, v127
	v_add_co_ci_u32_e32 v147, vcc_lo, v8, v128, vcc_lo
	global_load_u16 v146, v[146:147], off
	s_waitcnt vmcnt(1)
	v_cvt_f32_f16_e64 v147, v148
	ds_bpermute_b32 v148, v126, v131 offset:16
	s_waitcnt vmcnt(0)
	v_cvt_f32_f16_e64 v146, v146
	s_waitcnt lgkmcnt(0)
	v_sub_f32_e32 v147, v147, v148
	ds_bpermute_b32 v148, v126, v125 offset:16
	v_mul_f32_e32 v147, v147, v146
	s_waitcnt lgkmcnt(0)
	s_delay_alu instid0(VALU_DEP_1)
	v_fmac_f32_e32 v145, v147, v148
	v_add_co_u32 v147, vcc_lo, v21, v127
	v_add_co_ci_u32_e32 v148, vcc_lo, v22, v128, vcc_lo
	global_load_u16 v149, v[147:148], off
	v_add_co_u32 v147, vcc_lo, v11, v127
	v_add_co_ci_u32_e32 v148, vcc_lo, v12, v128, vcc_lo
	global_load_u16 v147, v[147:148], off
	s_waitcnt vmcnt(1)
	v_cvt_f32_f16_e64 v148, v149
	ds_bpermute_b32 v149, v126, v131 offset:20
	s_waitcnt vmcnt(0)
	v_cvt_f32_f16_e64 v147, v147
	s_waitcnt lgkmcnt(0)
	v_sub_f32_e32 v148, v148, v149
	ds_bpermute_b32 v149, v126, v125 offset:20
	v_mul_f32_e32 v148, v148, v147
	s_waitcnt lgkmcnt(0)
	s_delay_alu instid0(VALU_DEP_1)
	;; [unrolled: 18-line block ×6, first 2 shown]
	v_fmac_f32_e32 v145, v152, v153
	v_add_co_u32 v152, vcc_lo, v39, v127
	v_add_co_ci_u32_e32 v153, vcc_lo, v40, v128, vcc_lo
	global_load_u16 v154, v[152:153], off
	v_add_co_u32 v152, vcc_lo, v37, v127
	v_add_co_ci_u32_e32 v153, vcc_lo, v38, v128, vcc_lo
	global_load_u16 v152, v[152:153], off
	s_waitcnt vmcnt(1)
	v_cvt_f32_f16_e64 v153, v154
	ds_bpermute_b32 v154, v126, v131 offset:40
	s_waitcnt lgkmcnt(0)
	v_sub_f32_e32 v153, v153, v154
	s_waitcnt vmcnt(0)
	v_cvt_f32_f16_e64 v154, v152
	s_delay_alu instid0(VALU_DEP_1)
	v_mul_f32_e32 v152, v153, v154
	ds_bpermute_b32 v153, v126, v125 offset:40
	s_waitcnt lgkmcnt(0)
	v_fmac_f32_e32 v145, v152, v153
	v_add_co_u32 v152, vcc_lo, v43, v127
	v_add_co_ci_u32_e32 v153, vcc_lo, v44, v128, vcc_lo
	global_load_u16 v155, v[152:153], off
	v_add_co_u32 v152, vcc_lo, v41, v127
	v_add_co_ci_u32_e32 v153, vcc_lo, v42, v128, vcc_lo
	global_load_u16 v152, v[152:153], off
	s_waitcnt vmcnt(1)
	v_cvt_f32_f16_e64 v153, v155
	ds_bpermute_b32 v155, v126, v131 offset:44
	s_waitcnt lgkmcnt(0)
	v_sub_f32_e32 v153, v153, v155
	s_waitcnt vmcnt(0)
	v_cvt_f32_f16_e64 v155, v152
	s_delay_alu instid0(VALU_DEP_1)
	v_mul_f32_e32 v152, v153, v155
	ds_bpermute_b32 v153, v126, v125 offset:44
	s_waitcnt lgkmcnt(0)
	;; [unrolled: 18-line block ×20, first 2 shown]
	v_fmac_f32_e32 v145, v152, v153
	v_add_co_u32 v152, vcc_lo, v119, v127
	v_add_co_ci_u32_e32 v153, vcc_lo, v120, v128, vcc_lo
	global_load_u16 v174, v[152:153], off
	v_add_co_u32 v152, vcc_lo, v117, v127
	v_add_co_ci_u32_e32 v153, vcc_lo, v118, v128, vcc_lo
	global_load_u16 v152, v[152:153], off
	s_waitcnt vmcnt(1)
	v_cvt_f32_f16_e64 v153, v174
	ds_bpermute_b32 v174, v126, v131 offset:120
	ds_bpermute_b32 v131, v126, v131 offset:124
	s_waitcnt lgkmcnt(1)
	v_sub_f32_e32 v153, v153, v174
	s_waitcnt vmcnt(0)
	v_cvt_f32_f16_e64 v174, v152
	s_delay_alu instid0(VALU_DEP_1)
	v_mul_f32_e32 v152, v153, v174
	ds_bpermute_b32 v153, v126, v125 offset:120
	ds_bpermute_b32 v125, v126, v125 offset:124
	s_waitcnt lgkmcnt(1)
	v_fmac_f32_e32 v145, v152, v153
	v_add_co_u32 v152, vcc_lo, v123, v127
	v_add_co_ci_u32_e32 v153, vcc_lo, v124, v128, vcc_lo
	global_load_u16 v175, v[152:153], off
	v_add_co_u32 v152, vcc_lo, v121, v127
	v_add_co_ci_u32_e32 v153, vcc_lo, v122, v128, vcc_lo
	global_load_u16 v152, v[152:153], off
	s_waitcnt vmcnt(1)
	v_cvt_f32_f16_e64 v153, v175
	s_delay_alu instid0(VALU_DEP_1) | instskip(SKIP_2) | instid1(VALU_DEP_1)
	v_sub_f32_e32 v131, v153, v131
	s_waitcnt vmcnt(0)
	v_cvt_f32_f16_e64 v152, v152
	v_mul_f32_e32 v131, v131, v152
	s_waitcnt lgkmcnt(0)
	s_delay_alu instid0(VALU_DEP_1) | instskip(SKIP_3) | instid1(VALU_DEP_1)
	v_fmac_f32_e32 v145, v131, v125
	scratch_load_b32 v125, off, off offset:212 ; 4-byte Folded Reload
	s_waitcnt vmcnt(0)
	v_add_f32_e32 v125, v125, v129
	v_add_f32_e32 v125, v125, v130
	s_delay_alu instid0(VALU_DEP_1) | instskip(NEXT) | instid1(VALU_DEP_1)
	v_add_f32_e32 v125, v125, v132
	v_add_f32_e32 v125, v125, v144
	v_mov_b32_e32 v144, v145
	s_delay_alu instid0(VALU_DEP_2) | instskip(NEXT) | instid1(VALU_DEP_1)
	v_add_f32_e32 v125, v125, v146
	v_add_f32_e32 v125, v125, v147
	s_delay_alu instid0(VALU_DEP_1) | instskip(NEXT) | instid1(VALU_DEP_1)
	v_add_f32_e32 v125, v125, v148
	v_add_f32_e32 v125, v125, v149
	s_delay_alu instid0(VALU_DEP_1) | instskip(NEXT) | instid1(VALU_DEP_1)
	;; [unrolled: 3-line block ×13, first 2 shown]
	v_add_f32_e32 v125, v125, v174
	v_add_f32_e32 v125, v125, v152
.LBB74_217:                             ;   in Loop: Header=BB74_145 Depth=1
	scratch_load_b32 v129, off, off         ; 4-byte Folded Reload
	v_add_co_u32 v1, vcc_lo, v1, s12
	v_add_co_ci_u32_e32 v2, vcc_lo, s13, v2, vcc_lo
	v_add_co_u32 v3, vcc_lo, v3, s12
	v_add_co_ci_u32_e32 v4, vcc_lo, s13, v4, vcc_lo
	;; [unrolled: 2-line block ×64, first 2 shown]
	s_add_u32 s22, s22, s3
	s_addc_u32 s23, s23, 0
	s_add_u32 s20, s20, s3
	v_cmp_ge_i64_e64 s7, s[22:23], s[16:17]
	s_addc_u32 s21, s21, 0
	s_waitcnt vmcnt(0)
	v_add_co_u32 v129, vcc_lo, v129, s3
	v_add_co_ci_u32_e32 v143, vcc_lo, 0, v143, vcc_lo
	scratch_store_b32 off, v129, off        ; 4-byte Folded Spill
	scratch_load_b32 v129, off, off offset:4 ; 4-byte Folded Reload
	s_waitcnt vmcnt(0)
	v_add_co_u32 v129, vcc_lo, v129, s12
	scratch_store_b32 off, v129, off offset:4 ; 4-byte Folded Spill
	scratch_load_b32 v129, off, off offset:8 ; 4-byte Folded Reload
	s_waitcnt vmcnt(0)
	v_add_co_ci_u32_e32 v129, vcc_lo, s13, v129, vcc_lo
	scratch_store_b32 off, v129, off offset:8 ; 4-byte Folded Spill
	scratch_load_b32 v129, off, off offset:12 ; 4-byte Folded Reload
	s_waitcnt vmcnt(0)
	v_add_co_u32 v129, vcc_lo, v129, s12
	scratch_store_b32 off, v129, off offset:12 ; 4-byte Folded Spill
	scratch_load_b32 v129, off, off offset:16 ; 4-byte Folded Reload
	s_waitcnt vmcnt(0)
	v_add_co_ci_u32_e32 v129, vcc_lo, s13, v129, vcc_lo
	scratch_store_b32 off, v129, off offset:16 ; 4-byte Folded Spill
	scratch_load_b32 v129, off, off offset:20 ; 4-byte Folded Reload
	s_waitcnt vmcnt(0)
	v_add_co_u32 v129, vcc_lo, v129, s12
	scratch_store_b32 off, v129, off offset:20 ; 4-byte Folded Spill
	scratch_load_b32 v129, off, off offset:24 ; 4-byte Folded Reload
	s_waitcnt vmcnt(0)
	v_add_co_ci_u32_e32 v129, vcc_lo, s13, v129, vcc_lo
	scratch_store_b32 off, v129, off offset:24 ; 4-byte Folded Spill
	scratch_load_b32 v129, off, off offset:28 ; 4-byte Folded Reload
	s_waitcnt vmcnt(0)
	v_add_co_u32 v129, vcc_lo, v129, s12
	scratch_store_b32 off, v129, off offset:28 ; 4-byte Folded Spill
	scratch_load_b32 v129, off, off offset:32 ; 4-byte Folded Reload
	s_waitcnt vmcnt(0)
	v_add_co_ci_u32_e32 v129, vcc_lo, s13, v129, vcc_lo
	scratch_store_b32 off, v129, off offset:32 ; 4-byte Folded Spill
	scratch_load_b32 v129, off, off offset:36 ; 4-byte Folded Reload
	s_waitcnt vmcnt(0)
	v_add_co_u32 v129, vcc_lo, v129, s12
	scratch_store_b32 off, v129, off offset:36 ; 4-byte Folded Spill
	scratch_load_b32 v129, off, off offset:40 ; 4-byte Folded Reload
	s_waitcnt vmcnt(0)
	v_add_co_ci_u32_e32 v129, vcc_lo, s13, v129, vcc_lo
	scratch_store_b32 off, v129, off offset:40 ; 4-byte Folded Spill
	scratch_load_b32 v129, off, off offset:44 ; 4-byte Folded Reload
	s_waitcnt vmcnt(0)
	v_add_co_u32 v129, vcc_lo, v129, s12
	scratch_store_b32 off, v129, off offset:44 ; 4-byte Folded Spill
	scratch_load_b32 v129, off, off offset:48 ; 4-byte Folded Reload
	s_waitcnt vmcnt(0)
	v_add_co_ci_u32_e32 v129, vcc_lo, s13, v129, vcc_lo
	scratch_store_b32 off, v129, off offset:48 ; 4-byte Folded Spill
	scratch_load_b32 v129, off, off offset:52 ; 4-byte Folded Reload
	s_waitcnt vmcnt(0)
	v_add_co_u32 v129, vcc_lo, v129, s12
	scratch_store_b32 off, v129, off offset:52 ; 4-byte Folded Spill
	scratch_load_b32 v129, off, off offset:56 ; 4-byte Folded Reload
	s_waitcnt vmcnt(0)
	v_add_co_ci_u32_e32 v129, vcc_lo, s13, v129, vcc_lo
	scratch_store_b32 off, v129, off offset:56 ; 4-byte Folded Spill
	scratch_load_b32 v129, off, off offset:60 ; 4-byte Folded Reload
	s_waitcnt vmcnt(0)
	v_add_co_u32 v129, vcc_lo, v129, s12
	scratch_store_b32 off, v129, off offset:60 ; 4-byte Folded Spill
	scratch_load_b32 v129, off, off offset:64 ; 4-byte Folded Reload
	s_waitcnt vmcnt(0)
	v_add_co_ci_u32_e32 v129, vcc_lo, s13, v129, vcc_lo
	scratch_store_b32 off, v129, off offset:64 ; 4-byte Folded Spill
	scratch_load_b32 v129, off, off offset:68 ; 4-byte Folded Reload
	s_waitcnt vmcnt(0)
	v_add_co_u32 v129, vcc_lo, v129, s12
	scratch_store_b32 off, v129, off offset:68 ; 4-byte Folded Spill
	scratch_load_b32 v129, off, off offset:72 ; 4-byte Folded Reload
	s_waitcnt vmcnt(0)
	v_add_co_ci_u32_e32 v129, vcc_lo, s13, v129, vcc_lo
	scratch_store_b32 off, v129, off offset:72 ; 4-byte Folded Spill
	scratch_load_b32 v129, off, off offset:76 ; 4-byte Folded Reload
	s_waitcnt vmcnt(0)
	v_add_co_u32 v129, vcc_lo, v129, s12
	scratch_store_b32 off, v129, off offset:76 ; 4-byte Folded Spill
	scratch_load_b32 v129, off, off offset:80 ; 4-byte Folded Reload
	s_waitcnt vmcnt(0)
	v_add_co_ci_u32_e32 v129, vcc_lo, s13, v129, vcc_lo
	scratch_store_b32 off, v129, off offset:80 ; 4-byte Folded Spill
	scratch_load_b32 v129, off, off offset:84 ; 4-byte Folded Reload
	s_waitcnt vmcnt(0)
	v_add_co_u32 v129, vcc_lo, v129, s12
	scratch_store_b32 off, v129, off offset:84 ; 4-byte Folded Spill
	scratch_load_b32 v129, off, off offset:88 ; 4-byte Folded Reload
	s_waitcnt vmcnt(0)
	v_add_co_ci_u32_e32 v129, vcc_lo, s13, v129, vcc_lo
	scratch_store_b32 off, v129, off offset:88 ; 4-byte Folded Spill
	scratch_load_b32 v129, off, off offset:92 ; 4-byte Folded Reload
	s_waitcnt vmcnt(0)
	v_add_co_u32 v129, vcc_lo, v129, s12
	scratch_store_b32 off, v129, off offset:92 ; 4-byte Folded Spill
	scratch_load_b32 v129, off, off offset:96 ; 4-byte Folded Reload
	s_waitcnt vmcnt(0)
	v_add_co_ci_u32_e32 v129, vcc_lo, s13, v129, vcc_lo
	scratch_store_b32 off, v129, off offset:96 ; 4-byte Folded Spill
	scratch_load_b32 v129, off, off offset:100 ; 4-byte Folded Reload
	s_waitcnt vmcnt(0)
	v_add_co_u32 v129, vcc_lo, v129, s12
	scratch_store_b32 off, v129, off offset:100 ; 4-byte Folded Spill
	scratch_load_b32 v129, off, off offset:104 ; 4-byte Folded Reload
	s_waitcnt vmcnt(0)
	v_add_co_ci_u32_e32 v129, vcc_lo, s13, v129, vcc_lo
	scratch_store_b32 off, v129, off offset:104 ; 4-byte Folded Spill
	scratch_load_b32 v129, off, off offset:108 ; 4-byte Folded Reload
	s_waitcnt vmcnt(0)
	v_add_co_u32 v129, vcc_lo, v129, s12
	scratch_store_b32 off, v129, off offset:108 ; 4-byte Folded Spill
	scratch_load_b32 v129, off, off offset:112 ; 4-byte Folded Reload
	s_waitcnt vmcnt(0)
	v_add_co_ci_u32_e32 v129, vcc_lo, s13, v129, vcc_lo
	scratch_store_b32 off, v129, off offset:112 ; 4-byte Folded Spill
	scratch_load_b32 v129, off, off offset:116 ; 4-byte Folded Reload
	s_waitcnt vmcnt(0)
	v_add_co_u32 v129, vcc_lo, v129, s12
	scratch_store_b32 off, v129, off offset:116 ; 4-byte Folded Spill
	scratch_load_b32 v129, off, off offset:120 ; 4-byte Folded Reload
	s_waitcnt vmcnt(0)
	v_add_co_ci_u32_e32 v129, vcc_lo, s13, v129, vcc_lo
	scratch_store_b32 off, v129, off offset:120 ; 4-byte Folded Spill
	scratch_load_b32 v129, off, off offset:124 ; 4-byte Folded Reload
	s_waitcnt vmcnt(0)
	v_add_co_u32 v129, vcc_lo, v129, s12
	scratch_store_b32 off, v129, off offset:124 ; 4-byte Folded Spill
	scratch_load_b32 v129, off, off offset:128 ; 4-byte Folded Reload
	s_waitcnt vmcnt(0)
	v_add_co_ci_u32_e32 v129, vcc_lo, s13, v129, vcc_lo
	scratch_store_b32 off, v129, off offset:128 ; 4-byte Folded Spill
	scratch_load_b32 v129, off, off offset:132 ; 4-byte Folded Reload
	s_waitcnt vmcnt(0)
	v_add_co_u32 v129, vcc_lo, v129, s12
	scratch_store_b32 off, v129, off offset:132 ; 4-byte Folded Spill
	scratch_load_b32 v129, off, off offset:136 ; 4-byte Folded Reload
	s_waitcnt vmcnt(0)
	v_add_co_ci_u32_e32 v129, vcc_lo, s13, v129, vcc_lo
	scratch_store_b32 off, v129, off offset:136 ; 4-byte Folded Spill
	scratch_load_b32 v129, off, off offset:140 ; 4-byte Folded Reload
	s_waitcnt vmcnt(0)
	v_add_co_u32 v129, vcc_lo, v129, s12
	scratch_store_b32 off, v129, off offset:140 ; 4-byte Folded Spill
	scratch_load_b32 v129, off, off offset:144 ; 4-byte Folded Reload
	s_waitcnt vmcnt(0)
	v_add_co_ci_u32_e32 v129, vcc_lo, s13, v129, vcc_lo
	scratch_store_b32 off, v129, off offset:144 ; 4-byte Folded Spill
	scratch_load_b32 v129, off, off offset:148 ; 4-byte Folded Reload
	s_waitcnt vmcnt(0)
	v_add_co_u32 v129, vcc_lo, v129, s12
	scratch_store_b32 off, v129, off offset:148 ; 4-byte Folded Spill
	scratch_load_b32 v129, off, off offset:152 ; 4-byte Folded Reload
	s_waitcnt vmcnt(0)
	v_add_co_ci_u32_e32 v129, vcc_lo, s13, v129, vcc_lo
	scratch_store_b32 off, v129, off offset:152 ; 4-byte Folded Spill
	scratch_load_b32 v129, off, off offset:156 ; 4-byte Folded Reload
	s_waitcnt vmcnt(0)
	v_add_co_u32 v129, vcc_lo, v129, s12
	scratch_store_b32 off, v129, off offset:156 ; 4-byte Folded Spill
	scratch_load_b32 v129, off, off offset:160 ; 4-byte Folded Reload
	s_waitcnt vmcnt(0)
	v_add_co_ci_u32_e32 v129, vcc_lo, s13, v129, vcc_lo
	scratch_store_b32 off, v129, off offset:160 ; 4-byte Folded Spill
	scratch_load_b32 v129, off, off offset:164 ; 4-byte Folded Reload
	s_waitcnt vmcnt(0)
	v_add_co_u32 v129, vcc_lo, v129, s12
	scratch_store_b32 off, v129, off offset:164 ; 4-byte Folded Spill
	scratch_load_b32 v129, off, off offset:168 ; 4-byte Folded Reload
	s_waitcnt vmcnt(0)
	v_add_co_ci_u32_e32 v129, vcc_lo, s13, v129, vcc_lo
	scratch_store_b32 off, v129, off offset:168 ; 4-byte Folded Spill
	scratch_load_b32 v129, off, off offset:172 ; 4-byte Folded Reload
	s_waitcnt vmcnt(0)
	v_add_co_u32 v129, vcc_lo, v129, s12
	scratch_store_b32 off, v129, off offset:172 ; 4-byte Folded Spill
	scratch_load_b32 v129, off, off offset:176 ; 4-byte Folded Reload
	s_waitcnt vmcnt(0)
	v_add_co_ci_u32_e32 v129, vcc_lo, s13, v129, vcc_lo
	scratch_store_b32 off, v129, off offset:176 ; 4-byte Folded Spill
	scratch_load_b32 v129, off, off offset:180 ; 4-byte Folded Reload
	s_waitcnt vmcnt(0)
	v_add_co_u32 v129, vcc_lo, v129, s12
	scratch_store_b32 off, v129, off offset:180 ; 4-byte Folded Spill
	scratch_load_b32 v129, off, off offset:184 ; 4-byte Folded Reload
	s_waitcnt vmcnt(0)
	v_add_co_ci_u32_e32 v129, vcc_lo, s13, v129, vcc_lo
	scratch_store_b32 off, v129, off offset:184 ; 4-byte Folded Spill
	scratch_load_b32 v129, off, off offset:188 ; 4-byte Folded Reload
	s_waitcnt vmcnt(0)
	v_add_co_u32 v129, vcc_lo, v129, s12
	scratch_store_b32 off, v129, off offset:188 ; 4-byte Folded Spill
	scratch_load_b32 v129, off, off offset:192 ; 4-byte Folded Reload
	s_waitcnt vmcnt(0)
	v_add_co_ci_u32_e32 v129, vcc_lo, s13, v129, vcc_lo
	scratch_store_b32 off, v129, off offset:192 ; 4-byte Folded Spill
	scratch_load_b32 v129, off, off offset:196 ; 4-byte Folded Reload
	s_waitcnt vmcnt(0)
	v_add_co_u32 v129, vcc_lo, v129, s12
	scratch_store_b32 off, v129, off offset:196 ; 4-byte Folded Spill
	scratch_load_b32 v129, off, off offset:200 ; 4-byte Folded Reload
	s_waitcnt vmcnt(0)
	v_add_co_ci_u32_e32 v129, vcc_lo, s13, v129, vcc_lo
	scratch_store_b32 off, v129, off offset:200 ; 4-byte Folded Spill
	scratch_load_b32 v129, off, off offset:204 ; 4-byte Folded Reload
	s_waitcnt vmcnt(0)
	v_add_co_u32 v129, vcc_lo, v129, s12
	scratch_store_b32 off, v129, off offset:204 ; 4-byte Folded Spill
	scratch_load_b32 v129, off, off offset:208 ; 4-byte Folded Reload
	s_waitcnt vmcnt(0)
	v_add_co_ci_u32_e32 v129, vcc_lo, s13, v129, vcc_lo
	v_add_co_u32 v191, vcc_lo, v191, s12
	v_add_co_ci_u32_e32 v192, vcc_lo, s13, v192, vcc_lo
	v_add_co_u32 v193, vcc_lo, v193, s12
	;; [unrolled: 2-line block ×36, first 2 shown]
	v_add_co_ci_u32_e32 v142, vcc_lo, s13, v142, vcc_lo
	s_and_b32 vcc_lo, exec_lo, s7
	scratch_store_b32 off, v129, off offset:208 ; 4-byte Folded Spill
	s_cbranch_vccnz .LBB74_219
; %bb.218:                              ;   in Loop: Header=BB74_145 Depth=1
	v_mov_b32_e32 v131, v125
	v_mov_b32_e32 v145, v144
	s_branch .LBB74_145
.LBB74_219:
	scratch_load_b32 v227, off, off offset:308 ; 4-byte Folded Reload
.LBB74_220:
	s_mov_b32 s15, 0
	s_mov_b32 s3, exec_lo
	s_lshl_b64 s[4:5], s[14:15], 6
	s_waitcnt vmcnt(0)
	v_dual_mov_b32 v5, s5 :: v_dual_and_b32 v0, 0x3ff, v227
	s_delay_alu instid0(VALU_DEP_1) | instskip(NEXT) | instid1(VALU_DEP_1)
	v_or_b32_e32 v4, s4, v0
	v_cmpx_gt_i64_e64 s[18:19], v[4:5]
	s_cbranch_execz .LBB74_225
; %bb.221:
	s_clause 0x1
	s_load_b32 s3, s[0:1], 0x4c
	s_load_b128 s[4:7], s[0:1], 0x30
	v_bfe_u32 v0, v227, 10, 10
	v_mov_b32_e32 v1, 0
	s_waitcnt lgkmcnt(0)
	s_lshr_b32 s0, s3, 16
	s_cmp_eq_u64 s[4:5], 0
	s_delay_alu instid0(VALU_DEP_1) | instskip(SKIP_1) | instid1(VALU_DEP_2)
	v_mad_u64_u32 v[2:3], null, s0, s2, v[0:1]
	v_lshlrev_b64 v[0:1], 1, v[4:5]
	v_mul_lo_u32 v3, v3, s18
	s_delay_alu instid0(VALU_DEP_3)
	v_mul_lo_u32 v6, v2, s19
	s_cbranch_scc1 .LBB74_223
; %bb.222:
	v_mad_u64_u32 v[4:5], null, v2, s18, 0
	v_cvt_f16_f32_e64 v7, v144
	s_delay_alu instid0(VALU_DEP_2) | instskip(NEXT) | instid1(VALU_DEP_1)
	v_add3_u32 v5, v5, v6, v3
	v_lshlrev_b64 v[4:5], 1, v[4:5]
	s_delay_alu instid0(VALU_DEP_1) | instskip(NEXT) | instid1(VALU_DEP_2)
	v_add_co_u32 v4, vcc_lo, s4, v4
	v_add_co_ci_u32_e32 v5, vcc_lo, s5, v5, vcc_lo
	s_delay_alu instid0(VALU_DEP_2) | instskip(NEXT) | instid1(VALU_DEP_2)
	v_add_co_u32 v4, vcc_lo, v4, v0
	v_add_co_ci_u32_e32 v5, vcc_lo, v5, v1, vcc_lo
	global_store_b16 v[4:5], v7, off
.LBB74_223:
	s_cmp_eq_u64 s[6:7], 0
	s_cbranch_scc1 .LBB74_225
; %bb.224:
	v_mad_u64_u32 v[4:5], null, v2, s18, 0
	s_delay_alu instid0(VALU_DEP_1) | instskip(NEXT) | instid1(VALU_DEP_1)
	v_add3_u32 v5, v5, v6, v3
	v_lshlrev_b64 v[2:3], 1, v[4:5]
	v_cvt_f16_f32_e32 v4, v125
	s_delay_alu instid0(VALU_DEP_2) | instskip(NEXT) | instid1(VALU_DEP_3)
	v_add_co_u32 v2, vcc_lo, s6, v2
	v_add_co_ci_u32_e32 v3, vcc_lo, s7, v3, vcc_lo
	s_delay_alu instid0(VALU_DEP_2) | instskip(NEXT) | instid1(VALU_DEP_2)
	v_add_co_u32 v0, vcc_lo, v2, v0
	v_add_co_ci_u32_e32 v1, vcc_lo, v3, v1, vcc_lo
	global_store_b16 v[0:1], v4, off
.LBB74_225:
	s_endpgm
	.section	.rodata,"a",@progbits
	.p2align	6, 0x0
	.amdhsa_kernel _ZN2at6native12_GLOBAL__N_135GammaBetaBackwardCUDAKernelTemplateIN3c104HalfEfLj64ELj1ELj32ELb1ELb0ELb0EEEvllPKT_S7_PKT0_SA_PS5_SB_
		.amdhsa_group_segment_fixed_size 0
		.amdhsa_private_segment_fixed_size 316
		.amdhsa_kernarg_size 320
		.amdhsa_user_sgpr_count 14
		.amdhsa_user_sgpr_dispatch_ptr 0
		.amdhsa_user_sgpr_queue_ptr 0
		.amdhsa_user_sgpr_kernarg_segment_ptr 1
		.amdhsa_user_sgpr_dispatch_id 0
		.amdhsa_user_sgpr_private_segment_size 0
		.amdhsa_wavefront_size32 1
		.amdhsa_uses_dynamic_stack 0
		.amdhsa_enable_private_segment 1
		.amdhsa_system_sgpr_workgroup_id_x 1
		.amdhsa_system_sgpr_workgroup_id_y 1
		.amdhsa_system_sgpr_workgroup_id_z 0
		.amdhsa_system_sgpr_workgroup_info 0
		.amdhsa_system_vgpr_workitem_id 1
		.amdhsa_next_free_vgpr 256
		.amdhsa_next_free_sgpr 36
		.amdhsa_reserve_vcc 1
		.amdhsa_float_round_mode_32 0
		.amdhsa_float_round_mode_16_64 0
		.amdhsa_float_denorm_mode_32 3
		.amdhsa_float_denorm_mode_16_64 3
		.amdhsa_dx10_clamp 1
		.amdhsa_ieee_mode 1
		.amdhsa_fp16_overflow 0
		.amdhsa_workgroup_processor_mode 1
		.amdhsa_memory_ordered 1
		.amdhsa_forward_progress 0
		.amdhsa_shared_vgpr_count 0
		.amdhsa_exception_fp_ieee_invalid_op 0
		.amdhsa_exception_fp_denorm_src 0
		.amdhsa_exception_fp_ieee_div_zero 0
		.amdhsa_exception_fp_ieee_overflow 0
		.amdhsa_exception_fp_ieee_underflow 0
		.amdhsa_exception_fp_ieee_inexact 0
		.amdhsa_exception_int_div_zero 0
	.end_amdhsa_kernel
	.section	.text._ZN2at6native12_GLOBAL__N_135GammaBetaBackwardCUDAKernelTemplateIN3c104HalfEfLj64ELj1ELj32ELb1ELb0ELb0EEEvllPKT_S7_PKT0_SA_PS5_SB_,"axG",@progbits,_ZN2at6native12_GLOBAL__N_135GammaBetaBackwardCUDAKernelTemplateIN3c104HalfEfLj64ELj1ELj32ELb1ELb0ELb0EEEvllPKT_S7_PKT0_SA_PS5_SB_,comdat
.Lfunc_end74:
	.size	_ZN2at6native12_GLOBAL__N_135GammaBetaBackwardCUDAKernelTemplateIN3c104HalfEfLj64ELj1ELj32ELb1ELb0ELb0EEEvllPKT_S7_PKT0_SA_PS5_SB_, .Lfunc_end74-_ZN2at6native12_GLOBAL__N_135GammaBetaBackwardCUDAKernelTemplateIN3c104HalfEfLj64ELj1ELj32ELb1ELb0ELb0EEEvllPKT_S7_PKT0_SA_PS5_SB_
                                        ; -- End function
	.section	.AMDGPU.csdata,"",@progbits
; Kernel info:
; codeLenInByte = 30432
; NumSgprs: 38
; NumVgprs: 256
; ScratchSize: 316
; MemoryBound: 0
; FloatMode: 240
; IeeeMode: 1
; LDSByteSize: 0 bytes/workgroup (compile time only)
; SGPRBlocks: 4
; VGPRBlocks: 31
; NumSGPRsForWavesPerEU: 38
; NumVGPRsForWavesPerEU: 256
; Occupancy: 5
; WaveLimiterHint : 0
; COMPUTE_PGM_RSRC2:SCRATCH_EN: 1
; COMPUTE_PGM_RSRC2:USER_SGPR: 14
; COMPUTE_PGM_RSRC2:TRAP_HANDLER: 0
; COMPUTE_PGM_RSRC2:TGID_X_EN: 1
; COMPUTE_PGM_RSRC2:TGID_Y_EN: 1
; COMPUTE_PGM_RSRC2:TGID_Z_EN: 0
; COMPUTE_PGM_RSRC2:TIDIG_COMP_CNT: 1
	.section	.text._ZN2at6native12_GLOBAL__N_135GammaBetaBackwardCUDAKernelTemplateIN3c104HalfEfLj64ELj1ELj8ELb1ELb1ELb0EEEvllPKT_S7_PKT0_SA_PS5_SB_,"axG",@progbits,_ZN2at6native12_GLOBAL__N_135GammaBetaBackwardCUDAKernelTemplateIN3c104HalfEfLj64ELj1ELj8ELb1ELb1ELb0EEEvllPKT_S7_PKT0_SA_PS5_SB_,comdat
	.globl	_ZN2at6native12_GLOBAL__N_135GammaBetaBackwardCUDAKernelTemplateIN3c104HalfEfLj64ELj1ELj8ELb1ELb1ELb0EEEvllPKT_S7_PKT0_SA_PS5_SB_ ; -- Begin function _ZN2at6native12_GLOBAL__N_135GammaBetaBackwardCUDAKernelTemplateIN3c104HalfEfLj64ELj1ELj8ELb1ELb1ELb0EEEvllPKT_S7_PKT0_SA_PS5_SB_
	.p2align	8
	.type	_ZN2at6native12_GLOBAL__N_135GammaBetaBackwardCUDAKernelTemplateIN3c104HalfEfLj64ELj1ELj8ELb1ELb1ELb0EEEvllPKT_S7_PKT0_SA_PS5_SB_,@function
_ZN2at6native12_GLOBAL__N_135GammaBetaBackwardCUDAKernelTemplateIN3c104HalfEfLj64ELj1ELj8ELb1ELb1ELb0EEEvllPKT_S7_PKT0_SA_PS5_SB_: ; @_ZN2at6native12_GLOBAL__N_135GammaBetaBackwardCUDAKernelTemplateIN3c104HalfEfLj64ELj1ELj8ELb1ELb1ELb0EEEvllPKT_S7_PKT0_SA_PS5_SB_
; %bb.0:
	s_load_b128 s[16:19], s[0:1], 0x0
	s_mov_b32 s13, 0
	s_lshl_b32 s12, s15, 3
	v_bfe_u32 v6, v0, 10, 10
	s_mov_b32 s2, s15
	s_waitcnt lgkmcnt(0)
	v_cmp_lt_i64_e64 s3, s[12:13], s[16:17]
	s_delay_alu instid0(VALU_DEP_1)
	s_and_b32 vcc_lo, exec_lo, s3
	s_cbranch_vccnz .LBB75_2
; %bb.1:
	v_bfe_u32 v1, v0, 10, 10
	s_add_u32 s24, s0, 64
	s_addc_u32 s25, s1, 0
	s_mov_b32 s4, 0
	s_mov_b32 s3, s13
	s_branch .LBB75_3
.LBB75_2:
	s_mov_b32 s3, -1
                                        ; implicit-def: $sgpr4
                                        ; implicit-def: $sgpr24_sgpr25
                                        ; implicit-def: $vgpr1
.LBB75_3:
	s_load_b128 s[20:23], s[0:1], 0x30
	v_dual_mov_b32 v8, s4 :: v_dual_and_b32 v7, 0x3ff, v0
	v_mov_b32_e32 v5, s4
	s_and_not1_b32 vcc_lo, exec_lo, s3
	s_cbranch_vccnz .LBB75_11
; %bb.4:
	s_clause 0x2
	s_load_b32 s3, s[0:1], 0x4c
	s_load_b32 s15, s[0:1], 0x44
	s_load_b256 s[4:11], s[0:1], 0x10
	v_dual_mov_b32 v1, 0 :: v_dual_lshlrev_b32 v0, 3, v6
	s_add_u32 s24, s0, 64
	s_addc_u32 s25, s1, 0
	v_dual_mov_b32 v8, 8 :: v_dual_mov_b32 v9, 4
	s_delay_alu instid0(VALU_DEP_2) | instskip(NEXT) | instid1(VALU_DEP_1)
	v_add_co_u32 v2, s0, v0, s12
	v_add_co_ci_u32_e64 v3, null, 0, 0, s0
	v_lshl_add_u32 v0, s14, 6, v7
	s_delay_alu instid0(VALU_DEP_3) | instskip(SKIP_1) | instid1(VALU_DEP_4)
	v_mul_lo_u32 v17, s19, v2
	v_mad_u64_u32 v[4:5], null, s18, v2, 0
	v_mul_lo_u32 v18, s18, v3
	s_delay_alu instid0(VALU_DEP_4)
	v_lshlrev_b64 v[15:16], 1, v[0:1]
	v_dual_mov_b32 v10, 12 :: v_dual_mov_b32 v11, 16
	s_waitcnt lgkmcnt(0)
	s_and_b32 s0, s3, 0xffff
	s_lshl_b32 s26, s15, 3
	v_mad_u32_u24 v14, v6, s0, v7
	s_mul_i32 s1, s19, s26
	v_add3_u32 v5, v5, v18, v17
	s_mul_hi_u32 s3, s18, s26
	v_dual_mov_b32 v12, 20 :: v_dual_mov_b32 v13, 24
	v_dual_mov_b32 v14, 28 :: v_dual_and_b32 v19, 31, v14
	s_delay_alu instid0(VALU_DEP_3) | instskip(SKIP_2) | instid1(VALU_DEP_2)
	v_lshlrev_b64 v[17:18], 1, v[4:5]
	s_mov_b32 s27, 0
	s_add_i32 s31, s3, s1
	v_add_co_u32 v2, vcc_lo, v2, v19
	v_add_co_ci_u32_e32 v3, vcc_lo, 0, v3, vcc_lo
	s_delay_alu instid0(VALU_DEP_3) | instskip(SKIP_1) | instid1(VALU_DEP_3)
	v_add_co_u32 v0, vcc_lo, v17, v15
	v_cmp_gt_u32_e64 s0, 8, v19
	v_lshlrev_b64 v[4:5], 2, v[2:3]
	v_add_co_ci_u32_e32 v15, vcc_lo, v18, v16, vcc_lo
	v_dual_mov_b32 v17, 0 :: v_dual_mov_b32 v16, 0
	s_mul_i32 s30, s18, s26
	s_lshl_b64 s[28:29], s[26:27], 2
	s_lshl_b64 s[30:31], s[30:31], 1
	;; [unrolled: 1-line block ×3, first 2 shown]
	s_branch .LBB75_7
.LBB75_5:                               ;   in Loop: Header=BB75_7 Depth=1
	s_or_b32 exec_lo, exec_lo, s3
.LBB75_6:                               ;   in Loop: Header=BB75_7 Depth=1
	s_delay_alu instid0(SALU_CYCLE_1) | instskip(SKIP_4) | instid1(VALU_DEP_4)
	s_or_b32 exec_lo, exec_lo, s1
	v_add_co_u32 v20, vcc_lo, s4, v0
	v_add_co_ci_u32_e32 v21, vcc_lo, s5, v15, vcc_lo
	v_add_co_u32 v22, vcc_lo, s6, v0
	v_add_co_ci_u32_e32 v23, vcc_lo, s7, v15, vcc_lo
	v_add_co_u32 v24, vcc_lo, v20, s34
	s_delay_alu instid0(VALU_DEP_4) | instskip(NEXT) | instid1(VALU_DEP_4)
	v_add_co_ci_u32_e32 v25, vcc_lo, s35, v21, vcc_lo
	v_add_co_u32 v26, vcc_lo, v22, s34
	s_delay_alu instid0(VALU_DEP_4) | instskip(NEXT) | instid1(VALU_DEP_4)
	v_add_co_ci_u32_e32 v27, vcc_lo, s35, v23, vcc_lo
	v_add_co_u32 v28, vcc_lo, v24, s34
	s_delay_alu instid0(VALU_DEP_4)
	v_add_co_ci_u32_e32 v29, vcc_lo, s35, v25, vcc_lo
	global_load_u16 v30, v[20:21], off
	global_load_u16 v31, v[22:23], off
	;; [unrolled: 1-line block ×5, first 2 shown]
	v_add_co_u32 v20, vcc_lo, v26, s34
	v_add_co_ci_u32_e32 v21, vcc_lo, s35, v27, vcc_lo
	v_add_co_u32 v22, vcc_lo, v28, s34
	v_add_co_ci_u32_e32 v23, vcc_lo, s35, v29, vcc_lo
	s_delay_alu instid0(VALU_DEP_4) | instskip(NEXT) | instid1(VALU_DEP_4)
	v_add_co_u32 v24, vcc_lo, v20, s34
	v_add_co_ci_u32_e32 v25, vcc_lo, s35, v21, vcc_lo
	s_delay_alu instid0(VALU_DEP_4) | instskip(NEXT) | instid1(VALU_DEP_4)
	;; [unrolled: 3-line block ×3, first 2 shown]
	v_add_co_u32 v28, vcc_lo, v24, s34
	v_add_co_ci_u32_e32 v29, vcc_lo, s35, v25, vcc_lo
	global_load_u16 v35, v[20:21], off
	global_load_u16 v36, v[22:23], off
	;; [unrolled: 1-line block ×5, first 2 shown]
	v_add_co_u32 v20, vcc_lo, v26, s34
	v_add_co_ci_u32_e32 v21, vcc_lo, s35, v27, vcc_lo
	v_add_co_u32 v22, vcc_lo, v28, s34
	v_add_co_ci_u32_e32 v23, vcc_lo, s35, v29, vcc_lo
	s_delay_alu instid0(VALU_DEP_4) | instskip(NEXT) | instid1(VALU_DEP_4)
	v_add_co_u32 v24, vcc_lo, v20, s34
	v_add_co_ci_u32_e32 v25, vcc_lo, s35, v21, vcc_lo
	s_delay_alu instid0(VALU_DEP_4) | instskip(NEXT) | instid1(VALU_DEP_4)
	v_add_co_u32 v26, vcc_lo, v22, s34
	v_add_co_ci_u32_e32 v27, vcc_lo, s35, v23, vcc_lo
	global_load_u16 v28, v[20:21], off
	global_load_u16 v29, v[22:23], off
	global_load_u16 v40, v[24:25], off
	global_load_u16 v41, v[26:27], off
	v_add_co_u32 v20, vcc_lo, v26, s34
	v_add_co_ci_u32_e32 v21, vcc_lo, s35, v27, vcc_lo
	v_add_co_u32 v22, vcc_lo, v24, s34
	v_add_co_ci_u32_e32 v23, vcc_lo, s35, v25, vcc_lo
	global_load_u16 v20, v[20:21], off
	global_load_u16 v21, v[22:23], off
	s_waitcnt vmcnt(17)
	ds_bpermute_b32 v22, v1, v18
	ds_bpermute_b32 v25, v9, v18
	s_waitcnt vmcnt(16)
	ds_bpermute_b32 v23, v1, v19
	ds_bpermute_b32 v27, v8, v18
	;; [unrolled: 1-line block ×14, first 2 shown]
	v_add_co_u32 v4, vcc_lo, v4, s28
	s_add_u32 s12, s12, s26
	v_add_co_ci_u32_e32 v5, vcc_lo, s29, v5, vcc_lo
	s_addc_u32 s13, s13, 0
	v_add_co_u32 v2, vcc_lo, v2, s26
	v_add_co_ci_u32_e32 v3, vcc_lo, 0, v3, vcc_lo
	v_cmp_lt_i64_e64 s1, s[12:13], s[16:17]
	v_add_co_u32 v0, vcc_lo, v0, s30
	v_add_co_ci_u32_e32 v15, vcc_lo, s31, v15, vcc_lo
	s_delay_alu instid0(VALU_DEP_3)
	s_and_b32 vcc_lo, exec_lo, s1
	s_waitcnt vmcnt(15)
	v_cvt_f32_f16_e32 v30, v30
	s_waitcnt vmcnt(14)
	v_cvt_f32_f16_e32 v31, v31
	;; [unrolled: 2-line block ×3, first 2 shown]
	s_waitcnt lgkmcnt(15)
	s_delay_alu instid0(VALU_DEP_2)
	v_sub_f32_e32 v22, v31, v22
	v_cvt_f32_f16_e32 v31, v32
	s_waitcnt lgkmcnt(14)
	v_sub_f32_e32 v25, v33, v25
	s_waitcnt vmcnt(10)
	v_cvt_f32_f16_e32 v32, v35
	v_mul_f32_e32 v22, v22, v30
	v_add_f32_e32 v17, v17, v30
	v_cvt_f32_f16_e32 v30, v34
	s_waitcnt lgkmcnt(13)
	s_delay_alu instid0(VALU_DEP_3)
	v_fmac_f32_e32 v16, v22, v23
	v_mul_f32_e32 v22, v25, v31
	s_waitcnt lgkmcnt(12)
	v_sub_f32_e32 v23, v32, v27
	s_waitcnt vmcnt(8)
	v_cvt_f32_f16_e32 v25, v37
	v_add_f32_e32 v17, v17, v31
	v_cvt_f32_f16_e32 v27, v36
	s_waitcnt lgkmcnt(11)
	v_fmac_f32_e32 v16, v22, v24
	s_waitcnt lgkmcnt(10)
	v_dual_mul_f32 v22, v23, v30 :: v_dual_sub_f32 v23, v25, v43
	s_waitcnt vmcnt(6)
	v_cvt_f32_f16_e32 v24, v39
	v_add_f32_e32 v17, v17, v30
	v_cvt_f32_f16_e32 v25, v38
	s_waitcnt lgkmcnt(9)
	v_fmac_f32_e32 v16, v22, v26
	s_waitcnt lgkmcnt(8)
	v_dual_mul_f32 v22, v23, v27 :: v_dual_sub_f32 v23, v24, v45
	v_add_f32_e32 v17, v17, v27
	s_waitcnt vmcnt(4)
	v_cvt_f32_f16_e32 v24, v29
	v_cvt_f32_f16_e32 v26, v28
	s_waitcnt lgkmcnt(7)
	v_dual_fmac_f32 v16, v22, v42 :: v_dual_add_f32 v17, v17, v25
	s_waitcnt lgkmcnt(6)
	v_dual_mul_f32 v22, v23, v25 :: v_dual_sub_f32 v23, v24, v47
	s_waitcnt vmcnt(2)
	v_cvt_f32_f16_e32 v24, v41
	v_cvt_f32_f16_e32 v25, v40
	s_waitcnt lgkmcnt(5)
	v_dual_add_f32 v17, v17, v26 :: v_dual_fmac_f32 v16, v22, v44
	s_waitcnt lgkmcnt(4)
	v_dual_mul_f32 v22, v23, v26 :: v_dual_sub_f32 v23, v24, v49
	s_waitcnt vmcnt(1)
	v_cvt_f32_f16_e32 v20, v20
	s_waitcnt vmcnt(0)
	v_cvt_f32_f16_e32 v21, v21
	s_waitcnt lgkmcnt(3)
	v_dual_add_f32 v17, v17, v25 :: v_dual_fmac_f32 v16, v22, v46
	v_mul_f32_e32 v22, v23, v25
	s_waitcnt lgkmcnt(2)
	s_delay_alu instid0(VALU_DEP_2) | instskip(SKIP_1) | instid1(VALU_DEP_2)
	v_dual_sub_f32 v18, v20, v18 :: v_dual_add_f32 v17, v17, v21
	s_waitcnt lgkmcnt(1)
	v_fmac_f32_e32 v16, v22, v48
	s_delay_alu instid0(VALU_DEP_2) | instskip(SKIP_1) | instid1(VALU_DEP_1)
	v_mul_f32_e32 v18, v18, v21
	s_waitcnt lgkmcnt(0)
	v_fmac_f32_e32 v16, v18, v19
	s_cbranch_vccz .LBB75_10
.LBB75_7:                               ; =>This Inner Loop Header: Depth=1
	v_dual_mov_b32 v19, 0 :: v_dual_mov_b32 v18, 0
	s_and_saveexec_b32 s1, s0
	s_cbranch_execz .LBB75_6
; %bb.8:                                ;   in Loop: Header=BB75_7 Depth=1
	v_dual_mov_b32 v18, 0 :: v_dual_mov_b32 v19, 0
	s_mov_b32 s3, exec_lo
	v_cmpx_gt_i64_e64 s[16:17], v[2:3]
	s_cbranch_execz .LBB75_5
; %bb.9:                                ;   in Loop: Header=BB75_7 Depth=1
	v_add_co_u32 v18, vcc_lo, s8, v4
	v_add_co_ci_u32_e32 v19, vcc_lo, s9, v5, vcc_lo
	v_add_co_u32 v20, vcc_lo, s10, v4
	v_add_co_ci_u32_e32 v21, vcc_lo, s11, v5, vcc_lo
	global_load_b32 v18, v[18:19], off
	global_load_b32 v19, v[20:21], off
	s_branch .LBB75_5
.LBB75_10:
	s_delay_alu instid0(VALU_DEP_1)
	v_cvt_f16_f32_e32 v8, v16
	v_cvt_f16_f32_e32 v5, v17
	v_mov_b32_e32 v1, v6
.LBB75_11:
	s_load_b32 s0, s[24:25], 0xc
	v_mov_b32_e32 v2, 0
	s_mov_b32 s15, 0
	s_waitcnt lgkmcnt(0)
	s_lshr_b32 s0, s0, 16
	s_delay_alu instid0(VALU_DEP_1) | instid1(SALU_CYCLE_1)
	v_mad_u64_u32 v[3:4], null, s0, s2, v[1:2]
	s_lshl_b64 s[0:1], s[14:15], 6
	s_cmp_eq_u64 s[20:21], 0
	v_add_co_u32 v0, s0, s0, v7
	s_delay_alu instid0(VALU_DEP_1) | instskip(NEXT) | instid1(VALU_DEP_3)
	v_add_co_ci_u32_e64 v1, null, s1, 0, s0
	v_mul_lo_u32 v2, v4, s18
	s_delay_alu instid0(VALU_DEP_4) | instskip(NEXT) | instid1(VALU_DEP_3)
	v_mul_lo_u32 v4, v3, s19
	v_lshlrev_b64 v[0:1], 1, v[0:1]
	s_cbranch_scc1 .LBB75_13
; %bb.12:
	v_mad_u64_u32 v[6:7], null, v3, s18, 0
	s_delay_alu instid0(VALU_DEP_1) | instskip(NEXT) | instid1(VALU_DEP_1)
	v_add3_u32 v7, v7, v4, v2
	v_lshlrev_b64 v[6:7], 1, v[6:7]
	s_delay_alu instid0(VALU_DEP_1) | instskip(NEXT) | instid1(VALU_DEP_2)
	v_add_co_u32 v6, vcc_lo, s20, v6
	v_add_co_ci_u32_e32 v7, vcc_lo, s21, v7, vcc_lo
	s_delay_alu instid0(VALU_DEP_2) | instskip(NEXT) | instid1(VALU_DEP_2)
	v_add_co_u32 v6, vcc_lo, v6, v0
	v_add_co_ci_u32_e32 v7, vcc_lo, v7, v1, vcc_lo
	global_store_b16 v[6:7], v8, off
.LBB75_13:
	s_cmp_eq_u64 s[22:23], 0
	s_cbranch_scc1 .LBB75_15
; %bb.14:
	v_mad_u64_u32 v[6:7], null, v3, s18, 0
	s_delay_alu instid0(VALU_DEP_1) | instskip(NEXT) | instid1(VALU_DEP_1)
	v_add3_u32 v7, v7, v4, v2
	v_lshlrev_b64 v[2:3], 1, v[6:7]
	s_delay_alu instid0(VALU_DEP_1) | instskip(NEXT) | instid1(VALU_DEP_2)
	v_add_co_u32 v2, vcc_lo, s22, v2
	v_add_co_ci_u32_e32 v3, vcc_lo, s23, v3, vcc_lo
	s_delay_alu instid0(VALU_DEP_2) | instskip(NEXT) | instid1(VALU_DEP_2)
	v_add_co_u32 v0, vcc_lo, v2, v0
	v_add_co_ci_u32_e32 v1, vcc_lo, v3, v1, vcc_lo
	global_store_b16 v[0:1], v5, off
.LBB75_15:
	s_nop 0
	s_sendmsg sendmsg(MSG_DEALLOC_VGPRS)
	s_endpgm
	.section	.rodata,"a",@progbits
	.p2align	6, 0x0
	.amdhsa_kernel _ZN2at6native12_GLOBAL__N_135GammaBetaBackwardCUDAKernelTemplateIN3c104HalfEfLj64ELj1ELj8ELb1ELb1ELb0EEEvllPKT_S7_PKT0_SA_PS5_SB_
		.amdhsa_group_segment_fixed_size 0
		.amdhsa_private_segment_fixed_size 0
		.amdhsa_kernarg_size 320
		.amdhsa_user_sgpr_count 14
		.amdhsa_user_sgpr_dispatch_ptr 0
		.amdhsa_user_sgpr_queue_ptr 0
		.amdhsa_user_sgpr_kernarg_segment_ptr 1
		.amdhsa_user_sgpr_dispatch_id 0
		.amdhsa_user_sgpr_private_segment_size 0
		.amdhsa_wavefront_size32 1
		.amdhsa_uses_dynamic_stack 0
		.amdhsa_enable_private_segment 0
		.amdhsa_system_sgpr_workgroup_id_x 1
		.amdhsa_system_sgpr_workgroup_id_y 1
		.amdhsa_system_sgpr_workgroup_id_z 0
		.amdhsa_system_sgpr_workgroup_info 0
		.amdhsa_system_vgpr_workitem_id 1
		.amdhsa_next_free_vgpr 50
		.amdhsa_next_free_sgpr 36
		.amdhsa_reserve_vcc 1
		.amdhsa_float_round_mode_32 0
		.amdhsa_float_round_mode_16_64 0
		.amdhsa_float_denorm_mode_32 3
		.amdhsa_float_denorm_mode_16_64 3
		.amdhsa_dx10_clamp 1
		.amdhsa_ieee_mode 1
		.amdhsa_fp16_overflow 0
		.amdhsa_workgroup_processor_mode 1
		.amdhsa_memory_ordered 1
		.amdhsa_forward_progress 0
		.amdhsa_shared_vgpr_count 0
		.amdhsa_exception_fp_ieee_invalid_op 0
		.amdhsa_exception_fp_denorm_src 0
		.amdhsa_exception_fp_ieee_div_zero 0
		.amdhsa_exception_fp_ieee_overflow 0
		.amdhsa_exception_fp_ieee_underflow 0
		.amdhsa_exception_fp_ieee_inexact 0
		.amdhsa_exception_int_div_zero 0
	.end_amdhsa_kernel
	.section	.text._ZN2at6native12_GLOBAL__N_135GammaBetaBackwardCUDAKernelTemplateIN3c104HalfEfLj64ELj1ELj8ELb1ELb1ELb0EEEvllPKT_S7_PKT0_SA_PS5_SB_,"axG",@progbits,_ZN2at6native12_GLOBAL__N_135GammaBetaBackwardCUDAKernelTemplateIN3c104HalfEfLj64ELj1ELj8ELb1ELb1ELb0EEEvllPKT_S7_PKT0_SA_PS5_SB_,comdat
.Lfunc_end75:
	.size	_ZN2at6native12_GLOBAL__N_135GammaBetaBackwardCUDAKernelTemplateIN3c104HalfEfLj64ELj1ELj8ELb1ELb1ELb0EEEvllPKT_S7_PKT0_SA_PS5_SB_, .Lfunc_end75-_ZN2at6native12_GLOBAL__N_135GammaBetaBackwardCUDAKernelTemplateIN3c104HalfEfLj64ELj1ELj8ELb1ELb1ELb0EEEvllPKT_S7_PKT0_SA_PS5_SB_
                                        ; -- End function
	.section	.AMDGPU.csdata,"",@progbits
; Kernel info:
; codeLenInByte = 1620
; NumSgprs: 38
; NumVgprs: 50
; ScratchSize: 0
; MemoryBound: 0
; FloatMode: 240
; IeeeMode: 1
; LDSByteSize: 0 bytes/workgroup (compile time only)
; SGPRBlocks: 4
; VGPRBlocks: 6
; NumSGPRsForWavesPerEU: 38
; NumVGPRsForWavesPerEU: 50
; Occupancy: 16
; WaveLimiterHint : 0
; COMPUTE_PGM_RSRC2:SCRATCH_EN: 0
; COMPUTE_PGM_RSRC2:USER_SGPR: 14
; COMPUTE_PGM_RSRC2:TRAP_HANDLER: 0
; COMPUTE_PGM_RSRC2:TGID_X_EN: 1
; COMPUTE_PGM_RSRC2:TGID_Y_EN: 1
; COMPUTE_PGM_RSRC2:TGID_Z_EN: 0
; COMPUTE_PGM_RSRC2:TIDIG_COMP_CNT: 1
	.section	.text._ZN2at6native12_GLOBAL__N_135GammaBetaBackwardCUDAKernelTemplateIN3c104HalfEfLj64ELj1ELj8ELb1ELb0ELb0EEEvllPKT_S7_PKT0_SA_PS5_SB_,"axG",@progbits,_ZN2at6native12_GLOBAL__N_135GammaBetaBackwardCUDAKernelTemplateIN3c104HalfEfLj64ELj1ELj8ELb1ELb0ELb0EEEvllPKT_S7_PKT0_SA_PS5_SB_,comdat
	.globl	_ZN2at6native12_GLOBAL__N_135GammaBetaBackwardCUDAKernelTemplateIN3c104HalfEfLj64ELj1ELj8ELb1ELb0ELb0EEEvllPKT_S7_PKT0_SA_PS5_SB_ ; -- Begin function _ZN2at6native12_GLOBAL__N_135GammaBetaBackwardCUDAKernelTemplateIN3c104HalfEfLj64ELj1ELj8ELb1ELb0ELb0EEEvllPKT_S7_PKT0_SA_PS5_SB_
	.p2align	8
	.type	_ZN2at6native12_GLOBAL__N_135GammaBetaBackwardCUDAKernelTemplateIN3c104HalfEfLj64ELj1ELj8ELb1ELb0ELb0EEEvllPKT_S7_PKT0_SA_PS5_SB_,@function
_ZN2at6native12_GLOBAL__N_135GammaBetaBackwardCUDAKernelTemplateIN3c104HalfEfLj64ELj1ELj8ELb1ELb0ELb0EEEvllPKT_S7_PKT0_SA_PS5_SB_: ; @_ZN2at6native12_GLOBAL__N_135GammaBetaBackwardCUDAKernelTemplateIN3c104HalfEfLj64ELj1ELj8ELb1ELb0ELb0EEEvllPKT_S7_PKT0_SA_PS5_SB_
; %bb.0:
	s_clause 0x1
	s_load_b256 s[16:23], s[0:1], 0x0
	s_load_b128 s[36:39], s[0:1], 0x20
	s_mov_b32 s2, s15
	s_mov_b32 s5, 0
	s_lshl_b32 s12, s2, 3
	s_mov_b32 s13, s5
	s_lshl_b32 s15, s14, 6
	s_delay_alu instid0(SALU_CYCLE_1) | instskip(SKIP_3) | instid1(VALU_DEP_2)
	s_or_b32 s4, s15, 63
	s_waitcnt lgkmcnt(0)
	v_cmp_lt_i64_e64 s33, s[12:13], s[16:17]
	v_cmp_ge_i64_e64 s3, s[4:5], s[18:19]
	v_cndmask_b32_e64 v1, 0, 1, s33
	s_delay_alu instid0(VALU_DEP_2) | instskip(NEXT) | instid1(VALU_DEP_1)
	s_and_b32 vcc_lo, exec_lo, s3
	v_cmp_ne_u32_e64 s3, 1, v1
	s_cbranch_vccz .LBB76_49
; %bb.1:
	v_dual_mov_b32 v6, 0 :: v_dual_mov_b32 v61, 0
	s_delay_alu instid0(VALU_DEP_2)
	s_and_b32 vcc_lo, exec_lo, s3
	s_cbranch_vccnz .LBB76_50
; %bb.2:
	v_bfe_u32 v29, v0, 10, 10
	s_load_b32 s4, s[0:1], 0x44
	v_dual_mov_b32 v2, 0 :: v_dual_and_b32 v31, 0x3ff, v0
	s_add_u32 s6, s0, 64
	s_delay_alu instid0(VALU_DEP_2) | instskip(NEXT) | instid1(VALU_DEP_2)
	v_dual_mov_b32 v61, 0 :: v_dual_lshlrev_b32 v30, 3, v29
	v_dual_mov_b32 v32, v2 :: v_dual_add_nc_u32 v1, s15, v31
	s_addc_u32 s7, s1, 0
	s_delay_alu instid0(VALU_DEP_2) | instskip(NEXT) | instid1(VALU_DEP_1)
	v_add_co_u32 v9, s3, v30, s12
	v_add_co_ci_u32_e64 v10, null, 0, 0, s3
	s_delay_alu instid0(VALU_DEP_3) | instskip(NEXT) | instid1(VALU_DEP_3)
	v_cmp_gt_i64_e64 s3, s[18:19], v[1:2]
	v_add_co_u32 v5, vcc_lo, v9, 7
	s_delay_alu instid0(VALU_DEP_3) | instskip(SKIP_1) | instid1(VALU_DEP_3)
	v_add_co_ci_u32_e32 v3, vcc_lo, 0, v10, vcc_lo
	v_add_co_u32 v8, vcc_lo, v9, 6
	v_mul_lo_u32 v6, s19, v5
	s_delay_alu instid0(VALU_DEP_3)
	v_mul_lo_u32 v7, s18, v3
	v_mad_u64_u32 v[3:4], null, s18, v5, 0
	v_add_co_ci_u32_e32 v5, vcc_lo, 0, v10, vcc_lo
	v_lshlrev_b64 v[25:26], 1, v[1:2]
	v_mul_lo_u32 v1, s19, v8
	s_waitcnt lgkmcnt(0)
	s_lshl_b32 s40, s4, 3
	v_mov_b32_e32 v66, 0
	v_add3_u32 v4, v4, v7, v6
	v_mul_lo_u32 v7, s18, v5
	v_mad_u64_u32 v[5:6], null, s18, v8, 0
	s_mul_i32 s4, s19, s40
	s_delay_alu instid0(VALU_DEP_3) | instskip(SKIP_4) | instid1(VALU_DEP_2)
	v_lshlrev_b64 v[3:4], 1, v[3:4]
	s_mul_hi_u32 s8, s18, s40
	s_mul_i32 s10, s18, s40
	s_add_i32 s11, s8, s4
	s_mov_b32 s24, 0
	v_add3_u32 v6, v6, v7, v1
	v_add_co_u32 v33, vcc_lo, s20, v3
	v_add_co_ci_u32_e32 v34, vcc_lo, s21, v4, vcc_lo
	v_add_co_u32 v1, vcc_lo, v9, 5
	v_add_co_u32 v35, s4, s22, v3
	s_delay_alu instid0(VALU_DEP_1) | instskip(SKIP_4) | instid1(VALU_DEP_3)
	v_add_co_ci_u32_e64 v36, s4, s23, v4, s4
	v_lshlrev_b64 v[3:4], 1, v[5:6]
	v_add_co_ci_u32_e32 v5, vcc_lo, 0, v10, vcc_lo
	v_add_co_u32 v12, vcc_lo, v9, 4
	v_mul_lo_u32 v11, s19, v1
	v_mul_lo_u32 v13, s18, v5
	v_mad_u64_u32 v[5:6], null, s18, v1, 0
	v_add_co_ci_u32_e32 v7, vcc_lo, 0, v10, vcc_lo
	v_mul_lo_u32 v1, s19, v12
	v_add_co_u32 v37, vcc_lo, s20, v3
	s_delay_alu instid0(VALU_DEP_3)
	v_mul_lo_u32 v14, s18, v7
	v_mad_u64_u32 v[7:8], null, s18, v12, 0
	v_add3_u32 v6, v6, v13, v11
	v_add_co_ci_u32_e32 v38, vcc_lo, s21, v4, vcc_lo
	v_add_co_u32 v39, vcc_lo, s22, v3
	v_add_co_ci_u32_e32 v40, vcc_lo, s23, v4, vcc_lo
	s_delay_alu instid0(VALU_DEP_4) | instskip(SKIP_3) | instid1(VALU_DEP_4)
	v_lshlrev_b64 v[3:4], 1, v[5:6]
	v_add3_u32 v8, v8, v14, v1
	v_add_co_u32 v1, vcc_lo, v9, 3
	v_add_co_ci_u32_e32 v11, vcc_lo, 0, v10, vcc_lo
	v_add_co_u32 v41, vcc_lo, s20, v3
	s_delay_alu instid0(VALU_DEP_4)
	v_lshlrev_b64 v[5:6], 1, v[7:8]
	v_add_co_ci_u32_e32 v42, vcc_lo, s21, v4, vcc_lo
	v_mul_lo_u32 v12, s19, v1
	v_mul_lo_u32 v11, s18, v11
	v_mad_u64_u32 v[7:8], null, s18, v1, 0
	v_add_co_u32 v43, vcc_lo, s22, v3
	v_add_co_ci_u32_e32 v44, vcc_lo, s23, v4, vcc_lo
	v_add_co_u32 v45, vcc_lo, s20, v5
	v_add_co_ci_u32_e32 v46, vcc_lo, s21, v6, vcc_lo
	v_add_co_u32 v1, vcc_lo, v9, 2
	v_add3_u32 v8, v8, v11, v12
	v_add_co_ci_u32_e32 v11, vcc_lo, 0, v10, vcc_lo
	v_add_co_u32 v47, vcc_lo, s22, v5
	v_add_co_ci_u32_e32 v48, vcc_lo, s23, v6, vcc_lo
	v_mul_lo_u32 v12, s19, v1
	s_delay_alu instid0(VALU_DEP_4)
	v_mul_lo_u32 v11, s18, v11
	v_mad_u64_u32 v[5:6], null, s18, v1, 0
	v_lshlrev_b64 v[3:4], 1, v[7:8]
	v_mul_lo_u32 v1, s19, v9
	v_mul_lo_u32 v10, s18, v10
	v_mad_u64_u32 v[7:8], null, s18, v9, 0
	s_mov_b64 s[8:9], 7
	s_delay_alu instid0(VALU_DEP_4)
	v_add_co_u32 v49, vcc_lo, s20, v3
	v_add3_u32 v6, v6, v11, v12
	v_add_co_ci_u32_e32 v50, vcc_lo, s21, v4, vcc_lo
	v_add_co_u32 v51, vcc_lo, s22, v3
	v_add3_u32 v8, v8, v10, v1
	v_add_co_ci_u32_e32 v52, vcc_lo, s23, v4, vcc_lo
	v_lshlrev_b64 v[3:4], 1, v[5:6]
	v_add_co_u32 v5, vcc_lo, v7, s18
	s_delay_alu instid0(VALU_DEP_4) | instskip(SKIP_1) | instid1(VALU_DEP_3)
	v_add_co_ci_u32_e32 v6, vcc_lo, s19, v8, vcc_lo
	s_lshl_b64 s[10:11], s[10:11], 1
	v_add_co_u32 v53, vcc_lo, s20, v3
	s_delay_alu instid0(VALU_DEP_2) | instskip(SKIP_3) | instid1(VALU_DEP_4)
	v_lshlrev_b64 v[5:6], 1, v[5:6]
	v_add_co_ci_u32_e32 v54, vcc_lo, s21, v4, vcc_lo
	v_add_co_u32 v55, vcc_lo, s22, v3
	v_add_co_ci_u32_e32 v56, vcc_lo, s23, v4, vcc_lo
	v_add_co_u32 v57, vcc_lo, s20, v5
	v_lshlrev_b64 v[3:4], 1, v[7:8]
	v_add_co_ci_u32_e32 v58, vcc_lo, s21, v6, vcc_lo
	v_add_co_u32 v59, vcc_lo, s22, v5
	v_add_co_ci_u32_e32 v60, vcc_lo, s23, v6, vcc_lo
	s_delay_alu instid0(VALU_DEP_4)
	v_add_co_u32 v62, vcc_lo, s20, v3
	v_add_co_ci_u32_e32 v63, vcc_lo, s21, v4, vcc_lo
	v_add_co_u32 v64, vcc_lo, s22, v3
	v_add_co_ci_u32_e32 v65, vcc_lo, s23, v4, vcc_lo
	s_mov_b64 s[34:35], s[12:13]
.LBB76_3:                               ; =>This Inner Loop Header: Depth=1
	s_add_u32 s26, s12, s8
	s_addc_u32 s27, 0, s9
	v_add_co_u32 v27, vcc_lo, s12, v30
	v_cmp_ge_i64_e64 s4, s[26:27], s[16:17]
	v_add_co_ci_u32_e32 v28, vcc_lo, 0, v32, vcc_lo
	s_delay_alu instid0(VALU_DEP_2)
	s_and_b32 vcc_lo, exec_lo, s4
	s_cbranch_vccz .LBB76_25
; %bb.4:                                ;   in Loop: Header=BB76_3 Depth=1
	s_load_b32 s4, s[6:7], 0xc
	v_dual_mov_b32 v67, 0 :: v_dual_mov_b32 v68, 0
	s_waitcnt lgkmcnt(0)
	s_and_b32 s4, s4, 0xffff
	s_delay_alu instid0(SALU_CYCLE_1) | instskip(SKIP_1) | instid1(VALU_DEP_1)
	v_mad_u32_u24 v1, v29, s4, v31
	s_mov_b32 s4, exec_lo
	v_and_b32_e32 v1, 31, v1
	s_delay_alu instid0(VALU_DEP_1)
	v_cmpx_gt_u32_e32 8, v1
	s_cbranch_execz .LBB76_8
; %bb.5:                                ;   in Loop: Header=BB76_3 Depth=1
	v_add_co_u32 v3, vcc_lo, v27, v1
	v_add_co_ci_u32_e32 v4, vcc_lo, 0, v28, vcc_lo
	v_dual_mov_b32 v67, 0 :: v_dual_mov_b32 v68, 0
	s_mov_b32 s25, exec_lo
	s_delay_alu instid0(VALU_DEP_2)
	v_cmpx_gt_i64_e64 s[16:17], v[3:4]
	s_cbranch_execz .LBB76_7
; %bb.6:                                ;   in Loop: Header=BB76_3 Depth=1
	v_lshlrev_b64 v[3:4], 2, v[3:4]
	s_delay_alu instid0(VALU_DEP_1) | instskip(NEXT) | instid1(VALU_DEP_2)
	v_add_co_u32 v5, vcc_lo, s36, v3
	v_add_co_ci_u32_e32 v6, vcc_lo, s37, v4, vcc_lo
	v_add_co_u32 v3, vcc_lo, s38, v3
	v_add_co_ci_u32_e32 v4, vcc_lo, s39, v4, vcc_lo
	global_load_b32 v67, v[5:6], off
	global_load_b32 v68, v[3:4], off
.LBB76_7:                               ;   in Loop: Header=BB76_3 Depth=1
	s_or_b32 exec_lo, exec_lo, s25
.LBB76_8:                               ;   in Loop: Header=BB76_3 Depth=1
	s_delay_alu instid0(SALU_CYCLE_1)
	s_or_b32 exec_lo, exec_lo, s4
	s_mov_b32 s30, s24
	s_mov_b32 s31, s24
	;; [unrolled: 1-line block ×7, first 2 shown]
	v_dual_mov_b32 v9, s24 :: v_dual_mov_b32 v10, s25
	v_dual_mov_b32 v15, s30 :: v_dual_mov_b32 v16, s31
	;; [unrolled: 1-line block ×4, first 2 shown]
	v_cmp_gt_i64_e32 vcc_lo, s[16:17], v[27:28]
	s_delay_alu instid0(VALU_DEP_4) | instskip(NEXT) | instid1(VALU_DEP_3)
	v_dual_mov_b32 v24, v16 :: v_dual_mov_b32 v23, v15
	v_dual_mov_b32 v21, v13 :: v_dual_mov_b32 v22, v14
	;; [unrolled: 1-line block ×4, first 2 shown]
	s_and_b32 s25, s3, vcc_lo
	s_delay_alu instid0(SALU_CYCLE_1)
	s_and_saveexec_b32 s4, s25
	s_cbranch_execz .LBB76_10
; %bb.9:                                ;   in Loop: Header=BB76_3 Depth=1
	v_add_co_u32 v3, vcc_lo, v62, v25
	v_add_co_ci_u32_e32 v4, vcc_lo, v63, v26, vcc_lo
	v_add_co_u32 v5, vcc_lo, v64, v25
	v_add_co_ci_u32_e32 v6, vcc_lo, v65, v26, vcc_lo
	v_mov_b32_e32 v8, v2
	global_load_u16 v1, v[3:4], off
	global_load_u16 v9, v[5:6], off
	v_mov_b32_e32 v3, v2
	v_mov_b32_e32 v4, v2
	;; [unrolled: 1-line block ×6, first 2 shown]
	s_waitcnt vmcnt(1)
	v_cvt_f32_f16_e32 v1, v1
	v_dual_mov_b32 v11, v2 :: v_dual_mov_b32 v24, v8
	v_dual_mov_b32 v10, v2 :: v_dual_mov_b32 v23, v7
	s_waitcnt vmcnt(0)
	v_cvt_f32_f16_e32 v9, v9
	v_dual_mov_b32 v12, v2 :: v_dual_mov_b32 v21, v5
	v_dual_mov_b32 v13, v2 :: v_dual_mov_b32 v20, v4
	;; [unrolled: 1-line block ×4, first 2 shown]
	v_mov_b32_e32 v22, v6
	v_mov_b32_e32 v18, v2
.LBB76_10:                              ;   in Loop: Header=BB76_3 Depth=1
	s_or_b32 exec_lo, exec_lo, s4
	v_add_co_u32 v3, vcc_lo, v27, 1
	v_add_co_ci_u32_e32 v4, vcc_lo, 0, v28, vcc_lo
	s_delay_alu instid0(VALU_DEP_1) | instskip(SKIP_1) | instid1(SALU_CYCLE_1)
	v_cmp_gt_i64_e32 vcc_lo, s[16:17], v[3:4]
	s_and_b32 s25, s3, vcc_lo
	s_and_saveexec_b32 s4, s25
	s_cbranch_execz .LBB76_12
; %bb.11:                               ;   in Loop: Header=BB76_3 Depth=1
	v_add_co_u32 v3, vcc_lo, v57, v25
	v_add_co_ci_u32_e32 v4, vcc_lo, v58, v26, vcc_lo
	v_add_co_u32 v5, vcc_lo, v59, v25
	v_add_co_ci_u32_e32 v6, vcc_lo, v60, v26, vcc_lo
	global_load_u16 v1, v[3:4], off
	global_load_u16 v3, v[5:6], off
	s_waitcnt vmcnt(1)
	v_cvt_f32_f16_e32 v18, v1
	s_waitcnt vmcnt(0)
	v_cvt_f32_f16_e32 v10, v3
.LBB76_12:                              ;   in Loop: Header=BB76_3 Depth=1
	s_or_b32 exec_lo, exec_lo, s4
	v_add_co_u32 v3, vcc_lo, v27, 2
	v_add_co_ci_u32_e32 v4, vcc_lo, 0, v28, vcc_lo
	s_delay_alu instid0(VALU_DEP_1) | instskip(SKIP_1) | instid1(SALU_CYCLE_1)
	v_cmp_gt_i64_e32 vcc_lo, s[16:17], v[3:4]
	s_and_b32 s25, s3, vcc_lo
	s_and_saveexec_b32 s4, s25
	s_cbranch_execz .LBB76_14
; %bb.13:                               ;   in Loop: Header=BB76_3 Depth=1
	v_add_co_u32 v3, vcc_lo, v53, v25
	v_add_co_ci_u32_e32 v4, vcc_lo, v54, v26, vcc_lo
	v_add_co_u32 v5, vcc_lo, v55, v25
	v_add_co_ci_u32_e32 v6, vcc_lo, v56, v26, vcc_lo
	global_load_u16 v1, v[3:4], off
	global_load_u16 v3, v[5:6], off
	s_waitcnt vmcnt(1)
	v_cvt_f32_f16_e32 v19, v1
	s_waitcnt vmcnt(0)
	v_cvt_f32_f16_e32 v11, v3
.LBB76_14:                              ;   in Loop: Header=BB76_3 Depth=1
	;; [unrolled: 20-line block ×7, first 2 shown]
	s_or_b32 exec_lo, exec_lo, s4
	s_waitcnt vmcnt(1)
	ds_bpermute_b32 v1, v2, v67
	ds_bpermute_b32 v3, v2, v67 offset:4
	ds_bpermute_b32 v4, v2, v67 offset:8
	s_waitcnt vmcnt(0)
	ds_bpermute_b32 v5, v2, v68
	ds_bpermute_b32 v7, v2, v67 offset:12
	ds_bpermute_b32 v8, v2, v68 offset:4
	;; [unrolled: 1-line block ×6, first 2 shown]
	s_waitcnt lgkmcnt(9)
	v_sub_f32_e32 v1, v9, v1
	s_waitcnt lgkmcnt(7)
	v_dual_sub_f32 v3, v10, v3 :: v_dual_sub_f32 v4, v11, v4
	v_add_f32_e32 v9, v61, v17
	ds_bpermute_b32 v10, v2, v68 offset:16
	ds_bpermute_b32 v11, v2, v68 offset:24
	v_dual_mul_f32 v4, v19, v4 :: v_dual_mul_f32 v3, v18, v3
	v_mul_f32_e32 v1, v17, v1
	ds_bpermute_b32 v17, v2, v67 offset:24
	s_waitcnt lgkmcnt(9)
	v_fma_f32 v6, v1, v5, v66
	ds_bpermute_b32 v5, v2, v68 offset:20
	ds_bpermute_b32 v1, v2, v68 offset:28
	s_waitcnt lgkmcnt(9)
	v_fmac_f32_e32 v6, v3, v8
	s_waitcnt lgkmcnt(8)
	v_dual_sub_f32 v8, v13, v69 :: v_dual_sub_f32 v7, v12, v7
	s_waitcnt lgkmcnt(7)
	s_delay_alu instid0(VALU_DEP_2) | instskip(NEXT) | instid1(VALU_DEP_2)
	v_fmac_f32_e32 v6, v4, v70
	v_dual_mul_f32 v8, v21, v8 :: v_dual_mul_f32 v7, v20, v7
	v_add_f32_e32 v3, v18, v9
	s_waitcnt lgkmcnt(5)
	s_delay_alu instid0(VALU_DEP_2) | instskip(NEXT) | instid1(VALU_DEP_2)
	v_dual_sub_f32 v9, v14, v72 :: v_dual_fmac_f32 v6, v7, v71
	v_add_f32_e32 v4, v19, v3
	ds_bpermute_b32 v3, v2, v67 offset:28
	s_waitcnt lgkmcnt(3)
	v_sub_f32_e32 v7, v15, v17
	v_dual_mul_f32 v9, v22, v9 :: v_dual_fmac_f32 v6, v8, v10
	s_delay_alu instid0(VALU_DEP_2) | instskip(SKIP_1) | instid1(VALU_DEP_2)
	v_dual_add_f32 v4, v20, v4 :: v_dual_mul_f32 v7, v23, v7
	s_waitcnt lgkmcnt(2)
	v_fmac_f32_e32 v6, v9, v5
	s_delay_alu instid0(VALU_DEP_2) | instskip(NEXT) | instid1(VALU_DEP_2)
	v_add_f32_e32 v4, v21, v4
	v_fmac_f32_e32 v6, v7, v11
	s_delay_alu instid0(VALU_DEP_2) | instskip(NEXT) | instid1(VALU_DEP_1)
	v_add_f32_e32 v4, v22, v4
	v_add_f32_e32 v4, v23, v4
	s_branch .LBB76_40
.LBB76_25:                              ;   in Loop: Header=BB76_3 Depth=1
                                        ; implicit-def: $vgpr1
                                        ; implicit-def: $vgpr9_vgpr10_vgpr11_vgpr12_vgpr13_vgpr14_vgpr15_vgpr16
                                        ; implicit-def: $vgpr17_vgpr18_vgpr19_vgpr20_vgpr21_vgpr22_vgpr23_vgpr24
                                        ; implicit-def: $vgpr3
                                        ; implicit-def: $vgpr6
                                        ; implicit-def: $vgpr4
	s_cbranch_execz .LBB76_40
; %bb.26:                               ;   in Loop: Header=BB76_3 Depth=1
	s_load_b32 s4, s[6:7], 0x0
	v_dual_mov_b32 v67, 0 :: v_dual_mov_b32 v68, 0
	s_waitcnt lgkmcnt(0)
	s_cmp_lt_u32 s14, s4
	s_cselect_b32 s4, 12, 18
	s_delay_alu instid0(SALU_CYCLE_1)
	s_add_u32 s26, s6, s4
	s_addc_u32 s27, s7, 0
	s_mov_b32 s4, exec_lo
	global_load_u16 v1, v2, s[26:27]
	s_waitcnt vmcnt(0)
	v_mad_u32_u24 v1, v29, v1, v31
	s_delay_alu instid0(VALU_DEP_1) | instskip(NEXT) | instid1(VALU_DEP_1)
	v_and_b32_e32 v1, 31, v1
	v_cmpx_gt_u32_e32 8, v1
	s_cbranch_execz .LBB76_30
; %bb.27:                               ;   in Loop: Header=BB76_3 Depth=1
	v_add_co_u32 v3, vcc_lo, v27, v1
	v_add_co_ci_u32_e32 v4, vcc_lo, 0, v28, vcc_lo
	v_dual_mov_b32 v67, 0 :: v_dual_mov_b32 v68, 0
	s_mov_b32 s25, exec_lo
	s_delay_alu instid0(VALU_DEP_2)
	v_cmpx_gt_i64_e64 s[16:17], v[3:4]
	s_cbranch_execz .LBB76_29
; %bb.28:                               ;   in Loop: Header=BB76_3 Depth=1
	v_lshlrev_b64 v[3:4], 2, v[3:4]
	s_delay_alu instid0(VALU_DEP_1) | instskip(NEXT) | instid1(VALU_DEP_2)
	v_add_co_u32 v5, vcc_lo, s36, v3
	v_add_co_ci_u32_e32 v6, vcc_lo, s37, v4, vcc_lo
	v_add_co_u32 v3, vcc_lo, s38, v3
	v_add_co_ci_u32_e32 v4, vcc_lo, s39, v4, vcc_lo
	global_load_b32 v67, v[5:6], off
	global_load_b32 v68, v[3:4], off
.LBB76_29:                              ;   in Loop: Header=BB76_3 Depth=1
	s_or_b32 exec_lo, exec_lo, s25
.LBB76_30:                              ;   in Loop: Header=BB76_3 Depth=1
	s_delay_alu instid0(SALU_CYCLE_1)
	s_or_b32 exec_lo, exec_lo, s4
	s_mov_b32 s30, s24
	s_mov_b32 s31, s24
	;; [unrolled: 1-line block ×7, first 2 shown]
	v_dual_mov_b32 v9, s24 :: v_dual_mov_b32 v10, s25
	v_dual_mov_b32 v15, s30 :: v_dual_mov_b32 v16, s31
	;; [unrolled: 1-line block ×4, first 2 shown]
	s_delay_alu instid0(VALU_DEP_3) | instskip(NEXT) | instid1(VALU_DEP_3)
	v_dual_mov_b32 v24, v16 :: v_dual_mov_b32 v23, v15
	v_dual_mov_b32 v20, v12 :: v_dual_mov_b32 v19, v11
	s_delay_alu instid0(VALU_DEP_3)
	v_dual_mov_b32 v22, v14 :: v_dual_mov_b32 v21, v13
	v_dual_mov_b32 v18, v10 :: v_dual_mov_b32 v17, v9
	s_and_saveexec_b32 s4, s3
	s_cbranch_execnz .LBB76_42
; %bb.31:                               ;   in Loop: Header=BB76_3 Depth=1
	s_or_b32 exec_lo, exec_lo, s4
	s_and_saveexec_b32 s4, s3
	s_cbranch_execnz .LBB76_43
.LBB76_32:                              ;   in Loop: Header=BB76_3 Depth=1
	s_or_b32 exec_lo, exec_lo, s4
	s_and_saveexec_b32 s4, s3
	s_cbranch_execnz .LBB76_44
.LBB76_33:                              ;   in Loop: Header=BB76_3 Depth=1
	s_or_b32 exec_lo, exec_lo, s4
	s_and_saveexec_b32 s4, s3
	s_cbranch_execnz .LBB76_45
.LBB76_34:                              ;   in Loop: Header=BB76_3 Depth=1
	s_or_b32 exec_lo, exec_lo, s4
	s_and_saveexec_b32 s4, s3
	s_cbranch_execnz .LBB76_46
.LBB76_35:                              ;   in Loop: Header=BB76_3 Depth=1
	s_or_b32 exec_lo, exec_lo, s4
	s_and_saveexec_b32 s4, s3
	s_cbranch_execnz .LBB76_47
.LBB76_36:                              ;   in Loop: Header=BB76_3 Depth=1
	s_or_b32 exec_lo, exec_lo, s4
	s_and_saveexec_b32 s4, s3
	s_cbranch_execnz .LBB76_48
.LBB76_37:                              ;   in Loop: Header=BB76_3 Depth=1
	s_or_b32 exec_lo, exec_lo, s4
	s_and_saveexec_b32 s4, s3
	s_cbranch_execz .LBB76_39
.LBB76_38:                              ;   in Loop: Header=BB76_3 Depth=1
	v_add_co_u32 v3, vcc_lo, v33, v25
	v_add_co_ci_u32_e32 v4, vcc_lo, v34, v26, vcc_lo
	v_add_co_u32 v5, vcc_lo, v35, v25
	v_add_co_ci_u32_e32 v6, vcc_lo, v36, v26, vcc_lo
	global_load_u16 v1, v[3:4], off
	global_load_u16 v3, v[5:6], off
	s_waitcnt vmcnt(1)
	v_cvt_f32_f16_e32 v24, v1
	s_waitcnt vmcnt(0)
	v_cvt_f32_f16_e32 v16, v3
.LBB76_39:                              ;   in Loop: Header=BB76_3 Depth=1
	s_or_b32 exec_lo, exec_lo, s4
	s_waitcnt vmcnt(1)
	ds_bpermute_b32 v1, v2, v67
	ds_bpermute_b32 v3, v2, v67 offset:4
	ds_bpermute_b32 v4, v2, v67 offset:8
	s_waitcnt vmcnt(0)
	ds_bpermute_b32 v5, v2, v68
	ds_bpermute_b32 v6, v2, v67 offset:12
	ds_bpermute_b32 v7, v2, v68 offset:4
	;; [unrolled: 1-line block ×5, first 2 shown]
	s_waitcnt lgkmcnt(8)
	v_sub_f32_e32 v1, v9, v1
	s_waitcnt lgkmcnt(7)
	v_dual_sub_f32 v3, v10, v3 :: v_dual_add_f32 v10, v61, v17
	s_waitcnt lgkmcnt(6)
	v_sub_f32_e32 v4, v11, v4
	ds_bpermute_b32 v9, v2, v68 offset:12
	v_mul_f32_e32 v1, v17, v1
	ds_bpermute_b32 v17, v2, v68 offset:16
	ds_bpermute_b32 v11, v2, v68 offset:20
	v_dual_mul_f32 v4, v19, v4 :: v_dual_mul_f32 v3, v18, v3
	s_waitcnt lgkmcnt(8)
	v_fmac_f32_e32 v66, v1, v5
	ds_bpermute_b32 v5, v2, v67 offset:24
	s_waitcnt lgkmcnt(6)
	v_dual_sub_f32 v1, v12, v6 :: v_dual_sub_f32 v6, v13, v8
	s_waitcnt lgkmcnt(4)
	v_sub_f32_e32 v8, v14, v28
	v_dual_fmac_f32 v66, v3, v7 :: v_dual_add_f32 v3, v18, v10
	s_delay_alu instid0(VALU_DEP_3) | instskip(NEXT) | instid1(VALU_DEP_2)
	v_dual_mul_f32 v1, v20, v1 :: v_dual_mul_f32 v6, v21, v6
	v_fmac_f32_e32 v66, v4, v27
	ds_bpermute_b32 v4, v2, v68 offset:24
	v_add_f32_e32 v7, v19, v3
	ds_bpermute_b32 v3, v2, v67 offset:28
	v_add_f32_e32 v7, v20, v7
	s_waitcnt lgkmcnt(2)
	v_sub_f32_e32 v5, v15, v5
	v_fmac_f32_e32 v66, v1, v9
	v_mul_f32_e32 v8, v22, v8
	ds_bpermute_b32 v1, v2, v68 offset:28
	v_mul_f32_e32 v5, v23, v5
	v_fmac_f32_e32 v66, v6, v17
	v_add_f32_e32 v6, v21, v7
	s_delay_alu instid0(VALU_DEP_2) | instskip(NEXT) | instid1(VALU_DEP_2)
	v_fmac_f32_e32 v66, v8, v11
	v_add_f32_e32 v6, v22, v6
	s_waitcnt lgkmcnt(2)
	s_delay_alu instid0(VALU_DEP_2) | instskip(NEXT) | instid1(VALU_DEP_2)
	v_fmac_f32_e32 v66, v5, v4
	v_add_f32_e32 v4, v23, v6
	s_delay_alu instid0(VALU_DEP_2)
	v_mov_b32_e32 v6, v66
.LBB76_40:                              ;   in Loop: Header=BB76_3 Depth=1
	v_add_co_u32 v33, vcc_lo, v33, s10
	v_add_co_ci_u32_e32 v34, vcc_lo, s11, v34, vcc_lo
	v_add_co_u32 v35, vcc_lo, v35, s10
	v_add_co_ci_u32_e32 v36, vcc_lo, s11, v36, vcc_lo
	;; [unrolled: 2-line block ×13, first 2 shown]
	v_add_co_u32 v59, vcc_lo, v59, s10
	s_waitcnt lgkmcnt(0)
	v_sub_f32_e32 v3, v16, v3
	v_add_co_ci_u32_e32 v60, vcc_lo, s11, v60, vcc_lo
	v_add_co_u32 v30, vcc_lo, v30, s40
	s_add_u32 s34, s34, s40
	v_add_co_ci_u32_e32 v32, vcc_lo, 0, v32, vcc_lo
	v_mul_f32_e32 v3, v24, v3
	s_addc_u32 s35, s35, 0
	v_add_co_u32 v62, vcc_lo, v62, s10
	v_add_co_ci_u32_e32 v63, vcc_lo, s11, v63, vcc_lo
	v_cmp_lt_i64_e64 s4, s[34:35], s[16:17]
	v_add_co_u32 v64, vcc_lo, v64, s10
	v_dual_add_f32 v61, v4, v24 :: v_dual_fmac_f32 v6, v3, v1
	v_add_co_ci_u32_e32 v65, vcc_lo, s11, v65, vcc_lo
	s_add_u32 s8, s8, s40
	s_addc_u32 s9, s9, 0
	s_and_b32 vcc_lo, exec_lo, s4
	s_cbranch_vccz .LBB76_50
; %bb.41:                               ;   in Loop: Header=BB76_3 Depth=1
	v_mov_b32_e32 v66, v6
	s_branch .LBB76_3
.LBB76_42:                              ;   in Loop: Header=BB76_3 Depth=1
	v_add_co_u32 v3, vcc_lo, v62, v25
	v_add_co_ci_u32_e32 v4, vcc_lo, v63, v26, vcc_lo
	v_add_co_u32 v5, vcc_lo, v64, v25
	v_add_co_ci_u32_e32 v6, vcc_lo, v65, v26, vcc_lo
	v_mov_b32_e32 v8, v2
	global_load_u16 v1, v[3:4], off
	global_load_u16 v9, v[5:6], off
	v_mov_b32_e32 v3, v2
	v_mov_b32_e32 v4, v2
	;; [unrolled: 1-line block ×6, first 2 shown]
	s_waitcnt vmcnt(1)
	v_cvt_f32_f16_e32 v1, v1
	v_dual_mov_b32 v11, v2 :: v_dual_mov_b32 v24, v8
	v_dual_mov_b32 v10, v2 :: v_dual_mov_b32 v23, v7
	s_waitcnt vmcnt(0)
	v_cvt_f32_f16_e32 v9, v9
	v_dual_mov_b32 v12, v2 :: v_dual_mov_b32 v21, v5
	v_dual_mov_b32 v13, v2 :: v_dual_mov_b32 v20, v4
	;; [unrolled: 1-line block ×4, first 2 shown]
	v_mov_b32_e32 v22, v6
	v_mov_b32_e32 v18, v2
	s_or_b32 exec_lo, exec_lo, s4
	s_and_saveexec_b32 s4, s3
	s_cbranch_execz .LBB76_32
.LBB76_43:                              ;   in Loop: Header=BB76_3 Depth=1
	v_add_co_u32 v3, vcc_lo, v57, v25
	v_add_co_ci_u32_e32 v4, vcc_lo, v58, v26, vcc_lo
	v_add_co_u32 v5, vcc_lo, v59, v25
	v_add_co_ci_u32_e32 v6, vcc_lo, v60, v26, vcc_lo
	global_load_u16 v1, v[3:4], off
	global_load_u16 v3, v[5:6], off
	s_waitcnt vmcnt(1)
	v_cvt_f32_f16_e32 v18, v1
	s_waitcnt vmcnt(0)
	v_cvt_f32_f16_e32 v10, v3
	s_or_b32 exec_lo, exec_lo, s4
	s_and_saveexec_b32 s4, s3
	s_cbranch_execz .LBB76_33
.LBB76_44:                              ;   in Loop: Header=BB76_3 Depth=1
	v_add_co_u32 v3, vcc_lo, v53, v25
	v_add_co_ci_u32_e32 v4, vcc_lo, v54, v26, vcc_lo
	v_add_co_u32 v5, vcc_lo, v55, v25
	v_add_co_ci_u32_e32 v6, vcc_lo, v56, v26, vcc_lo
	global_load_u16 v1, v[3:4], off
	global_load_u16 v3, v[5:6], off
	s_waitcnt vmcnt(1)
	v_cvt_f32_f16_e32 v19, v1
	s_waitcnt vmcnt(0)
	v_cvt_f32_f16_e32 v11, v3
	s_or_b32 exec_lo, exec_lo, s4
	s_and_saveexec_b32 s4, s3
	s_cbranch_execz .LBB76_34
.LBB76_45:                              ;   in Loop: Header=BB76_3 Depth=1
	v_add_co_u32 v3, vcc_lo, v49, v25
	v_add_co_ci_u32_e32 v4, vcc_lo, v50, v26, vcc_lo
	v_add_co_u32 v5, vcc_lo, v51, v25
	v_add_co_ci_u32_e32 v6, vcc_lo, v52, v26, vcc_lo
	global_load_u16 v1, v[3:4], off
	global_load_u16 v3, v[5:6], off
	s_waitcnt vmcnt(1)
	v_cvt_f32_f16_e32 v20, v1
	s_waitcnt vmcnt(0)
	v_cvt_f32_f16_e32 v12, v3
	s_or_b32 exec_lo, exec_lo, s4
	s_and_saveexec_b32 s4, s3
	s_cbranch_execz .LBB76_35
.LBB76_46:                              ;   in Loop: Header=BB76_3 Depth=1
	v_add_co_u32 v3, vcc_lo, v45, v25
	v_add_co_ci_u32_e32 v4, vcc_lo, v46, v26, vcc_lo
	v_add_co_u32 v5, vcc_lo, v47, v25
	v_add_co_ci_u32_e32 v6, vcc_lo, v48, v26, vcc_lo
	global_load_u16 v1, v[3:4], off
	global_load_u16 v3, v[5:6], off
	s_waitcnt vmcnt(1)
	v_cvt_f32_f16_e32 v21, v1
	s_waitcnt vmcnt(0)
	v_cvt_f32_f16_e32 v13, v3
	s_or_b32 exec_lo, exec_lo, s4
	s_and_saveexec_b32 s4, s3
	s_cbranch_execz .LBB76_36
.LBB76_47:                              ;   in Loop: Header=BB76_3 Depth=1
	v_add_co_u32 v3, vcc_lo, v41, v25
	v_add_co_ci_u32_e32 v4, vcc_lo, v42, v26, vcc_lo
	v_add_co_u32 v5, vcc_lo, v43, v25
	v_add_co_ci_u32_e32 v6, vcc_lo, v44, v26, vcc_lo
	global_load_u16 v1, v[3:4], off
	global_load_u16 v3, v[5:6], off
	s_waitcnt vmcnt(1)
	v_cvt_f32_f16_e32 v22, v1
	s_waitcnt vmcnt(0)
	v_cvt_f32_f16_e32 v14, v3
	s_or_b32 exec_lo, exec_lo, s4
	s_and_saveexec_b32 s4, s3
	s_cbranch_execz .LBB76_37
.LBB76_48:                              ;   in Loop: Header=BB76_3 Depth=1
	v_add_co_u32 v3, vcc_lo, v37, v25
	v_add_co_ci_u32_e32 v4, vcc_lo, v38, v26, vcc_lo
	v_add_co_u32 v5, vcc_lo, v39, v25
	v_add_co_ci_u32_e32 v6, vcc_lo, v40, v26, vcc_lo
	global_load_u16 v1, v[3:4], off
	global_load_u16 v3, v[5:6], off
	s_waitcnt vmcnt(1)
	v_cvt_f32_f16_e32 v23, v1
	s_waitcnt vmcnt(0)
	v_cvt_f32_f16_e32 v15, v3
	s_or_b32 exec_lo, exec_lo, s4
	s_and_saveexec_b32 s4, s3
	s_cbranch_execnz .LBB76_38
	s_branch .LBB76_39
.LBB76_49:
	s_mov_b32 s5, -1
                                        ; implicit-def: $vgpr6
                                        ; implicit-def: $vgpr61
.LBB76_50:
	s_delay_alu instid0(SALU_CYCLE_1)
	s_and_not1_b32 vcc_lo, exec_lo, s5
	s_cbranch_vccnz .LBB76_83
; %bb.51:
	v_dual_mov_b32 v6, 0 :: v_dual_mov_b32 v61, 0
	s_and_not1_b32 vcc_lo, exec_lo, s33
	s_mov_b32 s4, 0
	s_cbranch_vccnz .LBB76_83
; %bb.52:
	v_bfe_u32 v57, v0, 10, 10
	v_mov_b32_e32 v2, 0
	s_add_u32 s24, s0, 64
	s_addc_u32 s25, s1, 0
	s_lshl_b64 s[6:7], s[12:13], 1
	v_lshlrev_b32_e32 v3, 4, v57
	s_load_b32 s3, s[0:1], 0x44
	v_dual_mov_b32 v95, 0 :: v_dual_and_b32 v58, 0x3ff, v0
	v_mov_b32_e32 v60, v2
	s_delay_alu instid0(VALU_DEP_3) | instskip(NEXT) | instid1(VALU_DEP_1)
	v_add_co_u32 v3, s5, v3, s6
	v_add_co_ci_u32_e64 v4, null, 0, s7, s5
	s_delay_alu instid0(VALU_DEP_4) | instskip(NEXT) | instid1(VALU_DEP_3)
	v_add_nc_u32_e32 v1, s15, v58
	v_add_co_u32 v7, vcc_lo, v3, 2
	s_delay_alu instid0(VALU_DEP_3) | instskip(NEXT) | instid1(VALU_DEP_3)
	v_add_co_ci_u32_e32 v5, vcc_lo, 0, v4, vcc_lo
	v_lshlrev_b64 v[27:28], 1, v[1:2]
	v_add_co_u32 v1, vcc_lo, v3, 4
	s_delay_alu instid0(VALU_DEP_3) | instskip(SKIP_3) | instid1(VALU_DEP_3)
	v_mul_lo_u32 v8, s18, v5
	v_add_co_ci_u32_e32 v5, vcc_lo, 0, v4, vcc_lo
	v_add_co_u32 v11, vcc_lo, v3, 6
	v_dual_mov_b32 v94, 0 :: v_dual_lshlrev_b32 v59, 3, v57
	v_mul_lo_u32 v10, s18, v5
	v_add_co_ci_u32_e32 v5, vcc_lo, 0, v4, vcc_lo
	v_add_co_u32 v13, vcc_lo, v3, 8
	s_waitcnt lgkmcnt(0)
	s_lshl_b32 s15, s3, 3
	v_add_co_ci_u32_e32 v6, vcc_lo, 0, v4, vcc_lo
	v_add_co_u32 v17, vcc_lo, v3, 10
	s_mul_i32 s3, s19, s15
	s_mul_hi_u32 s5, s18, s15
	v_mul_lo_u32 v14, s18, v5
	v_add_co_ci_u32_e32 v5, vcc_lo, 0, v4, vcc_lo
	s_add_i32 s7, s5, s3
	v_add_co_u32 v19, vcc_lo, v3, 12
	v_add_co_u32 v24, s3, v59, s12
	v_mul_lo_u32 v16, s18, v6
	v_add_co_ci_u32_e32 v6, vcc_lo, 0, v4, vcc_lo
	v_add_co_ci_u32_e64 v55, null, 0, 0, s3
	v_add_co_u32 v56, vcc_lo, v3, 14
	v_mul_lo_u32 v20, s18, v5
	s_delay_alu instid0(VALU_DEP_4) | instskip(SKIP_4) | instid1(VALU_DEP_4)
	v_mul_lo_u32 v22, s18, v6
	v_add_co_ci_u32_e32 v5, vcc_lo, 0, v4, vcc_lo
	v_mul_lo_u32 v6, s19, v24
	v_mul_lo_u32 v41, s18, v55
	v_mad_u64_u32 v[3:4], null, s18, v24, 0
	v_mul_lo_u32 v61, s18, v5
	v_mad_u64_u32 v[25:26], null, s18, v7, s[20:21]
	;; [unrolled: 2-line block ×3, first 2 shown]
	v_add3_u32 v4, v4, v41, v6
	v_mul_lo_u32 v12, s19, v1
	v_mad_u64_u32 v[41:42], null, s18, v7, s[22:23]
	v_mad_u64_u32 v[43:44], null, s18, v1, s[22:23]
	s_delay_alu instid0(VALU_DEP_4) | instskip(SKIP_3) | instid1(VALU_DEP_4)
	v_lshlrev_b64 v[5:6], 1, v[3:4]
	v_mad_u64_u32 v[31:32], null, s18, v11, s[20:21]
	v_mul_lo_u32 v15, s19, v11
	v_mad_u64_u32 v[45:46], null, s18, v11, s[22:23]
	v_add_co_u32 v62, vcc_lo, s20, v5
	v_add_co_ci_u32_e32 v63, vcc_lo, s21, v6, vcc_lo
	v_add_co_u32 v1, vcc_lo, v24, 7
	v_add_co_ci_u32_e32 v7, vcc_lo, 0, v55, vcc_lo
	v_mad_u64_u32 v[33:34], null, s18, v13, s[20:21]
	v_mul_lo_u32 v18, s19, v13
	v_mad_u64_u32 v[47:48], null, s18, v13, s[22:23]
	v_add_co_u32 v13, vcc_lo, v24, 6
	v_add3_u32 v26, v9, v26, v8
	v_add3_u32 v30, v12, v30, v10
	;; [unrolled: 1-line block ×4, first 2 shown]
	v_mul_lo_u32 v11, s19, v1
	v_mul_lo_u32 v12, s18, v7
	v_mad_u64_u32 v[7:8], null, s18, v1, 0
	v_add_co_ci_u32_e32 v9, vcc_lo, 0, v55, vcc_lo
	v_mad_u64_u32 v[39:40], null, s18, v56, s[20:21]
	v_mul_lo_u32 v64, s19, v56
	v_mad_u64_u32 v[53:54], null, s18, v56, s[22:23]
	v_add3_u32 v32, v15, v32, v14
	v_add3_u32 v46, v15, v46, v14
	v_mul_lo_u32 v1, s19, v13
	v_mul_lo_u32 v14, s18, v9
	v_mad_u64_u32 v[9:10], null, s18, v13, 0
	v_add3_u32 v8, v8, v12, v11
	v_add3_u32 v40, v64, v40, v61
	;; [unrolled: 1-line block ×3, first 2 shown]
	v_add_co_u32 v64, vcc_lo, s22, v5
	v_add_co_ci_u32_e32 v65, vcc_lo, s23, v6, vcc_lo
	v_lshlrev_b64 v[5:6], 1, v[7:8]
	v_add3_u32 v10, v10, v14, v1
	v_add_co_u32 v1, vcc_lo, v24, 5
	v_add_co_ci_u32_e32 v11, vcc_lo, 0, v55, vcc_lo
	s_delay_alu instid0(VALU_DEP_4) | instskip(NEXT) | instid1(VALU_DEP_4)
	v_add_co_u32 v66, vcc_lo, s20, v5
	v_lshlrev_b64 v[7:8], 1, v[9:10]
	v_add_co_ci_u32_e32 v67, vcc_lo, s21, v6, vcc_lo
	v_mul_lo_u32 v12, s19, v1
	v_mul_lo_u32 v11, s18, v11
	v_mad_u64_u32 v[9:10], null, s18, v1, 0
	v_add_co_u32 v68, vcc_lo, s22, v5
	v_add_co_ci_u32_e32 v69, vcc_lo, s23, v6, vcc_lo
	v_add_co_u32 v70, vcc_lo, s20, v7
	v_add_co_ci_u32_e32 v71, vcc_lo, s21, v8, vcc_lo
	v_add_co_u32 v1, vcc_lo, v24, 4
	v_add3_u32 v10, v10, v11, v12
	v_add_co_u32 v72, s3, s22, v7
	v_add_co_ci_u32_e32 v7, vcc_lo, 0, v55, vcc_lo
	v_add_co_u32 v12, vcc_lo, v24, 3
	s_delay_alu instid0(VALU_DEP_4)
	v_lshlrev_b64 v[5:6], 1, v[9:10]
	v_add_co_ci_u32_e32 v9, vcc_lo, 0, v55, vcc_lo
	v_add_co_ci_u32_e64 v73, s3, s23, v8, s3
	v_mul_lo_u32 v11, s19, v1
	v_mul_lo_u32 v13, s18, v7
	v_mad_u64_u32 v[7:8], null, s18, v1, 0
	v_mul_lo_u32 v1, s19, v12
	v_mul_lo_u32 v14, s18, v9
	v_mad_u64_u32 v[9:10], null, s18, v12, 0
	v_add_co_u32 v74, vcc_lo, s20, v5
	v_add_co_ci_u32_e32 v75, vcc_lo, s21, v6, vcc_lo
	v_add3_u32 v8, v8, v13, v11
	v_add_co_u32 v76, vcc_lo, s22, v5
	v_add_co_ci_u32_e32 v77, vcc_lo, s23, v6, vcc_lo
	v_add3_u32 v10, v10, v14, v1
	v_add_co_u32 v1, vcc_lo, v24, 2
	v_lshlrev_b64 v[5:6], 1, v[7:8]
	v_add_co_ci_u32_e32 v11, vcc_lo, 0, v55, vcc_lo
	s_delay_alu instid0(VALU_DEP_4) | instskip(NEXT) | instid1(VALU_DEP_4)
	v_lshlrev_b64 v[7:8], 1, v[9:10]
	v_mul_lo_u32 v12, s19, v1
	v_mad_u64_u32 v[9:10], null, s18, v1, 0
	v_add_co_u32 v78, vcc_lo, s20, v5
	v_mul_lo_u32 v11, s18, v11
	v_add_co_ci_u32_e32 v79, vcc_lo, s21, v6, vcc_lo
	v_add_co_u32 v80, vcc_lo, s22, v5
	v_add_co_ci_u32_e32 v81, vcc_lo, s23, v6, vcc_lo
	v_add_co_u32 v82, vcc_lo, s20, v7
	v_add_co_ci_u32_e32 v83, vcc_lo, s21, v8, vcc_lo
	v_add3_u32 v10, v10, v11, v12
	v_add_co_u32 v84, vcc_lo, s22, v7
	v_add_co_ci_u32_e32 v85, vcc_lo, s23, v8, vcc_lo
	v_add_co_u32 v3, vcc_lo, v3, s18
	s_delay_alu instid0(VALU_DEP_4) | instskip(SKIP_3) | instid1(VALU_DEP_4)
	v_lshlrev_b64 v[5:6], 1, v[9:10]
	v_add_co_ci_u32_e32 v4, vcc_lo, s19, v4, vcc_lo
	v_mad_u64_u32 v[35:36], null, s18, v17, s[20:21]
	v_mul_lo_u32 v21, s19, v17
	v_add_co_u32 v86, vcc_lo, s20, v5
	s_delay_alu instid0(VALU_DEP_4)
	v_lshlrev_b64 v[3:4], 1, v[3:4]
	v_add_co_ci_u32_e32 v87, vcc_lo, s21, v6, vcc_lo
	v_mad_u64_u32 v[37:38], null, s18, v19, s[20:21]
	v_mul_lo_u32 v23, s19, v19
	v_mad_u64_u32 v[49:50], null, s18, v17, s[22:23]
	v_mad_u64_u32 v[51:52], null, s18, v19, s[22:23]
	v_add_co_u32 v88, vcc_lo, s22, v5
	v_add_co_ci_u32_e32 v89, vcc_lo, s23, v6, vcc_lo
	v_add_co_u32 v90, vcc_lo, s20, v3
	v_add_co_ci_u32_e32 v91, vcc_lo, s21, v4, vcc_lo
	v_add_co_u32 v92, vcc_lo, s22, v3
	v_add3_u32 v34, v18, v34, v16
	v_add3_u32 v36, v21, v36, v20
	;; [unrolled: 1-line block ×6, first 2 shown]
	v_add_co_ci_u32_e32 v93, vcc_lo, s23, v4, vcc_lo
	s_mul_i32 s6, s18, s15
	s_mov_b64 s[22:23], 7
	s_lshl_b64 s[20:21], s[6:7], 1
	s_mov_b64 s[26:27], s[12:13]
.LBB76_53:                              ; =>This Inner Loop Header: Depth=1
	s_add_u32 s6, s12, s22
	s_addc_u32 s7, 0, s23
	v_add_co_u32 v55, vcc_lo, s12, v59
	v_cmp_ge_i64_e64 s3, s[6:7], s[16:17]
	v_add_co_ci_u32_e32 v56, vcc_lo, 0, v60, vcc_lo
	s_delay_alu instid0(VALU_DEP_2)
	s_and_b32 vcc_lo, exec_lo, s3
	s_cbranch_vccz .LBB76_75
; %bb.54:                               ;   in Loop: Header=BB76_53 Depth=1
	s_load_b32 s3, s[24:25], 0xc
	v_dual_mov_b32 v61, 0 :: v_dual_mov_b32 v96, 0
	s_waitcnt lgkmcnt(0)
	s_and_b32 s3, s3, 0xffff
	s_delay_alu instid0(SALU_CYCLE_1) | instskip(SKIP_1) | instid1(VALU_DEP_1)
	v_mad_u32_u24 v1, v57, s3, v58
	s_mov_b32 s3, exec_lo
	v_and_b32_e32 v1, 31, v1
	s_delay_alu instid0(VALU_DEP_1)
	v_cmpx_gt_u32_e32 8, v1
	s_cbranch_execz .LBB76_58
; %bb.55:                               ;   in Loop: Header=BB76_53 Depth=1
	v_add_co_u32 v3, vcc_lo, v55, v1
	v_add_co_ci_u32_e32 v4, vcc_lo, 0, v56, vcc_lo
	v_dual_mov_b32 v96, 0 :: v_dual_mov_b32 v61, 0
	s_mov_b32 s5, exec_lo
	s_delay_alu instid0(VALU_DEP_2)
	v_cmpx_gt_i64_e64 s[16:17], v[3:4]
	s_cbranch_execz .LBB76_57
; %bb.56:                               ;   in Loop: Header=BB76_53 Depth=1
	v_lshlrev_b64 v[3:4], 2, v[3:4]
	s_delay_alu instid0(VALU_DEP_1) | instskip(NEXT) | instid1(VALU_DEP_2)
	v_add_co_u32 v5, vcc_lo, s36, v3
	v_add_co_ci_u32_e32 v6, vcc_lo, s37, v4, vcc_lo
	v_add_co_u32 v3, vcc_lo, s38, v3
	v_add_co_ci_u32_e32 v4, vcc_lo, s39, v4, vcc_lo
	global_load_b32 v96, v[5:6], off
	global_load_b32 v61, v[3:4], off
.LBB76_57:                              ;   in Loop: Header=BB76_53 Depth=1
	s_or_b32 exec_lo, exec_lo, s5
.LBB76_58:                              ;   in Loop: Header=BB76_53 Depth=1
	s_delay_alu instid0(SALU_CYCLE_1)
	s_or_b32 exec_lo, exec_lo, s3
	s_mov_b32 s11, s4
	s_mov_b32 s5, s4
	;; [unrolled: 1-line block ×7, first 2 shown]
	s_delay_alu instid0(SALU_CYCLE_1) | instskip(SKIP_3) | instid1(VALU_DEP_4)
	v_dual_mov_b32 v16, s11 :: v_dual_mov_b32 v15, s10
	v_dual_mov_b32 v14, s9 :: v_dual_mov_b32 v13, s8
	;; [unrolled: 1-line block ×5, first 2 shown]
	s_delay_alu instid0(VALU_DEP_4) | instskip(NEXT) | instid1(VALU_DEP_4)
	v_dual_mov_b32 v22, v14 :: v_dual_mov_b32 v21, v13
	v_dual_mov_b32 v20, v12 :: v_dual_mov_b32 v19, v11
	s_delay_alu instid0(VALU_DEP_4)
	v_dual_mov_b32 v18, v10 :: v_dual_mov_b32 v17, v9
	s_mov_b32 s3, exec_lo
	v_cmpx_gt_i64_e64 s[16:17], v[55:56]
	s_cbranch_execz .LBB76_60
; %bb.59:                               ;   in Loop: Header=BB76_53 Depth=1
	v_add_co_u32 v3, vcc_lo, v62, v27
	v_add_co_ci_u32_e32 v4, vcc_lo, v63, v28, vcc_lo
	v_add_co_u32 v5, vcc_lo, v64, v27
	v_add_co_ci_u32_e32 v6, vcc_lo, v65, v28, vcc_lo
	v_mov_b32_e32 v8, v2
	global_load_u16 v1, v[3:4], off
	global_load_u16 v9, v[5:6], off
	v_mov_b32_e32 v3, v2
	v_mov_b32_e32 v4, v2
	;; [unrolled: 1-line block ×6, first 2 shown]
	s_waitcnt vmcnt(1)
	v_cvt_f32_f16_e32 v1, v1
	v_dual_mov_b32 v11, v2 :: v_dual_mov_b32 v24, v8
	v_dual_mov_b32 v10, v2 :: v_dual_mov_b32 v23, v7
	s_waitcnt vmcnt(0)
	v_cvt_f32_f16_e32 v9, v9
	v_dual_mov_b32 v12, v2 :: v_dual_mov_b32 v21, v5
	v_dual_mov_b32 v13, v2 :: v_dual_mov_b32 v20, v4
	;; [unrolled: 1-line block ×4, first 2 shown]
	v_mov_b32_e32 v22, v6
	v_mov_b32_e32 v18, v2
.LBB76_60:                              ;   in Loop: Header=BB76_53 Depth=1
	s_or_b32 exec_lo, exec_lo, s3
	v_add_co_u32 v3, vcc_lo, v55, 1
	v_add_co_ci_u32_e32 v4, vcc_lo, 0, v56, vcc_lo
	s_mov_b32 s3, exec_lo
	s_delay_alu instid0(VALU_DEP_1)
	v_cmpx_gt_i64_e64 s[16:17], v[3:4]
	s_cbranch_execz .LBB76_62
; %bb.61:                               ;   in Loop: Header=BB76_53 Depth=1
	v_add_co_u32 v3, vcc_lo, v90, v27
	v_add_co_ci_u32_e32 v4, vcc_lo, v91, v28, vcc_lo
	v_add_co_u32 v5, vcc_lo, v92, v27
	v_add_co_ci_u32_e32 v6, vcc_lo, v93, v28, vcc_lo
	global_load_u16 v1, v[3:4], off
	global_load_u16 v3, v[5:6], off
	s_waitcnt vmcnt(1)
	v_cvt_f32_f16_e32 v18, v1
	s_waitcnt vmcnt(0)
	v_cvt_f32_f16_e32 v10, v3
.LBB76_62:                              ;   in Loop: Header=BB76_53 Depth=1
	s_or_b32 exec_lo, exec_lo, s3
	v_add_co_u32 v3, vcc_lo, v55, 2
	v_add_co_ci_u32_e32 v4, vcc_lo, 0, v56, vcc_lo
	s_mov_b32 s3, exec_lo
	s_delay_alu instid0(VALU_DEP_1)
	v_cmpx_gt_i64_e64 s[16:17], v[3:4]
	s_cbranch_execz .LBB76_64
; %bb.63:                               ;   in Loop: Header=BB76_53 Depth=1
	v_add_co_u32 v3, vcc_lo, v86, v27
	v_add_co_ci_u32_e32 v4, vcc_lo, v87, v28, vcc_lo
	v_add_co_u32 v5, vcc_lo, v88, v27
	v_add_co_ci_u32_e32 v6, vcc_lo, v89, v28, vcc_lo
	global_load_u16 v1, v[3:4], off
	global_load_u16 v3, v[5:6], off
	s_waitcnt vmcnt(1)
	v_cvt_f32_f16_e32 v19, v1
	s_waitcnt vmcnt(0)
	v_cvt_f32_f16_e32 v11, v3
.LBB76_64:                              ;   in Loop: Header=BB76_53 Depth=1
	;; [unrolled: 19-line block ×7, first 2 shown]
	s_or_b32 exec_lo, exec_lo, s3
	s_waitcnt vmcnt(1)
	ds_bpermute_b32 v1, v2, v96
	ds_bpermute_b32 v3, v2, v96 offset:4
	ds_bpermute_b32 v4, v2, v96 offset:8
	s_waitcnt vmcnt(0)
	ds_bpermute_b32 v5, v2, v61
	ds_bpermute_b32 v8, v2, v61 offset:4
	ds_bpermute_b32 v100, v2, v96 offset:20
	;; [unrolled: 1-line block ×6, first 2 shown]
	s_waitcnt lgkmcnt(7)
	v_dual_sub_f32 v1, v9, v1 :: v_dual_sub_f32 v4, v11, v4
	v_sub_f32_e32 v3, v10, v3
	ds_bpermute_b32 v10, v2, v61 offset:16
	s_waitcnt lgkmcnt(5)
	v_sub_f32_e32 v11, v14, v100
	v_dual_mul_f32 v4, v19, v4 :: v_dual_mul_f32 v3, v18, v3
	v_mul_f32_e32 v1, v17, v1
	s_delay_alu instid0(VALU_DEP_3) | instskip(NEXT) | instid1(VALU_DEP_2)
	v_mul_f32_e32 v11, v22, v11
	v_fma_f32 v6, v1, v5, v94
	ds_bpermute_b32 v1, v2, v61 offset:20
	s_waitcnt lgkmcnt(5)
	v_sub_f32_e32 v7, v12, v7
	ds_bpermute_b32 v5, v2, v96 offset:28
	v_fmac_f32_e32 v6, v3, v8
	v_add_f32_e32 v9, v95, v17
	ds_bpermute_b32 v17, v2, v96 offset:24
	ds_bpermute_b32 v8, v2, v61 offset:24
	s_waitcnt lgkmcnt(7)
	v_fmac_f32_e32 v6, v4, v98
	ds_bpermute_b32 v4, v2, v61 offset:28
	v_mul_f32_e32 v7, v20, v7
	s_waitcnt lgkmcnt(7)
	s_delay_alu instid0(VALU_DEP_1) | instskip(NEXT) | instid1(VALU_DEP_1)
	v_dual_add_f32 v3, v18, v9 :: v_dual_fmac_f32 v6, v7, v99
	v_add_f32_e32 v3, v19, v3
	s_delay_alu instid0(VALU_DEP_1)
	v_add_f32_e32 v3, v20, v3
	s_waitcnt lgkmcnt(3)
	v_sub_f32_e32 v5, v16, v5
	s_waitcnt lgkmcnt(2)
	v_sub_f32_e32 v7, v15, v17
	v_add_f32_e32 v3, v21, v3
	s_delay_alu instid0(VALU_DEP_2) | instskip(SKIP_1) | instid1(VALU_DEP_1)
	v_mul_f32_e32 v7, v23, v7
	v_sub_f32_e32 v9, v13, v97
	v_mul_f32_e32 v9, v21, v9
	s_delay_alu instid0(VALU_DEP_1) | instskip(NEXT) | instid1(VALU_DEP_1)
	v_fmac_f32_e32 v6, v9, v10
	v_dual_fmac_f32 v6, v11, v1 :: v_dual_add_f32 v1, v22, v3
	s_waitcnt lgkmcnt(1)
	s_delay_alu instid0(VALU_DEP_1) | instskip(NEXT) | instid1(VALU_DEP_2)
	v_dual_mul_f32 v3, v24, v5 :: v_dual_fmac_f32 v6, v7, v8
	v_add_f32_e32 v1, v23, v1
	s_waitcnt lgkmcnt(0)
	s_delay_alu instid0(VALU_DEP_1)
	v_dual_fmac_f32 v6, v3, v4 :: v_dual_add_f32 v61, v24, v1
	s_branch .LBB76_81
.LBB76_75:                              ;   in Loop: Header=BB76_53 Depth=1
                                        ; implicit-def: $vgpr61
                                        ; implicit-def: $vgpr6
	s_cbranch_execz .LBB76_81
; %bb.76:                               ;   in Loop: Header=BB76_53 Depth=1
	s_load_b32 s3, s[24:25], 0x0
	v_mov_b32_e32 v5, 0
	s_waitcnt lgkmcnt(0)
	s_cmp_lt_u32 s14, s3
	s_cselect_b32 s3, 12, 18
	s_delay_alu instid0(SALU_CYCLE_1)
	s_add_u32 s6, s24, s3
	s_addc_u32 s7, s25, 0
	s_mov_b32 s3, exec_lo
	global_load_u16 v1, v2, s[6:7]
	s_waitcnt vmcnt(0)
	v_mad_u32_u24 v1, v57, v1, v58
	s_delay_alu instid0(VALU_DEP_1) | instskip(SKIP_1) | instid1(VALU_DEP_2)
	v_and_b32_e32 v3, 31, v1
	v_mov_b32_e32 v1, 0
	v_cmpx_gt_u32_e32 8, v3
	s_cbranch_execz .LBB76_80
; %bb.77:                               ;   in Loop: Header=BB76_53 Depth=1
	v_add_co_u32 v3, vcc_lo, v55, v3
	v_add_co_ci_u32_e32 v4, vcc_lo, 0, v56, vcc_lo
	v_mov_b32_e32 v1, 0
	v_mov_b32_e32 v5, 0
	s_mov_b32 s5, exec_lo
	s_delay_alu instid0(VALU_DEP_3)
	v_cmpx_gt_i64_e64 s[16:17], v[3:4]
	s_cbranch_execz .LBB76_79
; %bb.78:                               ;   in Loop: Header=BB76_53 Depth=1
	v_lshlrev_b64 v[3:4], 2, v[3:4]
	s_delay_alu instid0(VALU_DEP_1) | instskip(NEXT) | instid1(VALU_DEP_2)
	v_add_co_u32 v5, vcc_lo, s36, v3
	v_add_co_ci_u32_e32 v6, vcc_lo, s37, v4, vcc_lo
	v_add_co_u32 v3, vcc_lo, s38, v3
	v_add_co_ci_u32_e32 v4, vcc_lo, s39, v4, vcc_lo
	global_load_b32 v1, v[5:6], off
	global_load_b32 v5, v[3:4], off
.LBB76_79:                              ;   in Loop: Header=BB76_53 Depth=1
	s_or_b32 exec_lo, exec_lo, s5
.LBB76_80:                              ;   in Loop: Header=BB76_53 Depth=1
	s_delay_alu instid0(SALU_CYCLE_1)
	s_or_b32 exec_lo, exec_lo, s3
	v_add_co_u32 v3, vcc_lo, v62, v27
	v_add_co_ci_u32_e32 v4, vcc_lo, v63, v28, vcc_lo
	s_waitcnt vmcnt(1)
	ds_bpermute_b32 v21, v2, v1
	global_load_u16 v3, v[3:4], off
	s_waitcnt vmcnt(0)
	v_cvt_f32_f16_e32 v6, v3
	v_add_co_u32 v3, vcc_lo, v64, v27
	v_add_co_ci_u32_e32 v4, vcc_lo, v65, v28, vcc_lo
	global_load_u16 v3, v[3:4], off
	s_waitcnt vmcnt(0)
	v_cvt_f32_f16_e32 v7, v3
	v_add_co_u32 v3, vcc_lo, v25, v27
	v_add_co_ci_u32_e32 v4, vcc_lo, v26, v28, vcc_lo
	;; [unrolled: 5-line block ×3, first 2 shown]
	s_waitcnt lgkmcnt(0)
	v_sub_f32_e32 v7, v7, v21
	global_load_u16 v3, v[3:4], off
	s_waitcnt vmcnt(0)
	v_cvt_f32_f16_e32 v9, v3
	v_add_co_u32 v3, vcc_lo, v29, v27
	v_add_co_ci_u32_e32 v4, vcc_lo, v30, v28, vcc_lo
	global_load_u16 v3, v[3:4], off
	s_waitcnt vmcnt(0)
	v_cvt_f32_f16_e32 v10, v3
	v_add_co_u32 v3, vcc_lo, v43, v27
	v_add_co_ci_u32_e32 v4, vcc_lo, v44, v28, vcc_lo
	;; [unrolled: 5-line block ×4, first 2 shown]
	v_mul_f32_e32 v7, v7, v6
	global_load_u16 v3, v[3:4], off
	s_waitcnt vmcnt(0)
	v_cvt_f32_f16_e32 v13, v3
	v_add_co_u32 v3, vcc_lo, v33, v27
	v_add_co_ci_u32_e32 v4, vcc_lo, v34, v28, vcc_lo
	global_load_u16 v3, v[3:4], off
	s_waitcnt vmcnt(0)
	v_cvt_f32_f16_e32 v14, v3
	v_add_co_u32 v3, vcc_lo, v47, v27
	v_add_co_ci_u32_e32 v4, vcc_lo, v48, v28, vcc_lo
	;; [unrolled: 5-line block ×8, first 2 shown]
	global_load_u16 v3, v[3:4], off
	ds_bpermute_b32 v4, v2, v5
	s_waitcnt lgkmcnt(0)
	v_fmac_f32_e32 v94, v7, v4
	ds_bpermute_b32 v7, v2, v1 offset:4
	v_add_f32_e32 v4, v95, v6
	ds_bpermute_b32 v6, v2, v5 offset:4
	s_waitcnt lgkmcnt(1)
	v_sub_f32_e32 v7, v9, v7
	s_delay_alu instid0(VALU_DEP_1) | instskip(SKIP_1) | instid1(VALU_DEP_1)
	v_mul_f32_e32 v7, v7, v8
	s_waitcnt lgkmcnt(0)
	v_fmac_f32_e32 v94, v7, v6
	ds_bpermute_b32 v7, v2, v1 offset:8
	ds_bpermute_b32 v6, v2, v5 offset:8
	s_waitcnt lgkmcnt(1)
	v_sub_f32_e32 v7, v11, v7
	s_delay_alu instid0(VALU_DEP_1) | instskip(SKIP_1) | instid1(VALU_DEP_1)
	v_mul_f32_e32 v7, v7, v10
	s_waitcnt lgkmcnt(0)
	v_fmac_f32_e32 v94, v7, v6
	ds_bpermute_b32 v7, v2, v1 offset:12
	ds_bpermute_b32 v6, v2, v5 offset:12
	s_waitcnt lgkmcnt(1)
	v_dual_sub_f32 v7, v13, v7 :: v_dual_add_f32 v4, v4, v8
	s_delay_alu instid0(VALU_DEP_1) | instskip(NEXT) | instid1(VALU_DEP_1)
	v_add_f32_e32 v4, v4, v10
	v_add_f32_e32 v4, v4, v12
	s_delay_alu instid0(VALU_DEP_1) | instskip(NEXT) | instid1(VALU_DEP_1)
	v_add_f32_e32 v4, v4, v14
	v_add_f32_e32 v4, v4, v16
	s_delay_alu instid0(VALU_DEP_1) | instskip(SKIP_1) | instid1(VALU_DEP_1)
	v_dual_mul_f32 v7, v7, v12 :: v_dual_add_f32 v4, v4, v18
	s_waitcnt lgkmcnt(0)
	v_fmac_f32_e32 v94, v7, v6
	ds_bpermute_b32 v7, v2, v1 offset:16
	ds_bpermute_b32 v6, v2, v5 offset:16
	v_add_f32_e32 v61, v4, v20
	s_waitcnt lgkmcnt(1)
	v_sub_f32_e32 v7, v15, v7
	s_delay_alu instid0(VALU_DEP_1) | instskip(SKIP_1) | instid1(VALU_DEP_1)
	v_mul_f32_e32 v7, v7, v14
	s_waitcnt lgkmcnt(0)
	v_fmac_f32_e32 v94, v7, v6
	ds_bpermute_b32 v7, v2, v1 offset:20
	ds_bpermute_b32 v6, v2, v5 offset:20
	s_waitcnt lgkmcnt(1)
	v_sub_f32_e32 v7, v17, v7
	s_delay_alu instid0(VALU_DEP_1) | instskip(SKIP_1) | instid1(VALU_DEP_1)
	v_mul_f32_e32 v7, v7, v16
	s_waitcnt lgkmcnt(0)
	v_fmac_f32_e32 v94, v7, v6
	ds_bpermute_b32 v7, v2, v1 offset:24
	ds_bpermute_b32 v1, v2, v1 offset:28
	;; [unrolled: 1-line block ×4, first 2 shown]
	s_waitcnt lgkmcnt(3)
	v_sub_f32_e32 v7, v19, v7
	s_delay_alu instid0(VALU_DEP_1) | instskip(SKIP_1) | instid1(VALU_DEP_1)
	v_mul_f32_e32 v7, v7, v18
	s_waitcnt lgkmcnt(1)
	v_fmac_f32_e32 v94, v7, v6
	s_waitcnt vmcnt(0)
	v_cvt_f32_f16_e32 v3, v3
	s_delay_alu instid0(VALU_DEP_1) | instskip(NEXT) | instid1(VALU_DEP_1)
	v_sub_f32_e32 v1, v3, v1
	v_mul_f32_e32 v1, v1, v20
	s_waitcnt lgkmcnt(0)
	s_delay_alu instid0(VALU_DEP_1) | instskip(NEXT) | instid1(VALU_DEP_1)
	v_fmac_f32_e32 v94, v1, v5
	v_mov_b32_e32 v6, v94
.LBB76_81:                              ;   in Loop: Header=BB76_53 Depth=1
	v_add_co_u32 v59, vcc_lo, v59, s15
	v_add_co_ci_u32_e32 v60, vcc_lo, 0, v60, vcc_lo
	v_add_co_u32 v25, vcc_lo, v25, s20
	v_add_co_ci_u32_e32 v26, vcc_lo, s21, v26, vcc_lo
	;; [unrolled: 2-line block ×28, first 2 shown]
	v_add_co_u32 v88, vcc_lo, v88, s20
	s_add_u32 s26, s26, s15
	v_add_co_ci_u32_e32 v89, vcc_lo, s21, v89, vcc_lo
	s_addc_u32 s27, s27, 0
	v_add_co_u32 v90, vcc_lo, v90, s20
	v_add_co_ci_u32_e32 v91, vcc_lo, s21, v91, vcc_lo
	v_cmp_ge_i64_e64 s3, s[26:27], s[16:17]
	v_add_co_u32 v92, vcc_lo, v92, s20
	v_add_co_ci_u32_e32 v93, vcc_lo, s21, v93, vcc_lo
	s_add_u32 s22, s22, s15
	s_addc_u32 s23, s23, 0
	s_delay_alu instid0(VALU_DEP_3)
	s_and_b32 vcc_lo, exec_lo, s3
	s_cbranch_vccnz .LBB76_83
; %bb.82:                               ;   in Loop: Header=BB76_53 Depth=1
	v_dual_mov_b32 v95, v61 :: v_dual_mov_b32 v94, v6
	s_branch .LBB76_53
.LBB76_83:
	v_and_b32_e32 v1, 0x3ff, v0
	s_mov_b32 s15, 0
	s_mov_b32 s3, exec_lo
	s_lshl_b64 s[4:5], s[14:15], 6
	s_delay_alu instid0(SALU_CYCLE_1) | instskip(SKIP_1) | instid1(VALU_DEP_1)
	v_mov_b32_e32 v5, s5
	v_or_b32_e32 v4, s4, v1
	v_cmpx_gt_i64_e64 s[18:19], v[4:5]
	s_cbranch_execz .LBB76_88
; %bb.84:
	s_clause 0x1
	s_load_b32 s3, s[0:1], 0x4c
	s_load_b128 s[4:7], s[0:1], 0x30
	v_bfe_u32 v0, v0, 10, 10
	v_mov_b32_e32 v1, 0
	s_waitcnt lgkmcnt(0)
	s_lshr_b32 s0, s3, 16
	s_cmp_eq_u64 s[4:5], 0
	s_delay_alu instid0(VALU_DEP_1) | instskip(SKIP_1) | instid1(VALU_DEP_2)
	v_mad_u64_u32 v[2:3], null, s0, s2, v[0:1]
	v_lshlrev_b64 v[0:1], 1, v[4:5]
	v_mul_lo_u32 v3, v3, s18
	s_delay_alu instid0(VALU_DEP_3)
	v_mul_lo_u32 v7, v2, s19
	s_cbranch_scc1 .LBB76_86
; %bb.85:
	v_mad_u64_u32 v[4:5], null, v2, s18, 0
	v_cvt_f16_f32_e32 v6, v6
	s_delay_alu instid0(VALU_DEP_2) | instskip(NEXT) | instid1(VALU_DEP_1)
	v_add3_u32 v5, v5, v7, v3
	v_lshlrev_b64 v[4:5], 1, v[4:5]
	s_delay_alu instid0(VALU_DEP_1) | instskip(NEXT) | instid1(VALU_DEP_2)
	v_add_co_u32 v4, vcc_lo, s4, v4
	v_add_co_ci_u32_e32 v5, vcc_lo, s5, v5, vcc_lo
	s_delay_alu instid0(VALU_DEP_2) | instskip(NEXT) | instid1(VALU_DEP_2)
	v_add_co_u32 v4, vcc_lo, v4, v0
	v_add_co_ci_u32_e32 v5, vcc_lo, v5, v1, vcc_lo
	global_store_b16 v[4:5], v6, off
.LBB76_86:
	s_cmp_eq_u64 s[6:7], 0
	s_cbranch_scc1 .LBB76_88
; %bb.87:
	v_mad_u64_u32 v[4:5], null, v2, s18, 0
	s_delay_alu instid0(VALU_DEP_1) | instskip(NEXT) | instid1(VALU_DEP_1)
	v_add3_u32 v5, v5, v7, v3
	v_lshlrev_b64 v[2:3], 1, v[4:5]
	v_cvt_f16_f32_e32 v4, v61
	s_delay_alu instid0(VALU_DEP_2) | instskip(NEXT) | instid1(VALU_DEP_3)
	v_add_co_u32 v2, vcc_lo, s6, v2
	v_add_co_ci_u32_e32 v3, vcc_lo, s7, v3, vcc_lo
	s_delay_alu instid0(VALU_DEP_2) | instskip(NEXT) | instid1(VALU_DEP_2)
	v_add_co_u32 v0, vcc_lo, v2, v0
	v_add_co_ci_u32_e32 v1, vcc_lo, v3, v1, vcc_lo
	global_store_b16 v[0:1], v4, off
.LBB76_88:
	s_nop 0
	s_sendmsg sendmsg(MSG_DEALLOC_VGPRS)
	s_endpgm
	.section	.rodata,"a",@progbits
	.p2align	6, 0x0
	.amdhsa_kernel _ZN2at6native12_GLOBAL__N_135GammaBetaBackwardCUDAKernelTemplateIN3c104HalfEfLj64ELj1ELj8ELb1ELb0ELb0EEEvllPKT_S7_PKT0_SA_PS5_SB_
		.amdhsa_group_segment_fixed_size 0
		.amdhsa_private_segment_fixed_size 0
		.amdhsa_kernarg_size 320
		.amdhsa_user_sgpr_count 14
		.amdhsa_user_sgpr_dispatch_ptr 0
		.amdhsa_user_sgpr_queue_ptr 0
		.amdhsa_user_sgpr_kernarg_segment_ptr 1
		.amdhsa_user_sgpr_dispatch_id 0
		.amdhsa_user_sgpr_private_segment_size 0
		.amdhsa_wavefront_size32 1
		.amdhsa_uses_dynamic_stack 0
		.amdhsa_enable_private_segment 0
		.amdhsa_system_sgpr_workgroup_id_x 1
		.amdhsa_system_sgpr_workgroup_id_y 1
		.amdhsa_system_sgpr_workgroup_id_z 0
		.amdhsa_system_sgpr_workgroup_info 0
		.amdhsa_system_vgpr_workitem_id 1
		.amdhsa_next_free_vgpr 101
		.amdhsa_next_free_sgpr 41
		.amdhsa_reserve_vcc 1
		.amdhsa_float_round_mode_32 0
		.amdhsa_float_round_mode_16_64 0
		.amdhsa_float_denorm_mode_32 3
		.amdhsa_float_denorm_mode_16_64 3
		.amdhsa_dx10_clamp 1
		.amdhsa_ieee_mode 1
		.amdhsa_fp16_overflow 0
		.amdhsa_workgroup_processor_mode 1
		.amdhsa_memory_ordered 1
		.amdhsa_forward_progress 0
		.amdhsa_shared_vgpr_count 0
		.amdhsa_exception_fp_ieee_invalid_op 0
		.amdhsa_exception_fp_denorm_src 0
		.amdhsa_exception_fp_ieee_div_zero 0
		.amdhsa_exception_fp_ieee_overflow 0
		.amdhsa_exception_fp_ieee_underflow 0
		.amdhsa_exception_fp_ieee_inexact 0
		.amdhsa_exception_int_div_zero 0
	.end_amdhsa_kernel
	.section	.text._ZN2at6native12_GLOBAL__N_135GammaBetaBackwardCUDAKernelTemplateIN3c104HalfEfLj64ELj1ELj8ELb1ELb0ELb0EEEvllPKT_S7_PKT0_SA_PS5_SB_,"axG",@progbits,_ZN2at6native12_GLOBAL__N_135GammaBetaBackwardCUDAKernelTemplateIN3c104HalfEfLj64ELj1ELj8ELb1ELb0ELb0EEEvllPKT_S7_PKT0_SA_PS5_SB_,comdat
.Lfunc_end76:
	.size	_ZN2at6native12_GLOBAL__N_135GammaBetaBackwardCUDAKernelTemplateIN3c104HalfEfLj64ELj1ELj8ELb1ELb0ELb0EEEvllPKT_S7_PKT0_SA_PS5_SB_, .Lfunc_end76-_ZN2at6native12_GLOBAL__N_135GammaBetaBackwardCUDAKernelTemplateIN3c104HalfEfLj64ELj1ELj8ELb1ELb0ELb0EEEvllPKT_S7_PKT0_SA_PS5_SB_
                                        ; -- End function
	.section	.AMDGPU.csdata,"",@progbits
; Kernel info:
; codeLenInByte = 8232
; NumSgprs: 43
; NumVgprs: 101
; ScratchSize: 0
; MemoryBound: 0
; FloatMode: 240
; IeeeMode: 1
; LDSByteSize: 0 bytes/workgroup (compile time only)
; SGPRBlocks: 5
; VGPRBlocks: 12
; NumSGPRsForWavesPerEU: 43
; NumVGPRsForWavesPerEU: 101
; Occupancy: 12
; WaveLimiterHint : 0
; COMPUTE_PGM_RSRC2:SCRATCH_EN: 0
; COMPUTE_PGM_RSRC2:USER_SGPR: 14
; COMPUTE_PGM_RSRC2:TRAP_HANDLER: 0
; COMPUTE_PGM_RSRC2:TGID_X_EN: 1
; COMPUTE_PGM_RSRC2:TGID_Y_EN: 1
; COMPUTE_PGM_RSRC2:TGID_Z_EN: 0
; COMPUTE_PGM_RSRC2:TIDIG_COMP_CNT: 1
	.section	.text._ZN2at6native12_GLOBAL__N_135GammaBetaBackwardCUDAKernelTemplateIN3c104HalfEfLj64ELj8ELj64ELb0ELb1ELb0EEEvllPKT_S7_PKT0_SA_PS5_SB_,"axG",@progbits,_ZN2at6native12_GLOBAL__N_135GammaBetaBackwardCUDAKernelTemplateIN3c104HalfEfLj64ELj8ELj64ELb0ELb1ELb0EEEvllPKT_S7_PKT0_SA_PS5_SB_,comdat
	.globl	_ZN2at6native12_GLOBAL__N_135GammaBetaBackwardCUDAKernelTemplateIN3c104HalfEfLj64ELj8ELj64ELb0ELb1ELb0EEEvllPKT_S7_PKT0_SA_PS5_SB_ ; -- Begin function _ZN2at6native12_GLOBAL__N_135GammaBetaBackwardCUDAKernelTemplateIN3c104HalfEfLj64ELj8ELj64ELb0ELb1ELb0EEEvllPKT_S7_PKT0_SA_PS5_SB_
	.p2align	8
	.type	_ZN2at6native12_GLOBAL__N_135GammaBetaBackwardCUDAKernelTemplateIN3c104HalfEfLj64ELj8ELj64ELb0ELb1ELb0EEEvllPKT_S7_PKT0_SA_PS5_SB_,@function
_ZN2at6native12_GLOBAL__N_135GammaBetaBackwardCUDAKernelTemplateIN3c104HalfEfLj64ELj8ELj64ELb0ELb1ELb0EEEvllPKT_S7_PKT0_SA_PS5_SB_: ; @_ZN2at6native12_GLOBAL__N_135GammaBetaBackwardCUDAKernelTemplateIN3c104HalfEfLj64ELj8ELj64ELb0ELb1ELb0EEEvllPKT_S7_PKT0_SA_PS5_SB_
; %bb.0:
	s_load_b128 s[20:23], s[0:1], 0x0
	s_mov_b32 s3, 0
	s_lshl_b32 s2, s15, 6
	v_bfe_u32 v7, v0, 10, 10
	s_waitcnt lgkmcnt(0)
	v_cmp_lt_i64_e64 s4, s[2:3], s[20:21]
	s_delay_alu instid0(VALU_DEP_1)
	s_and_b32 vcc_lo, exec_lo, s4
	s_cbranch_vccnz .LBB77_2
; %bb.1:
	v_bfe_u32 v1, v0, 10, 10
	s_mov_b32 s5, 0
	s_mov_b32 s4, s3
	s_branch .LBB77_3
.LBB77_2:
	s_mov_b32 s4, -1
                                        ; implicit-def: $sgpr5
                                        ; implicit-def: $vgpr1
.LBB77_3:
	s_load_b128 s[16:19], s[0:1], 0x30
	v_dual_mov_b32 v15, s5 :: v_dual_and_b32 v6, 0x3ff, v0
	v_mov_b32_e32 v17, s5
	s_and_not1_b32 vcc_lo, exec_lo, s4
	s_cbranch_vccnz .LBB77_11
; %bb.4:
	s_clause 0x2
	s_load_b32 s12, s[0:1], 0x4c
	s_load_b32 s15, s[0:1], 0x44
	s_load_b256 s[4:11], s[0:1], 0x10
	v_dual_mov_b32 v1, 0 :: v_dual_lshlrev_b32 v0, 3, v7
	v_dual_mov_b32 v8, 8 :: v_dual_mov_b32 v9, 4
	v_dual_mov_b32 v10, 12 :: v_dual_mov_b32 v11, 16
	s_delay_alu instid0(VALU_DEP_3) | instskip(NEXT) | instid1(VALU_DEP_1)
	v_add_co_u32 v2, s0, v0, s2
	v_add_co_ci_u32_e64 v3, null, 0, 0, s0
	v_lshl_add_u32 v0, s14, 6, v6
	s_delay_alu instid0(VALU_DEP_3) | instskip(SKIP_1) | instid1(VALU_DEP_4)
	v_mul_lo_u32 v17, s23, v2
	v_mad_u64_u32 v[4:5], null, s22, v2, 0
	v_mul_lo_u32 v18, s22, v3
	v_dual_mov_b32 v12, 20 :: v_dual_mov_b32 v13, 24
	s_waitcnt lgkmcnt(0)
	s_and_b32 s0, s12, 0xffff
	s_lshl_b32 s12, s15, 6
	v_mad_u32_u24 v15, v7, s0, v6
	v_mov_b32_e32 v14, 28
	s_mul_i32 s1, s23, s12
	v_add3_u32 v5, v5, v18, v17
	s_mul_hi_u32 s15, s22, s12
	v_and_b32_e32 v19, 31, v15
	v_lshlrev_b64 v[15:16], 1, v[0:1]
	s_mov_b32 s13, 0
	v_lshlrev_b64 v[17:18], 1, v[4:5]
	s_add_i32 s27, s15, s1
	v_add_co_u32 v2, vcc_lo, v2, v19
	v_add_co_ci_u32_e32 v3, vcc_lo, 0, v3, vcc_lo
	s_delay_alu instid0(VALU_DEP_3) | instskip(SKIP_1) | instid1(VALU_DEP_3)
	v_add_co_u32 v0, vcc_lo, v17, v15
	v_cmp_gt_u32_e64 s0, 8, v19
	v_lshlrev_b64 v[4:5], 2, v[2:3]
	v_add_co_ci_u32_e32 v16, vcc_lo, v18, v16, vcc_lo
	v_mov_b32_e32 v17, 0
	v_mov_b32_e32 v15, 0
	s_mul_i32 s26, s22, s12
	s_lshl_b64 s[24:25], s[12:13], 2
	s_lshl_b64 s[26:27], s[26:27], 1
	;; [unrolled: 1-line block ×3, first 2 shown]
	s_branch .LBB77_7
.LBB77_5:                               ;   in Loop: Header=BB77_7 Depth=1
	s_or_b32 exec_lo, exec_lo, s13
.LBB77_6:                               ;   in Loop: Header=BB77_7 Depth=1
	s_delay_alu instid0(SALU_CYCLE_1) | instskip(SKIP_4) | instid1(VALU_DEP_4)
	s_or_b32 exec_lo, exec_lo, s1
	v_add_co_u32 v20, vcc_lo, s4, v0
	v_add_co_ci_u32_e32 v21, vcc_lo, s5, v16, vcc_lo
	v_add_co_u32 v22, vcc_lo, s6, v0
	v_add_co_ci_u32_e32 v23, vcc_lo, s7, v16, vcc_lo
	v_add_co_u32 v24, vcc_lo, v20, s22
	s_delay_alu instid0(VALU_DEP_4) | instskip(NEXT) | instid1(VALU_DEP_4)
	v_add_co_ci_u32_e32 v25, vcc_lo, s23, v21, vcc_lo
	v_add_co_u32 v26, vcc_lo, v22, s22
	s_delay_alu instid0(VALU_DEP_4) | instskip(NEXT) | instid1(VALU_DEP_4)
	v_add_co_ci_u32_e32 v27, vcc_lo, s23, v23, vcc_lo
	v_add_co_u32 v28, vcc_lo, v24, s22
	s_delay_alu instid0(VALU_DEP_4)
	v_add_co_ci_u32_e32 v29, vcc_lo, s23, v25, vcc_lo
	global_load_u16 v30, v[20:21], off
	global_load_u16 v31, v[22:23], off
	;; [unrolled: 1-line block ×5, first 2 shown]
	v_add_co_u32 v20, vcc_lo, v26, s22
	v_add_co_ci_u32_e32 v21, vcc_lo, s23, v27, vcc_lo
	v_add_co_u32 v22, vcc_lo, v28, s22
	v_add_co_ci_u32_e32 v23, vcc_lo, s23, v29, vcc_lo
	s_delay_alu instid0(VALU_DEP_4) | instskip(NEXT) | instid1(VALU_DEP_4)
	v_add_co_u32 v24, vcc_lo, v20, s22
	v_add_co_ci_u32_e32 v25, vcc_lo, s23, v21, vcc_lo
	s_delay_alu instid0(VALU_DEP_4) | instskip(NEXT) | instid1(VALU_DEP_4)
	;; [unrolled: 3-line block ×3, first 2 shown]
	v_add_co_u32 v28, vcc_lo, v24, s22
	v_add_co_ci_u32_e32 v29, vcc_lo, s23, v25, vcc_lo
	global_load_u16 v35, v[20:21], off
	global_load_u16 v36, v[22:23], off
	;; [unrolled: 1-line block ×5, first 2 shown]
	v_add_co_u32 v20, vcc_lo, v26, s22
	v_add_co_ci_u32_e32 v21, vcc_lo, s23, v27, vcc_lo
	v_add_co_u32 v22, vcc_lo, v28, s22
	v_add_co_ci_u32_e32 v23, vcc_lo, s23, v29, vcc_lo
	s_delay_alu instid0(VALU_DEP_4) | instskip(NEXT) | instid1(VALU_DEP_4)
	v_add_co_u32 v24, vcc_lo, v20, s22
	v_add_co_ci_u32_e32 v25, vcc_lo, s23, v21, vcc_lo
	s_delay_alu instid0(VALU_DEP_4) | instskip(NEXT) | instid1(VALU_DEP_4)
	v_add_co_u32 v26, vcc_lo, v22, s22
	v_add_co_ci_u32_e32 v27, vcc_lo, s23, v23, vcc_lo
	global_load_u16 v28, v[20:21], off
	global_load_u16 v29, v[22:23], off
	;; [unrolled: 1-line block ×4, first 2 shown]
	v_add_co_u32 v20, vcc_lo, v26, s22
	v_add_co_ci_u32_e32 v21, vcc_lo, s23, v27, vcc_lo
	v_add_co_u32 v22, vcc_lo, v24, s22
	v_add_co_ci_u32_e32 v23, vcc_lo, s23, v25, vcc_lo
	global_load_u16 v20, v[20:21], off
	global_load_u16 v21, v[22:23], off
	s_waitcnt vmcnt(17)
	ds_bpermute_b32 v22, v1, v18
	ds_bpermute_b32 v25, v9, v18
	s_waitcnt vmcnt(16)
	ds_bpermute_b32 v23, v1, v19
	ds_bpermute_b32 v27, v8, v18
	;; [unrolled: 1-line block ×14, first 2 shown]
	v_add_co_u32 v4, vcc_lo, v4, s24
	s_add_u32 s2, s2, s12
	v_add_co_ci_u32_e32 v5, vcc_lo, s25, v5, vcc_lo
	s_addc_u32 s3, s3, 0
	v_add_co_u32 v2, vcc_lo, v2, s12
	v_add_co_ci_u32_e32 v3, vcc_lo, 0, v3, vcc_lo
	v_cmp_lt_i64_e64 s1, s[2:3], s[20:21]
	v_add_co_u32 v0, vcc_lo, v0, s26
	v_add_co_ci_u32_e32 v16, vcc_lo, s27, v16, vcc_lo
	s_delay_alu instid0(VALU_DEP_3)
	s_and_b32 vcc_lo, exec_lo, s1
	s_waitcnt vmcnt(15)
	v_cvt_f32_f16_e32 v30, v30
	s_waitcnt vmcnt(14)
	v_cvt_f32_f16_e32 v31, v31
	;; [unrolled: 2-line block ×3, first 2 shown]
	s_waitcnt lgkmcnt(15)
	s_delay_alu instid0(VALU_DEP_2)
	v_sub_f32_e32 v22, v31, v22
	v_cvt_f32_f16_e32 v31, v32
	s_waitcnt lgkmcnt(14)
	v_sub_f32_e32 v25, v33, v25
	s_waitcnt vmcnt(10)
	v_cvt_f32_f16_e32 v32, v35
	v_mul_f32_e32 v22, v22, v30
	s_waitcnt lgkmcnt(13)
	s_delay_alu instid0(VALU_DEP_1)
	v_fmac_f32_e32 v15, v22, v23
	v_mul_f32_e32 v22, v25, v31
	s_waitcnt lgkmcnt(12)
	v_sub_f32_e32 v23, v32, v27
	s_waitcnt vmcnt(8)
	v_cvt_f32_f16_e32 v25, v37
	v_cvt_f32_f16_e32 v27, v36
	v_add_f32_e32 v17, v17, v30
	v_cvt_f32_f16_e32 v30, v34
	s_waitcnt lgkmcnt(11)
	v_fmac_f32_e32 v15, v22, v24
	s_waitcnt vmcnt(6)
	v_cvt_f32_f16_e32 v24, v39
	v_mul_f32_e32 v22, v23, v30
	s_waitcnt lgkmcnt(9)
	s_delay_alu instid0(VALU_DEP_1)
	v_fmac_f32_e32 v15, v22, v26
	s_waitcnt vmcnt(5)
	v_cvt_f32_f16_e32 v26, v28
	s_waitcnt vmcnt(1)
	v_cvt_f32_f16_e32 v20, v20
	v_sub_f32_e32 v23, v25, v43
	v_cvt_f32_f16_e32 v25, v38
	s_waitcnt vmcnt(0)
	v_cvt_f32_f16_e32 v21, v21
	s_waitcnt lgkmcnt(5)
	v_sub_f32_e32 v18, v20, v18
	v_dual_mul_f32 v22, v23, v27 :: v_dual_sub_f32 v23, v24, v45
	v_cvt_f32_f16_e32 v24, v29
	s_delay_alu instid0(VALU_DEP_3) | instskip(SKIP_1) | instid1(VALU_DEP_3)
	v_dual_add_f32 v17, v17, v31 :: v_dual_mul_f32 v18, v18, v21
	s_waitcnt lgkmcnt(4)
	v_dual_fmac_f32 v15, v22, v42 :: v_dual_mul_f32 v22, v23, v25
	s_delay_alu instid0(VALU_DEP_3) | instskip(SKIP_2) | instid1(VALU_DEP_2)
	v_sub_f32_e32 v23, v24, v47
	v_cvt_f32_f16_e32 v24, v41
	s_waitcnt lgkmcnt(3)
	v_dual_fmac_f32 v15, v22, v44 :: v_dual_mul_f32 v22, v23, v26
	s_delay_alu instid0(VALU_DEP_2) | instskip(SKIP_2) | instid1(VALU_DEP_3)
	v_sub_f32_e32 v23, v24, v49
	v_add_f32_e32 v17, v17, v30
	s_waitcnt lgkmcnt(2)
	v_fmac_f32_e32 v15, v22, v46
	s_delay_alu instid0(VALU_DEP_2) | instskip(NEXT) | instid1(VALU_DEP_1)
	v_add_f32_e32 v17, v17, v27
	v_add_f32_e32 v17, v17, v25
	v_cvt_f32_f16_e32 v25, v40
	s_delay_alu instid0(VALU_DEP_1) | instskip(NEXT) | instid1(VALU_DEP_1)
	v_dual_add_f32 v17, v17, v26 :: v_dual_mul_f32 v22, v23, v25
	v_add_f32_e32 v17, v17, v25
	s_waitcnt lgkmcnt(1)
	s_delay_alu instid0(VALU_DEP_2) | instskip(NEXT) | instid1(VALU_DEP_2)
	v_fmac_f32_e32 v15, v22, v48
	v_add_f32_e32 v17, v17, v21
	s_waitcnt lgkmcnt(0)
	s_delay_alu instid0(VALU_DEP_2)
	v_fmac_f32_e32 v15, v18, v19
	s_cbranch_vccz .LBB77_10
.LBB77_7:                               ; =>This Inner Loop Header: Depth=1
	v_dual_mov_b32 v19, 0 :: v_dual_mov_b32 v18, 0
	s_and_saveexec_b32 s1, s0
	s_cbranch_execz .LBB77_6
; %bb.8:                                ;   in Loop: Header=BB77_7 Depth=1
	v_dual_mov_b32 v18, 0 :: v_dual_mov_b32 v19, 0
	s_mov_b32 s13, exec_lo
	v_cmpx_gt_i64_e64 s[20:21], v[2:3]
	s_cbranch_execz .LBB77_5
; %bb.9:                                ;   in Loop: Header=BB77_7 Depth=1
	v_add_co_u32 v18, vcc_lo, s8, v4
	v_add_co_ci_u32_e32 v19, vcc_lo, s9, v5, vcc_lo
	v_add_co_u32 v20, vcc_lo, s10, v4
	v_add_co_ci_u32_e32 v21, vcc_lo, s11, v5, vcc_lo
	global_load_b32 v18, v[18:19], off
	global_load_b32 v19, v[20:21], off
	s_branch .LBB77_5
.LBB77_10:
	v_mov_b32_e32 v1, v7
.LBB77_11:
	s_delay_alu instid0(VALU_DEP_1) | instskip(SKIP_2) | instid1(VALU_DEP_1)
	v_mad_u32_u24 v2, 0x41, v1, v6
	s_mov_b32 s15, 0
	s_mov_b32 s0, exec_lo
	v_sub_nc_u32_e32 v0, v2, v1
	v_lshl_add_u32 v1, v2, 2, 0
	ds_store_b32 v1, v15
	ds_store_b32 v1, v17 offset:2080
	s_waitcnt lgkmcnt(0)
	s_barrier
	buffer_gl0_inv
	v_cmpx_gt_u32_e32 0x800, v0
	s_cbranch_execz .LBB77_21
; %bb.12:
	v_mbcnt_lo_u32_b32 v1, -1, 0
	v_lshrrev_b32_e32 v3, 5, v0
	v_cmp_eq_u32_e64 s0, 0, v6
	s_cmp_lg_u64 s[16:17], 0
	s_cselect_b32 s3, -1, 0
	v_xor_b32_e32 v0, 4, v1
	v_xor_b32_e32 v4, 2, v1
	;; [unrolled: 1-line block ×3, first 2 shown]
	v_and_b32_e32 v2, 31, v6
	s_cmp_lg_u64 s[18:19], 0
	v_cmp_gt_i32_e32 vcc_lo, 32, v0
	s_cselect_b32 s4, -1, 0
	s_lshl_b64 s[6:7], s[14:15], 7
	v_dual_cndmask_b32 v0, v1, v0 :: v_dual_add_nc_u32 v7, -16, v3
	v_cmp_gt_i32_e32 vcc_lo, 32, v4
	v_cndmask_b32_e32 v6, v1, v4, vcc_lo
	v_cmp_gt_i32_e32 vcc_lo, 32, v5
	v_cndmask_b32_e32 v1, v1, v5, vcc_lo
	s_delay_alu instid0(VALU_DEP_3)
	v_lshlrev_b32_e32 v5, 2, v6
	v_lshlrev_b32_e32 v4, 2, v0
	;; [unrolled: 1-line block ×3, first 2 shown]
	v_mad_u32_u24 v10, 0x41, v2, v3
	v_lshlrev_b32_e32 v6, 2, v1
	v_cmp_gt_u32_e64 s1, 8, v2
	s_delay_alu instid0(VALU_DEP_4) | instskip(NEXT) | instid1(VALU_DEP_1)
	v_add_co_u32 v8, s2, s6, v0
	v_add_co_ci_u32_e64 v9, null, s7, 0, s2
	s_delay_alu instid0(VALU_DEP_2) | instskip(NEXT) | instid1(VALU_DEP_2)
	v_add_co_u32 v0, vcc_lo, s18, v8
	v_add_co_ci_u32_e32 v1, vcc_lo, s19, v9, vcc_lo
	v_add_co_u32 v2, vcc_lo, s16, v8
	v_add_co_ci_u32_e32 v3, vcc_lo, s17, v9, vcc_lo
	v_lshl_add_u32 v8, v10, 2, 0
                                        ; implicit-def: $vgpr9
                                        ; implicit-def: $vgpr10
	s_branch .LBB77_14
.LBB77_13:                              ;   in Loop: Header=BB77_14 Depth=1
	s_or_b32 exec_lo, exec_lo, s2
	v_add_nc_u32_e32 v7, 16, v7
	v_add_co_u32 v0, vcc_lo, v0, 32
	v_add_co_ci_u32_e32 v1, vcc_lo, 0, v1, vcc_lo
	s_delay_alu instid0(VALU_DEP_3) | instskip(SKIP_1) | instid1(VALU_DEP_1)
	v_cmp_lt_u32_e32 vcc_lo, 47, v7
	v_add_co_u32 v2, s2, v2, 32
	v_add_co_ci_u32_e64 v3, s2, 0, v3, s2
	v_add_nc_u32_e32 v8, 64, v8
	s_or_b32 s15, vcc_lo, s15
	s_delay_alu instid0(SALU_CYCLE_1)
	s_and_not1_b32 exec_lo, exec_lo, s15
	s_cbranch_execz .LBB77_21
.LBB77_14:                              ; =>This Inner Loop Header: Depth=1
	s_and_saveexec_b32 s2, s1
	s_cbranch_execz .LBB77_16
; %bb.15:                               ;   in Loop: Header=BB77_14 Depth=1
	ds_load_b32 v9, v8
	ds_load_b32 v10, v8 offset:2080
.LBB77_16:                              ;   in Loop: Header=BB77_14 Depth=1
	s_or_b32 exec_lo, exec_lo, s2
	s_waitcnt lgkmcnt(1)
	ds_bpermute_b32 v11, v4, v9
	s_waitcnt lgkmcnt(1)
	ds_bpermute_b32 v12, v4, v10
	s_waitcnt lgkmcnt(0)
	v_dual_add_f32 v9, v9, v11 :: v_dual_add_f32 v10, v10, v12
	ds_bpermute_b32 v11, v5, v9
	ds_bpermute_b32 v12, v5, v10
	s_waitcnt lgkmcnt(0)
	v_dual_add_f32 v9, v9, v11 :: v_dual_add_f32 v10, v10, v12
	ds_bpermute_b32 v11, v6, v9
	ds_bpermute_b32 v12, v6, v10
	s_waitcnt lgkmcnt(0)
	v_dual_add_f32 v9, v9, v11 :: v_dual_add_f32 v10, v10, v12
	s_and_saveexec_b32 s2, s0
	s_cbranch_execz .LBB77_13
; %bb.17:                               ;   in Loop: Header=BB77_14 Depth=1
	s_and_not1_b32 vcc_lo, exec_lo, s3
	s_cbranch_vccnz .LBB77_19
; %bb.18:                               ;   in Loop: Header=BB77_14 Depth=1
	v_cvt_f16_f32_e32 v11, v9
	global_store_b16 v[2:3], v11, off
.LBB77_19:                              ;   in Loop: Header=BB77_14 Depth=1
	s_and_not1_b32 vcc_lo, exec_lo, s4
	s_cbranch_vccnz .LBB77_13
; %bb.20:                               ;   in Loop: Header=BB77_14 Depth=1
	v_cvt_f16_f32_e32 v11, v10
	global_store_b16 v[0:1], v11, off
	s_branch .LBB77_13
.LBB77_21:
	s_nop 0
	s_sendmsg sendmsg(MSG_DEALLOC_VGPRS)
	s_endpgm
	.section	.rodata,"a",@progbits
	.p2align	6, 0x0
	.amdhsa_kernel _ZN2at6native12_GLOBAL__N_135GammaBetaBackwardCUDAKernelTemplateIN3c104HalfEfLj64ELj8ELj64ELb0ELb1ELb0EEEvllPKT_S7_PKT0_SA_PS5_SB_
		.amdhsa_group_segment_fixed_size 0
		.amdhsa_private_segment_fixed_size 0
		.amdhsa_kernarg_size 320
		.amdhsa_user_sgpr_count 14
		.amdhsa_user_sgpr_dispatch_ptr 0
		.amdhsa_user_sgpr_queue_ptr 0
		.amdhsa_user_sgpr_kernarg_segment_ptr 1
		.amdhsa_user_sgpr_dispatch_id 0
		.amdhsa_user_sgpr_private_segment_size 0
		.amdhsa_wavefront_size32 1
		.amdhsa_uses_dynamic_stack 0
		.amdhsa_enable_private_segment 0
		.amdhsa_system_sgpr_workgroup_id_x 1
		.amdhsa_system_sgpr_workgroup_id_y 1
		.amdhsa_system_sgpr_workgroup_id_z 0
		.amdhsa_system_sgpr_workgroup_info 0
		.amdhsa_system_vgpr_workitem_id 1
		.amdhsa_next_free_vgpr 50
		.amdhsa_next_free_sgpr 28
		.amdhsa_reserve_vcc 1
		.amdhsa_float_round_mode_32 0
		.amdhsa_float_round_mode_16_64 0
		.amdhsa_float_denorm_mode_32 3
		.amdhsa_float_denorm_mode_16_64 3
		.amdhsa_dx10_clamp 1
		.amdhsa_ieee_mode 1
		.amdhsa_fp16_overflow 0
		.amdhsa_workgroup_processor_mode 1
		.amdhsa_memory_ordered 1
		.amdhsa_forward_progress 0
		.amdhsa_shared_vgpr_count 0
		.amdhsa_exception_fp_ieee_invalid_op 0
		.amdhsa_exception_fp_denorm_src 0
		.amdhsa_exception_fp_ieee_div_zero 0
		.amdhsa_exception_fp_ieee_overflow 0
		.amdhsa_exception_fp_ieee_underflow 0
		.amdhsa_exception_fp_ieee_inexact 0
		.amdhsa_exception_int_div_zero 0
	.end_amdhsa_kernel
	.section	.text._ZN2at6native12_GLOBAL__N_135GammaBetaBackwardCUDAKernelTemplateIN3c104HalfEfLj64ELj8ELj64ELb0ELb1ELb0EEEvllPKT_S7_PKT0_SA_PS5_SB_,"axG",@progbits,_ZN2at6native12_GLOBAL__N_135GammaBetaBackwardCUDAKernelTemplateIN3c104HalfEfLj64ELj8ELj64ELb0ELb1ELb0EEEvllPKT_S7_PKT0_SA_PS5_SB_,comdat
.Lfunc_end77:
	.size	_ZN2at6native12_GLOBAL__N_135GammaBetaBackwardCUDAKernelTemplateIN3c104HalfEfLj64ELj8ELj64ELb0ELb1ELb0EEEvllPKT_S7_PKT0_SA_PS5_SB_, .Lfunc_end77-_ZN2at6native12_GLOBAL__N_135GammaBetaBackwardCUDAKernelTemplateIN3c104HalfEfLj64ELj8ELj64ELb0ELb1ELb0EEEvllPKT_S7_PKT0_SA_PS5_SB_
                                        ; -- End function
	.section	.AMDGPU.csdata,"",@progbits
; Kernel info:
; codeLenInByte = 1844
; NumSgprs: 30
; NumVgprs: 50
; ScratchSize: 0
; MemoryBound: 0
; FloatMode: 240
; IeeeMode: 1
; LDSByteSize: 0 bytes/workgroup (compile time only)
; SGPRBlocks: 3
; VGPRBlocks: 6
; NumSGPRsForWavesPerEU: 30
; NumVGPRsForWavesPerEU: 50
; Occupancy: 16
; WaveLimiterHint : 0
; COMPUTE_PGM_RSRC2:SCRATCH_EN: 0
; COMPUTE_PGM_RSRC2:USER_SGPR: 14
; COMPUTE_PGM_RSRC2:TRAP_HANDLER: 0
; COMPUTE_PGM_RSRC2:TGID_X_EN: 1
; COMPUTE_PGM_RSRC2:TGID_Y_EN: 1
; COMPUTE_PGM_RSRC2:TGID_Z_EN: 0
; COMPUTE_PGM_RSRC2:TIDIG_COMP_CNT: 1
	.section	.text._ZN2at6native12_GLOBAL__N_135GammaBetaBackwardCUDAKernelTemplateIN3c104HalfEfLj64ELj8ELj64ELb0ELb0ELb0EEEvllPKT_S7_PKT0_SA_PS5_SB_,"axG",@progbits,_ZN2at6native12_GLOBAL__N_135GammaBetaBackwardCUDAKernelTemplateIN3c104HalfEfLj64ELj8ELj64ELb0ELb0ELb0EEEvllPKT_S7_PKT0_SA_PS5_SB_,comdat
	.globl	_ZN2at6native12_GLOBAL__N_135GammaBetaBackwardCUDAKernelTemplateIN3c104HalfEfLj64ELj8ELj64ELb0ELb0ELb0EEEvllPKT_S7_PKT0_SA_PS5_SB_ ; -- Begin function _ZN2at6native12_GLOBAL__N_135GammaBetaBackwardCUDAKernelTemplateIN3c104HalfEfLj64ELj8ELj64ELb0ELb0ELb0EEEvllPKT_S7_PKT0_SA_PS5_SB_
	.p2align	8
	.type	_ZN2at6native12_GLOBAL__N_135GammaBetaBackwardCUDAKernelTemplateIN3c104HalfEfLj64ELj8ELj64ELb0ELb0ELb0EEEvllPKT_S7_PKT0_SA_PS5_SB_,@function
_ZN2at6native12_GLOBAL__N_135GammaBetaBackwardCUDAKernelTemplateIN3c104HalfEfLj64ELj8ELj64ELb0ELb0ELb0EEEvllPKT_S7_PKT0_SA_PS5_SB_: ; @_ZN2at6native12_GLOBAL__N_135GammaBetaBackwardCUDAKernelTemplateIN3c104HalfEfLj64ELj8ELj64ELb0ELb0ELb0EEEvllPKT_S7_PKT0_SA_PS5_SB_
; %bb.0:
	s_clause 0x1
	s_load_b256 s[4:11], s[0:1], 0x0
	s_load_b128 s[24:27], s[0:1], 0x20
	s_mov_b32 s29, 0
	s_lshl_b32 s12, s15, 6
	s_mov_b32 s13, s29
	s_lshl_b32 s33, s14, 6
	s_delay_alu instid0(SALU_CYCLE_1) | instskip(SKIP_3) | instid1(VALU_DEP_2)
	s_or_b32 s28, s33, 63
	s_waitcnt lgkmcnt(0)
	v_cmp_lt_i64_e64 s15, s[12:13], s[4:5]
	v_cmp_ge_i64_e64 s2, s[28:29], s[6:7]
	v_cndmask_b32_e64 v1, 0, 1, s15
	s_delay_alu instid0(VALU_DEP_2) | instskip(NEXT) | instid1(VALU_DEP_1)
	s_and_b32 vcc_lo, exec_lo, s2
	v_cmp_ne_u32_e64 s2, 1, v1
	s_cbranch_vccz .LBB78_49
; %bb.1:
	v_mov_b32_e32 v1, 0
	v_mov_b32_e32 v59, 0
	s_delay_alu instid0(VALU_DEP_3)
	s_and_b32 vcc_lo, exec_lo, s2
	s_cbranch_vccnz .LBB78_50
; %bb.2:
	v_bfe_u32 v27, v0, 10, 10
	s_load_b32 s3, s[0:1], 0x44
	v_dual_mov_b32 v2, 0 :: v_dual_and_b32 v29, 0x3ff, v0
	s_add_u32 s30, s0, 64
	s_delay_alu instid0(VALU_DEP_2) | instskip(NEXT) | instid1(VALU_DEP_2)
	v_dual_mov_b32 v59, 0 :: v_dual_lshlrev_b32 v28, 3, v27
	v_add_nc_u32_e32 v1, s33, v29
	s_addc_u32 s31, s1, 0
	v_mov_b32_e32 v63, 0
	s_delay_alu instid0(VALU_DEP_3) | instskip(NEXT) | instid1(VALU_DEP_1)
	v_add_co_u32 v9, s2, v28, s12
	v_add_co_ci_u32_e64 v10, null, 0, 0, s2
	v_cmp_gt_i64_e64 s2, s[6:7], v[1:2]
	s_delay_alu instid0(VALU_DEP_3) | instskip(NEXT) | instid1(VALU_DEP_3)
	v_add_co_u32 v5, vcc_lo, v9, 7
	v_add_co_ci_u32_e32 v3, vcc_lo, 0, v10, vcc_lo
	v_add_co_u32 v8, vcc_lo, v9, 6
	s_delay_alu instid0(VALU_DEP_3) | instskip(NEXT) | instid1(VALU_DEP_3)
	v_mul_lo_u32 v6, s7, v5
	v_mul_lo_u32 v7, s6, v3
	v_mad_u64_u32 v[3:4], null, s6, v5, 0
	v_add_co_ci_u32_e32 v5, vcc_lo, 0, v10, vcc_lo
	v_lshlrev_b64 v[25:26], 1, v[1:2]
	v_mul_lo_u32 v1, s7, v8
	s_waitcnt lgkmcnt(0)
	s_lshl_b32 s28, s3, 6
	s_mov_b32 s16, 0
	s_delay_alu instid0(VALU_DEP_4) | instskip(SKIP_3) | instid1(VALU_DEP_3)
	v_add3_u32 v4, v4, v7, v6
	v_mul_lo_u32 v7, s6, v5
	v_mad_u64_u32 v[5:6], null, s6, v8, 0
	s_mul_i32 s3, s7, s28
	v_lshlrev_b64 v[3:4], 1, v[3:4]
	s_mul_hi_u32 s17, s6, s28
	s_mul_i32 s18, s6, s28
	s_add_i32 s19, s17, s3
	s_mov_b64 s[38:39], s[12:13]
	s_delay_alu instid0(VALU_DEP_2) | instskip(SKIP_4) | instid1(VALU_DEP_1)
	v_add3_u32 v6, v6, v7, v1
	v_add_co_u32 v30, vcc_lo, s8, v3
	v_add_co_ci_u32_e32 v31, vcc_lo, s9, v4, vcc_lo
	v_add_co_u32 v1, vcc_lo, v9, 5
	v_add_co_u32 v32, s3, s10, v3
	v_add_co_ci_u32_e64 v33, s3, s11, v4, s3
	v_lshlrev_b64 v[3:4], 1, v[5:6]
	v_add_co_ci_u32_e32 v5, vcc_lo, 0, v10, vcc_lo
	v_add_co_u32 v12, vcc_lo, v9, 4
	v_mul_lo_u32 v11, s7, v1
	s_delay_alu instid0(VALU_DEP_3) | instskip(SKIP_4) | instid1(VALU_DEP_3)
	v_mul_lo_u32 v13, s6, v5
	v_mad_u64_u32 v[5:6], null, s6, v1, 0
	v_add_co_ci_u32_e32 v7, vcc_lo, 0, v10, vcc_lo
	v_mul_lo_u32 v1, s7, v12
	v_add_co_u32 v34, vcc_lo, s8, v3
	v_mul_lo_u32 v14, s6, v7
	v_mad_u64_u32 v[7:8], null, s6, v12, 0
	v_add3_u32 v6, v6, v13, v11
	v_add_co_ci_u32_e32 v35, vcc_lo, s9, v4, vcc_lo
	v_add_co_u32 v36, vcc_lo, s10, v3
	v_add_co_ci_u32_e32 v37, vcc_lo, s11, v4, vcc_lo
	s_delay_alu instid0(VALU_DEP_4) | instskip(SKIP_3) | instid1(VALU_DEP_4)
	v_lshlrev_b64 v[3:4], 1, v[5:6]
	v_add3_u32 v8, v8, v14, v1
	v_add_co_u32 v1, vcc_lo, v9, 3
	v_add_co_ci_u32_e32 v11, vcc_lo, 0, v10, vcc_lo
	v_add_co_u32 v38, vcc_lo, s8, v3
	s_delay_alu instid0(VALU_DEP_4)
	v_lshlrev_b64 v[5:6], 1, v[7:8]
	v_add_co_ci_u32_e32 v39, vcc_lo, s9, v4, vcc_lo
	v_mul_lo_u32 v12, s7, v1
	v_mul_lo_u32 v11, s6, v11
	v_mad_u64_u32 v[7:8], null, s6, v1, 0
	v_add_co_u32 v40, vcc_lo, s10, v3
	v_add_co_ci_u32_e32 v41, vcc_lo, s11, v4, vcc_lo
	v_add_co_u32 v42, vcc_lo, s8, v5
	v_add_co_ci_u32_e32 v43, vcc_lo, s9, v6, vcc_lo
	v_add_co_u32 v1, vcc_lo, v9, 2
	v_add3_u32 v8, v8, v11, v12
	v_add_co_ci_u32_e32 v11, vcc_lo, 0, v10, vcc_lo
	v_add_co_u32 v44, vcc_lo, s10, v5
	v_add_co_ci_u32_e32 v45, vcc_lo, s11, v6, vcc_lo
	v_mul_lo_u32 v12, s7, v1
	s_delay_alu instid0(VALU_DEP_4)
	v_mul_lo_u32 v11, s6, v11
	v_mad_u64_u32 v[5:6], null, s6, v1, 0
	v_lshlrev_b64 v[3:4], 1, v[7:8]
	v_mul_lo_u32 v1, s7, v9
	v_mul_lo_u32 v10, s6, v10
	v_mad_u64_u32 v[7:8], null, s6, v9, 0
	s_lshl_b64 s[34:35], s[18:19], 1
	s_delay_alu instid0(VALU_DEP_4)
	v_add_co_u32 v46, vcc_lo, s8, v3
	v_add3_u32 v6, v6, v11, v12
	v_add_co_ci_u32_e32 v47, vcc_lo, s9, v4, vcc_lo
	v_add_co_u32 v48, vcc_lo, s10, v3
	v_add3_u32 v8, v8, v10, v1
	v_add_co_ci_u32_e32 v49, vcc_lo, s11, v4, vcc_lo
	v_lshlrev_b64 v[3:4], 1, v[5:6]
	v_add_co_u32 v5, vcc_lo, v7, s6
	s_delay_alu instid0(VALU_DEP_4) | instskip(SKIP_1) | instid1(VALU_DEP_3)
	v_add_co_ci_u32_e32 v6, vcc_lo, s7, v8, vcc_lo
	s_add_u32 s36, s12, 63
	v_add_co_u32 v50, vcc_lo, s8, v3
	s_delay_alu instid0(VALU_DEP_2) | instskip(SKIP_3) | instid1(VALU_DEP_4)
	v_lshlrev_b64 v[5:6], 1, v[5:6]
	v_add_co_ci_u32_e32 v51, vcc_lo, s9, v4, vcc_lo
	v_add_co_u32 v52, vcc_lo, s10, v3
	v_add_co_ci_u32_e32 v53, vcc_lo, s11, v4, vcc_lo
	v_add_co_u32 v54, vcc_lo, s8, v5
	v_lshlrev_b64 v[3:4], 1, v[7:8]
	v_add_co_ci_u32_e32 v55, vcc_lo, s9, v6, vcc_lo
	v_add_co_u32 v56, vcc_lo, s10, v5
	v_add_co_ci_u32_e32 v57, vcc_lo, s11, v6, vcc_lo
	s_delay_alu instid0(VALU_DEP_4)
	v_add_co_u32 v58, vcc_lo, s8, v3
	v_add_co_ci_u32_e32 v60, vcc_lo, s9, v4, vcc_lo
	v_add_co_u32 v61, vcc_lo, s10, v3
	v_add_co_ci_u32_e32 v62, vcc_lo, s11, v4, vcc_lo
	s_addc_u32 s37, 0, 0
.LBB78_3:                               ; =>This Inner Loop Header: Depth=1
	s_delay_alu instid0(SALU_CYCLE_1) | instskip(SKIP_1) | instid1(VALU_DEP_1)
	v_cmp_ge_i64_e64 s3, s[36:37], s[4:5]
	v_add_co_u32 v64, s17, v28, s36
	v_add_co_ci_u32_e64 v65, null, 0, s37, s17
	s_delay_alu instid0(VALU_DEP_3)
	s_and_b32 vcc_lo, exec_lo, s3
	s_cbranch_vccz .LBB78_25
; %bb.4:                                ;   in Loop: Header=BB78_3 Depth=1
	s_load_b32 s3, s[30:31], 0xc
	v_dual_mov_b32 v67, 0 :: v_dual_mov_b32 v66, 0
	s_waitcnt lgkmcnt(0)
	s_and_b32 s3, s3, 0xffff
	s_delay_alu instid0(SALU_CYCLE_1) | instskip(SKIP_1) | instid1(VALU_DEP_1)
	v_mad_u32_u24 v1, v27, s3, v29
	s_mov_b32 s3, exec_lo
	v_and_b32_e32 v1, 31, v1
	s_delay_alu instid0(VALU_DEP_1)
	v_cmpx_gt_u32_e32 8, v1
	s_cbranch_execz .LBB78_8
; %bb.5:                                ;   in Loop: Header=BB78_3 Depth=1
	v_add_co_u32 v1, vcc_lo, v64, v1
	v_add_co_ci_u32_e32 v4, vcc_lo, 0, v65, vcc_lo
	v_dual_mov_b32 v66, 0 :: v_dual_mov_b32 v67, 0
	s_delay_alu instid0(VALU_DEP_3) | instskip(NEXT) | instid1(VALU_DEP_3)
	v_add_co_u32 v3, vcc_lo, 0xffffffc1, v1
	v_add_co_ci_u32_e32 v4, vcc_lo, -1, v4, vcc_lo
	s_mov_b32 s17, exec_lo
	s_delay_alu instid0(VALU_DEP_1)
	v_cmpx_gt_i64_e64 s[4:5], v[3:4]
	s_cbranch_execz .LBB78_7
; %bb.6:                                ;   in Loop: Header=BB78_3 Depth=1
	v_lshlrev_b64 v[3:4], 2, v[3:4]
	s_delay_alu instid0(VALU_DEP_1) | instskip(NEXT) | instid1(VALU_DEP_2)
	v_add_co_u32 v5, vcc_lo, s24, v3
	v_add_co_ci_u32_e32 v6, vcc_lo, s25, v4, vcc_lo
	v_add_co_u32 v3, vcc_lo, s26, v3
	v_add_co_ci_u32_e32 v4, vcc_lo, s27, v4, vcc_lo
	global_load_b32 v66, v[5:6], off
	global_load_b32 v67, v[3:4], off
.LBB78_7:                               ;   in Loop: Header=BB78_3 Depth=1
	s_or_b32 exec_lo, exec_lo, s17
.LBB78_8:                               ;   in Loop: Header=BB78_3 Depth=1
	s_delay_alu instid0(SALU_CYCLE_1)
	s_or_b32 exec_lo, exec_lo, s3
	v_add_co_u32 v3, vcc_lo, 0xffffffc1, v64
	v_add_co_ci_u32_e32 v4, vcc_lo, -1, v65, vcc_lo
	s_mov_b32 s22, s16
	s_mov_b32 s23, s16
	;; [unrolled: 1-line block ×7, first 2 shown]
	v_dual_mov_b32 v9, s16 :: v_dual_mov_b32 v10, s17
	v_dual_mov_b32 v15, s22 :: v_dual_mov_b32 v16, s23
	;; [unrolled: 1-line block ×4, first 2 shown]
	v_cmp_gt_i64_e32 vcc_lo, s[4:5], v[3:4]
	s_delay_alu instid0(VALU_DEP_4) | instskip(NEXT) | instid1(VALU_DEP_3)
	v_dual_mov_b32 v24, v16 :: v_dual_mov_b32 v23, v15
	v_dual_mov_b32 v21, v13 :: v_dual_mov_b32 v22, v14
	;; [unrolled: 1-line block ×4, first 2 shown]
	s_and_b32 s17, s2, vcc_lo
	s_delay_alu instid0(SALU_CYCLE_1)
	s_and_saveexec_b32 s3, s17
	s_cbranch_execz .LBB78_10
; %bb.9:                                ;   in Loop: Header=BB78_3 Depth=1
	v_add_co_u32 v3, vcc_lo, v58, v25
	v_add_co_ci_u32_e32 v4, vcc_lo, v60, v26, vcc_lo
	v_add_co_u32 v5, vcc_lo, v61, v25
	v_add_co_ci_u32_e32 v6, vcc_lo, v62, v26, vcc_lo
	v_mov_b32_e32 v8, v2
	global_load_u16 v1, v[3:4], off
	global_load_u16 v9, v[5:6], off
	v_mov_b32_e32 v3, v2
	v_mov_b32_e32 v4, v2
	;; [unrolled: 1-line block ×6, first 2 shown]
	s_waitcnt vmcnt(1)
	v_cvt_f32_f16_e32 v1, v1
	v_dual_mov_b32 v11, v2 :: v_dual_mov_b32 v24, v8
	v_dual_mov_b32 v10, v2 :: v_dual_mov_b32 v23, v7
	s_waitcnt vmcnt(0)
	v_cvt_f32_f16_e32 v9, v9
	v_dual_mov_b32 v12, v2 :: v_dual_mov_b32 v21, v5
	v_dual_mov_b32 v13, v2 :: v_dual_mov_b32 v20, v4
	;; [unrolled: 1-line block ×4, first 2 shown]
	v_mov_b32_e32 v22, v6
	v_mov_b32_e32 v18, v2
.LBB78_10:                              ;   in Loop: Header=BB78_3 Depth=1
	s_or_b32 exec_lo, exec_lo, s3
	v_add_co_u32 v3, vcc_lo, 0xffffffc2, v64
	v_add_co_ci_u32_e32 v4, vcc_lo, -1, v65, vcc_lo
	s_delay_alu instid0(VALU_DEP_1) | instskip(SKIP_1) | instid1(SALU_CYCLE_1)
	v_cmp_gt_i64_e32 vcc_lo, s[4:5], v[3:4]
	s_and_b32 s17, s2, vcc_lo
	s_and_saveexec_b32 s3, s17
	s_cbranch_execz .LBB78_12
; %bb.11:                               ;   in Loop: Header=BB78_3 Depth=1
	v_add_co_u32 v3, vcc_lo, v54, v25
	v_add_co_ci_u32_e32 v4, vcc_lo, v55, v26, vcc_lo
	v_add_co_u32 v5, vcc_lo, v56, v25
	v_add_co_ci_u32_e32 v6, vcc_lo, v57, v26, vcc_lo
	global_load_u16 v1, v[3:4], off
	global_load_u16 v3, v[5:6], off
	s_waitcnt vmcnt(1)
	v_cvt_f32_f16_e32 v18, v1
	s_waitcnt vmcnt(0)
	v_cvt_f32_f16_e32 v10, v3
.LBB78_12:                              ;   in Loop: Header=BB78_3 Depth=1
	s_or_b32 exec_lo, exec_lo, s3
	v_add_co_u32 v3, vcc_lo, 0xffffffc3, v64
	v_add_co_ci_u32_e32 v4, vcc_lo, -1, v65, vcc_lo
	s_delay_alu instid0(VALU_DEP_1) | instskip(SKIP_1) | instid1(SALU_CYCLE_1)
	v_cmp_gt_i64_e32 vcc_lo, s[4:5], v[3:4]
	s_and_b32 s17, s2, vcc_lo
	s_and_saveexec_b32 s3, s17
	s_cbranch_execz .LBB78_14
; %bb.13:                               ;   in Loop: Header=BB78_3 Depth=1
	v_add_co_u32 v3, vcc_lo, v50, v25
	v_add_co_ci_u32_e32 v4, vcc_lo, v51, v26, vcc_lo
	v_add_co_u32 v5, vcc_lo, v52, v25
	v_add_co_ci_u32_e32 v6, vcc_lo, v53, v26, vcc_lo
	global_load_u16 v1, v[3:4], off
	global_load_u16 v3, v[5:6], off
	s_waitcnt vmcnt(1)
	v_cvt_f32_f16_e32 v19, v1
	s_waitcnt vmcnt(0)
	v_cvt_f32_f16_e32 v11, v3
.LBB78_14:                              ;   in Loop: Header=BB78_3 Depth=1
	s_or_b32 exec_lo, exec_lo, s3
	v_add_co_u32 v3, vcc_lo, 0xffffffc4, v64
	v_add_co_ci_u32_e32 v4, vcc_lo, -1, v65, vcc_lo
	s_delay_alu instid0(VALU_DEP_1) | instskip(SKIP_1) | instid1(SALU_CYCLE_1)
	v_cmp_gt_i64_e32 vcc_lo, s[4:5], v[3:4]
	s_and_b32 s17, s2, vcc_lo
	s_and_saveexec_b32 s3, s17
	s_cbranch_execz .LBB78_16
; %bb.15:                               ;   in Loop: Header=BB78_3 Depth=1
	v_add_co_u32 v3, vcc_lo, v46, v25
	v_add_co_ci_u32_e32 v4, vcc_lo, v47, v26, vcc_lo
	v_add_co_u32 v5, vcc_lo, v48, v25
	v_add_co_ci_u32_e32 v6, vcc_lo, v49, v26, vcc_lo
	global_load_u16 v1, v[3:4], off
	global_load_u16 v3, v[5:6], off
	s_waitcnt vmcnt(1)
	v_cvt_f32_f16_e32 v20, v1
	s_waitcnt vmcnt(0)
	v_cvt_f32_f16_e32 v12, v3
.LBB78_16:                              ;   in Loop: Header=BB78_3 Depth=1
	s_or_b32 exec_lo, exec_lo, s3
	v_add_co_u32 v3, vcc_lo, 0xffffffc5, v64
	v_add_co_ci_u32_e32 v4, vcc_lo, -1, v65, vcc_lo
	s_delay_alu instid0(VALU_DEP_1) | instskip(SKIP_1) | instid1(SALU_CYCLE_1)
	v_cmp_gt_i64_e32 vcc_lo, s[4:5], v[3:4]
	s_and_b32 s17, s2, vcc_lo
	s_and_saveexec_b32 s3, s17
	s_cbranch_execz .LBB78_18
; %bb.17:                               ;   in Loop: Header=BB78_3 Depth=1
	v_add_co_u32 v3, vcc_lo, v42, v25
	v_add_co_ci_u32_e32 v4, vcc_lo, v43, v26, vcc_lo
	v_add_co_u32 v5, vcc_lo, v44, v25
	v_add_co_ci_u32_e32 v6, vcc_lo, v45, v26, vcc_lo
	global_load_u16 v1, v[3:4], off
	global_load_u16 v3, v[5:6], off
	s_waitcnt vmcnt(1)
	v_cvt_f32_f16_e32 v21, v1
	s_waitcnt vmcnt(0)
	v_cvt_f32_f16_e32 v13, v3
.LBB78_18:                              ;   in Loop: Header=BB78_3 Depth=1
	s_or_b32 exec_lo, exec_lo, s3
	v_add_co_u32 v3, vcc_lo, 0xffffffc6, v64
	v_add_co_ci_u32_e32 v4, vcc_lo, -1, v65, vcc_lo
	s_delay_alu instid0(VALU_DEP_1) | instskip(SKIP_1) | instid1(SALU_CYCLE_1)
	v_cmp_gt_i64_e32 vcc_lo, s[4:5], v[3:4]
	s_and_b32 s17, s2, vcc_lo
	s_and_saveexec_b32 s3, s17
	s_cbranch_execz .LBB78_20
; %bb.19:                               ;   in Loop: Header=BB78_3 Depth=1
	v_add_co_u32 v3, vcc_lo, v38, v25
	v_add_co_ci_u32_e32 v4, vcc_lo, v39, v26, vcc_lo
	v_add_co_u32 v5, vcc_lo, v40, v25
	v_add_co_ci_u32_e32 v6, vcc_lo, v41, v26, vcc_lo
	global_load_u16 v1, v[3:4], off
	global_load_u16 v3, v[5:6], off
	s_waitcnt vmcnt(1)
	v_cvt_f32_f16_e32 v22, v1
	s_waitcnt vmcnt(0)
	v_cvt_f32_f16_e32 v14, v3
.LBB78_20:                              ;   in Loop: Header=BB78_3 Depth=1
	s_or_b32 exec_lo, exec_lo, s3
	v_add_co_u32 v3, vcc_lo, 0xffffffc7, v64
	v_add_co_ci_u32_e32 v4, vcc_lo, -1, v65, vcc_lo
	s_delay_alu instid0(VALU_DEP_1) | instskip(SKIP_1) | instid1(SALU_CYCLE_1)
	v_cmp_gt_i64_e32 vcc_lo, s[4:5], v[3:4]
	s_and_b32 s17, s2, vcc_lo
	s_and_saveexec_b32 s3, s17
	s_cbranch_execz .LBB78_22
; %bb.21:                               ;   in Loop: Header=BB78_3 Depth=1
	v_add_co_u32 v3, vcc_lo, v34, v25
	v_add_co_ci_u32_e32 v4, vcc_lo, v35, v26, vcc_lo
	v_add_co_u32 v5, vcc_lo, v36, v25
	v_add_co_ci_u32_e32 v6, vcc_lo, v37, v26, vcc_lo
	global_load_u16 v1, v[3:4], off
	global_load_u16 v3, v[5:6], off
	s_waitcnt vmcnt(1)
	v_cvt_f32_f16_e32 v23, v1
	s_waitcnt vmcnt(0)
	v_cvt_f32_f16_e32 v15, v3
.LBB78_22:                              ;   in Loop: Header=BB78_3 Depth=1
	s_or_b32 exec_lo, exec_lo, s3
	v_add_co_u32 v3, vcc_lo, 0xffffffc8, v64
	v_add_co_ci_u32_e32 v4, vcc_lo, -1, v65, vcc_lo
	s_delay_alu instid0(VALU_DEP_1) | instskip(SKIP_1) | instid1(SALU_CYCLE_1)
	v_cmp_gt_i64_e32 vcc_lo, s[4:5], v[3:4]
	s_and_b32 s17, s2, vcc_lo
	s_and_saveexec_b32 s3, s17
	s_cbranch_execz .LBB78_24
; %bb.23:                               ;   in Loop: Header=BB78_3 Depth=1
	v_add_co_u32 v3, vcc_lo, v30, v25
	v_add_co_ci_u32_e32 v4, vcc_lo, v31, v26, vcc_lo
	v_add_co_u32 v5, vcc_lo, v32, v25
	v_add_co_ci_u32_e32 v6, vcc_lo, v33, v26, vcc_lo
	global_load_u16 v1, v[3:4], off
	global_load_u16 v3, v[5:6], off
	s_waitcnt vmcnt(1)
	v_cvt_f32_f16_e32 v24, v1
	s_waitcnt vmcnt(0)
	v_cvt_f32_f16_e32 v16, v3
.LBB78_24:                              ;   in Loop: Header=BB78_3 Depth=1
	s_or_b32 exec_lo, exec_lo, s3
	s_waitcnt vmcnt(1)
	ds_bpermute_b32 v1, v2, v66
	ds_bpermute_b32 v3, v2, v66 offset:4
	ds_bpermute_b32 v4, v2, v66 offset:8
	;; [unrolled: 1-line block ×3, first 2 shown]
	s_waitcnt vmcnt(0)
	ds_bpermute_b32 v5, v2, v67
	ds_bpermute_b32 v7, v2, v67 offset:4
	ds_bpermute_b32 v8, v2, v66 offset:16
	;; [unrolled: 1-line block ×5, first 2 shown]
	s_waitcnt lgkmcnt(9)
	v_sub_f32_e32 v1, v9, v1
	v_add_f32_e32 v9, v59, v17
	s_waitcnt lgkmcnt(7)
	v_sub_f32_e32 v4, v11, v4
	s_waitcnt lgkmcnt(6)
	v_dual_sub_f32 v6, v12, v6 :: v_dual_sub_f32 v3, v10, v3
	v_mul_f32_e32 v1, v17, v1
	ds_bpermute_b32 v10, v2, v67 offset:16
	ds_bpermute_b32 v17, v2, v66 offset:24
	v_mul_f32_e32 v6, v20, v6
	v_dual_mul_f32 v4, v19, v4 :: v_dual_mul_f32 v3, v18, v3
	s_waitcnt lgkmcnt(5)
	v_sub_f32_e32 v8, v13, v8
	v_fma_f32 v1, v1, v5, v63
	ds_bpermute_b32 v5, v2, v67 offset:20
	ds_bpermute_b32 v11, v2, v67 offset:24
	v_dual_mul_f32 v8, v21, v8 :: v_dual_fmac_f32 v1, v3, v7
	v_add_f32_e32 v7, v18, v9
	ds_bpermute_b32 v3, v2, v67 offset:28
	s_waitcnt lgkmcnt(7)
	v_fmac_f32_e32 v1, v4, v68
	v_add_f32_e32 v7, v19, v7
	ds_bpermute_b32 v4, v2, v66 offset:28
	s_waitcnt lgkmcnt(6)
	v_sub_f32_e32 v9, v14, v70
	v_dual_fmac_f32 v1, v6, v69 :: v_dual_add_f32 v6, v20, v7
	s_waitcnt lgkmcnt(4)
	v_sub_f32_e32 v7, v15, v17
	s_delay_alu instid0(VALU_DEP_3) | instskip(NEXT) | instid1(VALU_DEP_3)
	v_mul_f32_e32 v9, v22, v9
	v_fmac_f32_e32 v1, v8, v10
	s_delay_alu instid0(VALU_DEP_3) | instskip(SKIP_1) | instid1(VALU_DEP_2)
	v_dual_add_f32 v6, v21, v6 :: v_dual_mul_f32 v7, v23, v7
	s_waitcnt lgkmcnt(3)
	v_fmac_f32_e32 v1, v9, v5
	s_delay_alu instid0(VALU_DEP_2) | instskip(SKIP_1) | instid1(VALU_DEP_2)
	v_add_f32_e32 v5, v22, v6
	s_waitcnt lgkmcnt(2)
	v_fmac_f32_e32 v1, v7, v11
	s_delay_alu instid0(VALU_DEP_2)
	v_add_f32_e32 v5, v23, v5
	s_branch .LBB78_40
.LBB78_25:                              ;   in Loop: Header=BB78_3 Depth=1
                                        ; implicit-def: $vgpr3
                                        ; implicit-def: $vgpr9_vgpr10_vgpr11_vgpr12_vgpr13_vgpr14_vgpr15_vgpr16
                                        ; implicit-def: $vgpr17_vgpr18_vgpr19_vgpr20_vgpr21_vgpr22_vgpr23_vgpr24
                                        ; implicit-def: $vgpr4
                                        ; implicit-def: $vgpr1
                                        ; implicit-def: $vgpr5
	s_cbranch_execz .LBB78_40
; %bb.26:                               ;   in Loop: Header=BB78_3 Depth=1
	s_load_b32 s3, s[30:31], 0x0
	v_dual_mov_b32 v67, 0 :: v_dual_mov_b32 v66, 0
	s_waitcnt lgkmcnt(0)
	s_cmp_lt_u32 s14, s3
	s_cselect_b32 s3, 12, 18
	s_delay_alu instid0(SALU_CYCLE_1)
	s_add_u32 s18, s30, s3
	s_addc_u32 s19, s31, 0
	s_mov_b32 s3, exec_lo
	global_load_u16 v1, v2, s[18:19]
	s_waitcnt vmcnt(0)
	v_mad_u32_u24 v1, v27, v1, v29
	s_delay_alu instid0(VALU_DEP_1) | instskip(NEXT) | instid1(VALU_DEP_1)
	v_and_b32_e32 v1, 31, v1
	v_cmpx_gt_u32_e32 8, v1
	s_cbranch_execz .LBB78_30
; %bb.27:                               ;   in Loop: Header=BB78_3 Depth=1
	v_add_co_u32 v1, vcc_lo, v64, v1
	v_add_co_ci_u32_e32 v4, vcc_lo, 0, v65, vcc_lo
	v_dual_mov_b32 v66, 0 :: v_dual_mov_b32 v67, 0
	s_delay_alu instid0(VALU_DEP_3) | instskip(NEXT) | instid1(VALU_DEP_3)
	v_add_co_u32 v3, vcc_lo, 0xffffffc1, v1
	v_add_co_ci_u32_e32 v4, vcc_lo, -1, v4, vcc_lo
	s_mov_b32 s17, exec_lo
	s_delay_alu instid0(VALU_DEP_1)
	v_cmpx_gt_i64_e64 s[4:5], v[3:4]
	s_cbranch_execz .LBB78_29
; %bb.28:                               ;   in Loop: Header=BB78_3 Depth=1
	v_lshlrev_b64 v[3:4], 2, v[3:4]
	s_delay_alu instid0(VALU_DEP_1) | instskip(NEXT) | instid1(VALU_DEP_2)
	v_add_co_u32 v5, vcc_lo, s24, v3
	v_add_co_ci_u32_e32 v6, vcc_lo, s25, v4, vcc_lo
	v_add_co_u32 v3, vcc_lo, s26, v3
	v_add_co_ci_u32_e32 v4, vcc_lo, s27, v4, vcc_lo
	global_load_b32 v66, v[5:6], off
	global_load_b32 v67, v[3:4], off
.LBB78_29:                              ;   in Loop: Header=BB78_3 Depth=1
	s_or_b32 exec_lo, exec_lo, s17
.LBB78_30:                              ;   in Loop: Header=BB78_3 Depth=1
	s_delay_alu instid0(SALU_CYCLE_1)
	s_or_b32 exec_lo, exec_lo, s3
	s_mov_b32 s22, s16
	s_mov_b32 s23, s16
	;; [unrolled: 1-line block ×7, first 2 shown]
	v_dual_mov_b32 v9, s16 :: v_dual_mov_b32 v10, s17
	v_dual_mov_b32 v15, s22 :: v_dual_mov_b32 v16, s23
	;; [unrolled: 1-line block ×4, first 2 shown]
	s_delay_alu instid0(VALU_DEP_3) | instskip(NEXT) | instid1(VALU_DEP_3)
	v_dual_mov_b32 v24, v16 :: v_dual_mov_b32 v23, v15
	v_dual_mov_b32 v20, v12 :: v_dual_mov_b32 v19, v11
	s_delay_alu instid0(VALU_DEP_3)
	v_dual_mov_b32 v22, v14 :: v_dual_mov_b32 v21, v13
	v_dual_mov_b32 v18, v10 :: v_dual_mov_b32 v17, v9
	s_and_saveexec_b32 s3, s2
	s_cbranch_execnz .LBB78_42
; %bb.31:                               ;   in Loop: Header=BB78_3 Depth=1
	s_or_b32 exec_lo, exec_lo, s3
	s_and_saveexec_b32 s3, s2
	s_cbranch_execnz .LBB78_43
.LBB78_32:                              ;   in Loop: Header=BB78_3 Depth=1
	s_or_b32 exec_lo, exec_lo, s3
	s_and_saveexec_b32 s3, s2
	s_cbranch_execnz .LBB78_44
.LBB78_33:                              ;   in Loop: Header=BB78_3 Depth=1
	s_or_b32 exec_lo, exec_lo, s3
	s_and_saveexec_b32 s3, s2
	s_cbranch_execnz .LBB78_45
.LBB78_34:                              ;   in Loop: Header=BB78_3 Depth=1
	s_or_b32 exec_lo, exec_lo, s3
	s_and_saveexec_b32 s3, s2
	s_cbranch_execnz .LBB78_46
.LBB78_35:                              ;   in Loop: Header=BB78_3 Depth=1
	s_or_b32 exec_lo, exec_lo, s3
	s_and_saveexec_b32 s3, s2
	s_cbranch_execnz .LBB78_47
.LBB78_36:                              ;   in Loop: Header=BB78_3 Depth=1
	s_or_b32 exec_lo, exec_lo, s3
	s_and_saveexec_b32 s3, s2
	s_cbranch_execnz .LBB78_48
.LBB78_37:                              ;   in Loop: Header=BB78_3 Depth=1
	s_or_b32 exec_lo, exec_lo, s3
	s_and_saveexec_b32 s3, s2
	s_cbranch_execz .LBB78_39
.LBB78_38:                              ;   in Loop: Header=BB78_3 Depth=1
	v_add_co_u32 v3, vcc_lo, v30, v25
	v_add_co_ci_u32_e32 v4, vcc_lo, v31, v26, vcc_lo
	v_add_co_u32 v5, vcc_lo, v32, v25
	v_add_co_ci_u32_e32 v6, vcc_lo, v33, v26, vcc_lo
	global_load_u16 v1, v[3:4], off
	global_load_u16 v3, v[5:6], off
	s_waitcnt vmcnt(1)
	v_cvt_f32_f16_e32 v24, v1
	s_waitcnt vmcnt(0)
	v_cvt_f32_f16_e32 v16, v3
.LBB78_39:                              ;   in Loop: Header=BB78_3 Depth=1
	s_or_b32 exec_lo, exec_lo, s3
	s_waitcnt vmcnt(1)
	ds_bpermute_b32 v1, v2, v66
	ds_bpermute_b32 v3, v2, v66 offset:4
	ds_bpermute_b32 v4, v2, v66 offset:8
	s_waitcnt vmcnt(0)
	ds_bpermute_b32 v5, v2, v67
	ds_bpermute_b32 v6, v2, v66 offset:12
	ds_bpermute_b32 v7, v2, v67 offset:4
	;; [unrolled: 1-line block ×5, first 2 shown]
	s_waitcnt lgkmcnt(8)
	v_sub_f32_e32 v1, v9, v1
	ds_bpermute_b32 v9, v2, v67 offset:12
	s_waitcnt lgkmcnt(7)
	v_dual_sub_f32 v4, v11, v4 :: v_dual_sub_f32 v3, v10, v3
	v_add_f32_e32 v10, v59, v17
	s_waitcnt lgkmcnt(5)
	v_dual_mul_f32 v1, v17, v1 :: v_dual_sub_f32 v6, v12, v6
	ds_bpermute_b32 v17, v2, v67 offset:16
	v_dual_mul_f32 v3, v18, v3 :: v_dual_mul_f32 v4, v19, v4
	v_dual_fmac_f32 v63, v1, v5 :: v_dual_mul_f32 v6, v20, v6
	ds_bpermute_b32 v1, v2, v66 offset:24
	ds_bpermute_b32 v5, v2, v67 offset:20
	s_waitcnt lgkmcnt(4)
	v_sub_f32_e32 v11, v14, v65
	v_fmac_f32_e32 v63, v3, v7
	v_add_f32_e32 v3, v18, v10
	v_sub_f32_e32 v7, v13, v8
	ds_bpermute_b32 v8, v2, v67 offset:24
	v_dual_fmac_f32 v63, v4, v64 :: v_dual_add_f32 v10, v19, v3
	v_mul_f32_e32 v7, v21, v7
	ds_bpermute_b32 v3, v2, v67 offset:28
	ds_bpermute_b32 v4, v2, v66 offset:28
	s_waitcnt lgkmcnt(6)
	v_dual_fmac_f32 v63, v6, v9 :: v_dual_add_f32 v6, v20, v10
	v_mul_f32_e32 v9, v22, v11
	s_waitcnt lgkmcnt(5)
	s_delay_alu instid0(VALU_DEP_2) | instskip(SKIP_3) | instid1(VALU_DEP_2)
	v_dual_fmac_f32 v63, v7, v17 :: v_dual_add_f32 v6, v21, v6
	s_waitcnt lgkmcnt(4)
	v_sub_f32_e32 v1, v15, v1
	s_waitcnt lgkmcnt(3)
	v_fmac_f32_e32 v63, v9, v5
	v_add_f32_e32 v5, v22, v6
	s_delay_alu instid0(VALU_DEP_3) | instskip(NEXT) | instid1(VALU_DEP_2)
	v_mul_f32_e32 v1, v23, v1
	v_add_f32_e32 v5, v23, v5
	s_waitcnt lgkmcnt(2)
	s_delay_alu instid0(VALU_DEP_2) | instskip(NEXT) | instid1(VALU_DEP_1)
	v_fmac_f32_e32 v63, v1, v8
	v_mov_b32_e32 v1, v63
.LBB78_40:                              ;   in Loop: Header=BB78_3 Depth=1
	v_add_co_u32 v30, vcc_lo, v30, s34
	v_add_co_ci_u32_e32 v31, vcc_lo, s35, v31, vcc_lo
	v_add_co_u32 v32, vcc_lo, v32, s34
	v_add_co_ci_u32_e32 v33, vcc_lo, s35, v33, vcc_lo
	;; [unrolled: 2-line block ×12, first 2 shown]
	v_add_co_u32 v54, vcc_lo, v54, s34
	s_waitcnt lgkmcnt(0)
	v_sub_f32_e32 v4, v16, v4
	v_add_co_ci_u32_e32 v55, vcc_lo, s35, v55, vcc_lo
	v_add_co_u32 v56, vcc_lo, v56, s34
	s_add_u32 s38, s38, s28
	v_add_co_ci_u32_e32 v57, vcc_lo, s35, v57, vcc_lo
	v_mul_f32_e32 v4, v24, v4
	s_addc_u32 s39, s39, 0
	v_add_co_u32 v58, vcc_lo, v58, s34
	v_cmp_lt_i64_e64 s3, s[38:39], s[4:5]
	v_add_co_ci_u32_e32 v60, vcc_lo, s35, v60, vcc_lo
	v_add_co_u32 v61, vcc_lo, v61, s34
	v_add_f32_e32 v59, v5, v24
	v_fmac_f32_e32 v1, v4, v3
	v_add_co_ci_u32_e32 v62, vcc_lo, s35, v62, vcc_lo
	s_add_u32 s36, s36, s28
	s_addc_u32 s37, s37, 0
	s_and_b32 vcc_lo, exec_lo, s3
	s_cbranch_vccz .LBB78_50
; %bb.41:                               ;   in Loop: Header=BB78_3 Depth=1
	v_mov_b32_e32 v63, v1
	s_branch .LBB78_3
.LBB78_42:                              ;   in Loop: Header=BB78_3 Depth=1
	v_add_co_u32 v3, vcc_lo, v58, v25
	v_add_co_ci_u32_e32 v4, vcc_lo, v60, v26, vcc_lo
	v_add_co_u32 v5, vcc_lo, v61, v25
	v_add_co_ci_u32_e32 v6, vcc_lo, v62, v26, vcc_lo
	v_mov_b32_e32 v8, v2
	global_load_u16 v1, v[3:4], off
	global_load_u16 v9, v[5:6], off
	v_mov_b32_e32 v3, v2
	v_mov_b32_e32 v4, v2
	;; [unrolled: 1-line block ×6, first 2 shown]
	s_waitcnt vmcnt(1)
	v_cvt_f32_f16_e32 v1, v1
	v_dual_mov_b32 v11, v2 :: v_dual_mov_b32 v24, v8
	v_dual_mov_b32 v10, v2 :: v_dual_mov_b32 v23, v7
	s_waitcnt vmcnt(0)
	v_cvt_f32_f16_e32 v9, v9
	v_dual_mov_b32 v12, v2 :: v_dual_mov_b32 v21, v5
	v_dual_mov_b32 v13, v2 :: v_dual_mov_b32 v20, v4
	;; [unrolled: 1-line block ×4, first 2 shown]
	v_mov_b32_e32 v22, v6
	v_mov_b32_e32 v18, v2
	s_or_b32 exec_lo, exec_lo, s3
	s_and_saveexec_b32 s3, s2
	s_cbranch_execz .LBB78_32
.LBB78_43:                              ;   in Loop: Header=BB78_3 Depth=1
	v_add_co_u32 v3, vcc_lo, v54, v25
	v_add_co_ci_u32_e32 v4, vcc_lo, v55, v26, vcc_lo
	v_add_co_u32 v5, vcc_lo, v56, v25
	v_add_co_ci_u32_e32 v6, vcc_lo, v57, v26, vcc_lo
	global_load_u16 v1, v[3:4], off
	global_load_u16 v3, v[5:6], off
	s_waitcnt vmcnt(1)
	v_cvt_f32_f16_e32 v18, v1
	s_waitcnt vmcnt(0)
	v_cvt_f32_f16_e32 v10, v3
	s_or_b32 exec_lo, exec_lo, s3
	s_and_saveexec_b32 s3, s2
	s_cbranch_execz .LBB78_33
.LBB78_44:                              ;   in Loop: Header=BB78_3 Depth=1
	v_add_co_u32 v3, vcc_lo, v50, v25
	v_add_co_ci_u32_e32 v4, vcc_lo, v51, v26, vcc_lo
	v_add_co_u32 v5, vcc_lo, v52, v25
	v_add_co_ci_u32_e32 v6, vcc_lo, v53, v26, vcc_lo
	global_load_u16 v1, v[3:4], off
	global_load_u16 v3, v[5:6], off
	s_waitcnt vmcnt(1)
	v_cvt_f32_f16_e32 v19, v1
	s_waitcnt vmcnt(0)
	v_cvt_f32_f16_e32 v11, v3
	s_or_b32 exec_lo, exec_lo, s3
	s_and_saveexec_b32 s3, s2
	s_cbranch_execz .LBB78_34
.LBB78_45:                              ;   in Loop: Header=BB78_3 Depth=1
	v_add_co_u32 v3, vcc_lo, v46, v25
	v_add_co_ci_u32_e32 v4, vcc_lo, v47, v26, vcc_lo
	v_add_co_u32 v5, vcc_lo, v48, v25
	v_add_co_ci_u32_e32 v6, vcc_lo, v49, v26, vcc_lo
	global_load_u16 v1, v[3:4], off
	global_load_u16 v3, v[5:6], off
	s_waitcnt vmcnt(1)
	v_cvt_f32_f16_e32 v20, v1
	s_waitcnt vmcnt(0)
	v_cvt_f32_f16_e32 v12, v3
	s_or_b32 exec_lo, exec_lo, s3
	s_and_saveexec_b32 s3, s2
	s_cbranch_execz .LBB78_35
.LBB78_46:                              ;   in Loop: Header=BB78_3 Depth=1
	v_add_co_u32 v3, vcc_lo, v42, v25
	v_add_co_ci_u32_e32 v4, vcc_lo, v43, v26, vcc_lo
	v_add_co_u32 v5, vcc_lo, v44, v25
	v_add_co_ci_u32_e32 v6, vcc_lo, v45, v26, vcc_lo
	global_load_u16 v1, v[3:4], off
	global_load_u16 v3, v[5:6], off
	s_waitcnt vmcnt(1)
	v_cvt_f32_f16_e32 v21, v1
	s_waitcnt vmcnt(0)
	v_cvt_f32_f16_e32 v13, v3
	s_or_b32 exec_lo, exec_lo, s3
	s_and_saveexec_b32 s3, s2
	s_cbranch_execz .LBB78_36
.LBB78_47:                              ;   in Loop: Header=BB78_3 Depth=1
	v_add_co_u32 v3, vcc_lo, v38, v25
	v_add_co_ci_u32_e32 v4, vcc_lo, v39, v26, vcc_lo
	v_add_co_u32 v5, vcc_lo, v40, v25
	v_add_co_ci_u32_e32 v6, vcc_lo, v41, v26, vcc_lo
	global_load_u16 v1, v[3:4], off
	global_load_u16 v3, v[5:6], off
	s_waitcnt vmcnt(1)
	v_cvt_f32_f16_e32 v22, v1
	s_waitcnt vmcnt(0)
	v_cvt_f32_f16_e32 v14, v3
	s_or_b32 exec_lo, exec_lo, s3
	s_and_saveexec_b32 s3, s2
	s_cbranch_execz .LBB78_37
.LBB78_48:                              ;   in Loop: Header=BB78_3 Depth=1
	v_add_co_u32 v3, vcc_lo, v34, v25
	v_add_co_ci_u32_e32 v4, vcc_lo, v35, v26, vcc_lo
	v_add_co_u32 v5, vcc_lo, v36, v25
	v_add_co_ci_u32_e32 v6, vcc_lo, v37, v26, vcc_lo
	global_load_u16 v1, v[3:4], off
	global_load_u16 v3, v[5:6], off
	s_waitcnt vmcnt(1)
	v_cvt_f32_f16_e32 v23, v1
	s_waitcnt vmcnt(0)
	v_cvt_f32_f16_e32 v15, v3
	s_or_b32 exec_lo, exec_lo, s3
	s_and_saveexec_b32 s3, s2
	s_cbranch_execnz .LBB78_38
	s_branch .LBB78_39
.LBB78_49:
	s_mov_b32 s29, -1
                                        ; implicit-def: $vgpr1
                                        ; implicit-def: $vgpr59
.LBB78_50:
	s_delay_alu instid0(SALU_CYCLE_1)
	s_and_not1_b32 vcc_lo, exec_lo, s29
	s_cbranch_vccnz .LBB78_83
; %bb.51:
	v_mov_b32_e32 v1, 0
	v_mov_b32_e32 v59, 0
	s_and_not1_b32 vcc_lo, exec_lo, s15
	s_mov_b32 s16, 0
	s_cbranch_vccnz .LBB78_83
; %bb.52:
	s_load_b32 s2, s[0:1], 0x44
	v_dual_mov_b32 v2, 0 :: v_dual_and_b32 v55, 0x3ff, v0
	v_bfe_u32 v56, v0, 10, 10
	s_add_u32 s28, s0, 64
	s_addc_u32 s29, s1, 0
	s_delay_alu instid0(VALU_DEP_2) | instskip(NEXT) | instid1(VALU_DEP_2)
	v_dual_mov_b32 v92, 0 :: v_dual_add_nc_u32 v1, s33, v55
	v_lshlrev_b32_e32 v3, 4, v56
	v_lshlrev_b32_e32 v57, 3, v56
	v_mov_b32_e32 v91, 0
	s_delay_alu instid0(VALU_DEP_4)
	v_lshlrev_b64 v[25:26], 1, v[1:2]
	s_waitcnt lgkmcnt(0)
	s_lshl_b32 s15, s2, 6
	s_add_u32 s30, s12, 63
	s_addc_u32 s31, 0, 0
	s_lshl_b64 s[2:3], s[12:13], 1
	s_mul_i32 s17, s7, s15
	v_add_co_u32 v1, s2, v3, s2
	s_delay_alu instid0(VALU_DEP_1) | instskip(SKIP_1) | instid1(VALU_DEP_3)
	v_add_co_ci_u32_e64 v3, null, 0, s3, s2
	v_add_co_u32 v59, s3, v57, s12
	v_add_co_u32 v7, vcc_lo, v1, 2
	s_delay_alu instid0(VALU_DEP_3) | instskip(SKIP_3) | instid1(VALU_DEP_4)
	v_add_co_ci_u32_e32 v4, vcc_lo, 0, v3, vcc_lo
	v_add_co_u32 v8, vcc_lo, v1, 4
	v_add_co_ci_u32_e32 v5, vcc_lo, 0, v3, vcc_lo
	v_add_co_u32 v11, vcc_lo, v1, 6
	v_mul_lo_u32 v9, s6, v4
	v_add_co_ci_u32_e32 v4, vcc_lo, 0, v3, vcc_lo
	v_add_co_u32 v14, vcc_lo, v1, 8
	v_mul_lo_u32 v12, s6, v5
	;; [unrolled: 3-line block ×4, first 2 shown]
	v_add_co_ci_u32_e32 v5, vcc_lo, 0, v3, vcc_lo
	v_add_co_ci_u32_e64 v75, null, 0, 0, s3
	v_add_co_u32 v1, vcc_lo, v1, 14
	v_mul_lo_u32 v21, s6, v4
	s_delay_alu instid0(VALU_DEP_4) | instskip(SKIP_4) | instid1(VALU_DEP_4)
	v_mul_lo_u32 v23, s6, v5
	v_add_co_ci_u32_e32 v5, vcc_lo, 0, v3, vcc_lo
	v_mul_lo_u32 v6, s7, v59
	v_mul_lo_u32 v41, s6, v75
	v_mad_u64_u32 v[3:4], null, s6, v59, 0
	v_mul_lo_u32 v61, s6, v5
	v_mad_u64_u32 v[27:28], null, s6, v7, s[8:9]
	;; [unrolled: 2-line block ×3, first 2 shown]
	v_add3_u32 v4, v4, v41, v6
	v_mad_u64_u32 v[41:42], null, s6, v7, s[10:11]
	v_mul_lo_u32 v13, s7, v8
	v_mad_u64_u32 v[43:44], null, s6, v8, s[10:11]
	s_delay_alu instid0(VALU_DEP_4)
	v_lshlrev_b64 v[5:6], 1, v[3:4]
	v_add3_u32 v28, v10, v28, v9
	v_mad_u64_u32 v[31:32], null, s6, v11, s[8:9]
	v_add3_u32 v42, v10, v42, v9
	v_add3_u32 v30, v13, v30, v12
	v_add_co_u32 v58, vcc_lo, s8, v5
	v_add_co_ci_u32_e32 v60, vcc_lo, s9, v6, vcc_lo
	v_add_co_u32 v9, vcc_lo, v59, 7
	v_add_co_ci_u32_e32 v7, vcc_lo, 0, v75, vcc_lo
	v_add3_u32 v44, v13, v44, v12
	v_add_co_u32 v12, vcc_lo, v59, 6
	v_mul_lo_u32 v16, s7, v11
	v_mad_u64_u32 v[39:40], null, s6, v1, s[8:9]
	v_mul_lo_u32 v62, s7, v1
	v_mad_u64_u32 v[45:46], null, s6, v11, s[10:11]
	v_mad_u64_u32 v[53:54], null, s6, v1, s[10:11]
	v_mul_lo_u32 v1, s7, v9
	v_mul_lo_u32 v11, s6, v7
	v_mad_u64_u32 v[7:8], null, s6, v9, 0
	v_add_co_ci_u32_e32 v10, vcc_lo, 0, v75, vcc_lo
	v_mad_u64_u32 v[33:34], null, s6, v14, s[8:9]
	v_mul_lo_u32 v19, s7, v14
	v_mad_u64_u32 v[47:48], null, s6, v14, s[10:11]
	v_mul_lo_u32 v13, s7, v12
	v_mul_lo_u32 v14, s6, v10
	v_mad_u64_u32 v[9:10], null, s6, v12, 0
	v_add3_u32 v8, v8, v11, v1
	v_add3_u32 v40, v62, v40, v61
	;; [unrolled: 1-line block ×3, first 2 shown]
	v_add_co_u32 v61, vcc_lo, s10, v5
	v_add_co_ci_u32_e32 v62, vcc_lo, s11, v6, vcc_lo
	v_lshlrev_b64 v[5:6], 1, v[7:8]
	v_add3_u32 v10, v10, v14, v13
	v_add_co_u32 v1, vcc_lo, v59, 5
	v_add_co_ci_u32_e32 v11, vcc_lo, 0, v75, vcc_lo
	s_delay_alu instid0(VALU_DEP_4) | instskip(NEXT) | instid1(VALU_DEP_4)
	v_add_co_u32 v63, vcc_lo, s8, v5
	v_lshlrev_b64 v[7:8], 1, v[9:10]
	v_add_co_ci_u32_e32 v64, vcc_lo, s9, v6, vcc_lo
	v_mul_lo_u32 v12, s7, v1
	v_mul_lo_u32 v11, s6, v11
	v_mad_u64_u32 v[9:10], null, s6, v1, 0
	v_add_co_u32 v65, vcc_lo, s10, v5
	v_add_co_ci_u32_e32 v66, vcc_lo, s11, v6, vcc_lo
	v_add_co_u32 v67, vcc_lo, s8, v7
	v_add_co_ci_u32_e32 v68, vcc_lo, s9, v8, vcc_lo
	s_mul_hi_u32 s2, s6, s15
	v_add_co_u32 v1, vcc_lo, v59, 4
	v_add3_u32 v10, v10, v11, v12
	s_add_i32 s3, s2, s17
	v_add_co_u32 v69, s2, s10, v7
	v_add_co_ci_u32_e32 v7, vcc_lo, 0, v75, vcc_lo
	v_add_co_u32 v12, vcc_lo, v59, 3
	v_lshlrev_b64 v[5:6], 1, v[9:10]
	v_add_co_ci_u32_e32 v9, vcc_lo, 0, v75, vcc_lo
	v_add_co_ci_u32_e64 v70, s2, s11, v8, s2
	v_mul_lo_u32 v11, s7, v1
	v_mul_lo_u32 v13, s6, v7
	v_mad_u64_u32 v[7:8], null, s6, v1, 0
	v_mul_lo_u32 v1, s7, v12
	v_mul_lo_u32 v14, s6, v9
	v_mad_u64_u32 v[9:10], null, s6, v12, 0
	v_add_co_u32 v71, vcc_lo, s8, v5
	v_add_co_ci_u32_e32 v72, vcc_lo, s9, v6, vcc_lo
	v_add3_u32 v8, v8, v13, v11
	v_add_co_u32 v73, vcc_lo, s10, v5
	v_add_co_ci_u32_e32 v74, vcc_lo, s11, v6, vcc_lo
	v_add3_u32 v10, v10, v14, v1
	v_add_co_u32 v1, vcc_lo, v59, 2
	v_lshlrev_b64 v[5:6], 1, v[7:8]
	v_add_co_ci_u32_e32 v11, vcc_lo, 0, v75, vcc_lo
	s_delay_alu instid0(VALU_DEP_4) | instskip(NEXT) | instid1(VALU_DEP_4)
	v_lshlrev_b64 v[7:8], 1, v[9:10]
	v_mul_lo_u32 v12, s7, v1
	v_mad_u64_u32 v[9:10], null, s6, v1, 0
	v_add_co_u32 v75, vcc_lo, s8, v5
	v_mul_lo_u32 v11, s6, v11
	v_add_co_ci_u32_e32 v76, vcc_lo, s9, v6, vcc_lo
	v_add_co_u32 v77, vcc_lo, s10, v5
	v_add_co_ci_u32_e32 v78, vcc_lo, s11, v6, vcc_lo
	v_add_co_u32 v79, vcc_lo, s8, v7
	v_add_co_ci_u32_e32 v80, vcc_lo, s9, v8, vcc_lo
	v_add3_u32 v10, v10, v11, v12
	v_add_co_u32 v81, vcc_lo, s10, v7
	v_add_co_ci_u32_e32 v82, vcc_lo, s11, v8, vcc_lo
	v_add_co_u32 v3, vcc_lo, v3, s6
	s_delay_alu instid0(VALU_DEP_4) | instskip(SKIP_3) | instid1(VALU_DEP_4)
	v_lshlrev_b64 v[5:6], 1, v[9:10]
	v_add_co_ci_u32_e32 v4, vcc_lo, s7, v4, vcc_lo
	v_mad_u64_u32 v[35:36], null, s6, v18, s[8:9]
	v_mul_lo_u32 v22, s7, v18
	v_add_co_u32 v83, vcc_lo, s8, v5
	s_delay_alu instid0(VALU_DEP_4)
	v_lshlrev_b64 v[3:4], 1, v[3:4]
	v_add_co_ci_u32_e32 v84, vcc_lo, s9, v6, vcc_lo
	v_mad_u64_u32 v[37:38], null, s6, v20, s[8:9]
	v_mul_lo_u32 v24, s7, v20
	v_mad_u64_u32 v[49:50], null, s6, v18, s[10:11]
	v_mad_u64_u32 v[51:52], null, s6, v20, s[10:11]
	v_add_co_u32 v85, vcc_lo, s10, v5
	v_add_co_ci_u32_e32 v86, vcc_lo, s11, v6, vcc_lo
	v_add_co_u32 v87, vcc_lo, s8, v3
	v_add_co_ci_u32_e32 v88, vcc_lo, s9, v4, vcc_lo
	v_add_co_u32 v89, vcc_lo, s10, v3
	v_add3_u32 v32, v16, v32, v15
	v_add3_u32 v34, v19, v34, v17
	;; [unrolled: 1-line block ×8, first 2 shown]
	v_add_co_ci_u32_e32 v90, vcc_lo, s11, v4, vcc_lo
	s_mul_i32 s2, s6, s15
	s_delay_alu instid0(SALU_CYCLE_1)
	s_lshl_b64 s[2:3], s[2:3], 1
.LBB78_53:                              ; =>This Inner Loop Header: Depth=1
	v_cmp_ge_i64_e64 s8, s[30:31], s[4:5]
	v_add_co_u32 v93, s9, v57, s30
	s_delay_alu instid0(VALU_DEP_1) | instskip(NEXT) | instid1(VALU_DEP_3)
	v_add_co_ci_u32_e64 v94, null, 0, s31, s9
	s_and_b32 vcc_lo, exec_lo, s8
	s_cbranch_vccz .LBB78_75
; %bb.54:                               ;   in Loop: Header=BB78_53 Depth=1
	s_load_b32 s8, s[28:29], 0xc
	v_mov_b32_e32 v95, 0
	v_mov_b32_e32 v59, 0
	s_waitcnt lgkmcnt(0)
	s_and_b32 s8, s8, 0xffff
	s_delay_alu instid0(SALU_CYCLE_1) | instskip(SKIP_1) | instid1(VALU_DEP_1)
	v_mad_u32_u24 v1, v56, s8, v55
	s_mov_b32 s8, exec_lo
	v_and_b32_e32 v1, 31, v1
	s_delay_alu instid0(VALU_DEP_1)
	v_cmpx_gt_u32_e32 8, v1
	s_cbranch_execz .LBB78_58
; %bb.55:                               ;   in Loop: Header=BB78_53 Depth=1
	v_add_co_u32 v1, vcc_lo, v93, v1
	v_add_co_ci_u32_e32 v4, vcc_lo, 0, v94, vcc_lo
	v_mov_b32_e32 v59, 0
	s_delay_alu instid0(VALU_DEP_3) | instskip(NEXT) | instid1(VALU_DEP_3)
	v_add_co_u32 v3, vcc_lo, 0xffffffc1, v1
	v_add_co_ci_u32_e32 v4, vcc_lo, -1, v4, vcc_lo
	v_mov_b32_e32 v95, 0
	s_mov_b32 s9, exec_lo
	s_delay_alu instid0(VALU_DEP_2)
	v_cmpx_gt_i64_e64 s[4:5], v[3:4]
	s_cbranch_execz .LBB78_57
; %bb.56:                               ;   in Loop: Header=BB78_53 Depth=1
	v_lshlrev_b64 v[3:4], 2, v[3:4]
	s_delay_alu instid0(VALU_DEP_1) | instskip(NEXT) | instid1(VALU_DEP_2)
	v_add_co_u32 v5, vcc_lo, s24, v3
	v_add_co_ci_u32_e32 v6, vcc_lo, s25, v4, vcc_lo
	v_add_co_u32 v3, vcc_lo, s26, v3
	v_add_co_ci_u32_e32 v4, vcc_lo, s27, v4, vcc_lo
	global_load_b32 v59, v[5:6], off
	global_load_b32 v95, v[3:4], off
.LBB78_57:                              ;   in Loop: Header=BB78_53 Depth=1
	s_or_b32 exec_lo, exec_lo, s9
.LBB78_58:                              ;   in Loop: Header=BB78_53 Depth=1
	s_delay_alu instid0(SALU_CYCLE_1)
	s_or_b32 exec_lo, exec_lo, s8
	s_mov_b32 s22, s16
	s_mov_b32 s23, s16
	;; [unrolled: 1-line block ×7, first 2 shown]
	v_dual_mov_b32 v9, s16 :: v_dual_mov_b32 v10, s17
	v_dual_mov_b32 v15, s22 :: v_dual_mov_b32 v16, s23
	;; [unrolled: 1-line block ×4, first 2 shown]
	v_add_co_u32 v3, vcc_lo, 0xffffffc1, v93
	s_delay_alu instid0(VALU_DEP_4) | instskip(SKIP_1) | instid1(VALU_DEP_4)
	v_dual_mov_b32 v24, v16 :: v_dual_mov_b32 v23, v15
	v_add_co_ci_u32_e32 v4, vcc_lo, -1, v94, vcc_lo
	v_dual_mov_b32 v22, v14 :: v_dual_mov_b32 v21, v13
	v_dual_mov_b32 v20, v12 :: v_dual_mov_b32 v19, v11
	;; [unrolled: 1-line block ×3, first 2 shown]
	s_mov_b32 s8, exec_lo
	v_cmpx_gt_i64_e64 s[4:5], v[3:4]
	s_cbranch_execz .LBB78_60
; %bb.59:                               ;   in Loop: Header=BB78_53 Depth=1
	v_add_co_u32 v3, vcc_lo, v58, v25
	v_add_co_ci_u32_e32 v4, vcc_lo, v60, v26, vcc_lo
	v_add_co_u32 v5, vcc_lo, v61, v25
	v_add_co_ci_u32_e32 v6, vcc_lo, v62, v26, vcc_lo
	v_mov_b32_e32 v8, v2
	global_load_u16 v1, v[3:4], off
	global_load_u16 v9, v[5:6], off
	v_mov_b32_e32 v3, v2
	v_mov_b32_e32 v4, v2
	;; [unrolled: 1-line block ×6, first 2 shown]
	s_waitcnt vmcnt(1)
	v_cvt_f32_f16_e32 v1, v1
	v_dual_mov_b32 v11, v2 :: v_dual_mov_b32 v24, v8
	v_dual_mov_b32 v10, v2 :: v_dual_mov_b32 v23, v7
	s_waitcnt vmcnt(0)
	v_cvt_f32_f16_e32 v9, v9
	v_dual_mov_b32 v12, v2 :: v_dual_mov_b32 v21, v5
	v_dual_mov_b32 v13, v2 :: v_dual_mov_b32 v20, v4
	;; [unrolled: 1-line block ×4, first 2 shown]
	v_mov_b32_e32 v22, v6
	v_mov_b32_e32 v18, v2
.LBB78_60:                              ;   in Loop: Header=BB78_53 Depth=1
	s_or_b32 exec_lo, exec_lo, s8
	v_add_co_u32 v3, vcc_lo, 0xffffffc2, v93
	v_add_co_ci_u32_e32 v4, vcc_lo, -1, v94, vcc_lo
	s_mov_b32 s8, exec_lo
	s_delay_alu instid0(VALU_DEP_1)
	v_cmpx_gt_i64_e64 s[4:5], v[3:4]
	s_cbranch_execz .LBB78_62
; %bb.61:                               ;   in Loop: Header=BB78_53 Depth=1
	v_add_co_u32 v3, vcc_lo, v87, v25
	v_add_co_ci_u32_e32 v4, vcc_lo, v88, v26, vcc_lo
	v_add_co_u32 v5, vcc_lo, v89, v25
	v_add_co_ci_u32_e32 v6, vcc_lo, v90, v26, vcc_lo
	global_load_u16 v1, v[3:4], off
	global_load_u16 v3, v[5:6], off
	s_waitcnt vmcnt(1)
	v_cvt_f32_f16_e32 v18, v1
	s_waitcnt vmcnt(0)
	v_cvt_f32_f16_e32 v10, v3
.LBB78_62:                              ;   in Loop: Header=BB78_53 Depth=1
	s_or_b32 exec_lo, exec_lo, s8
	v_add_co_u32 v3, vcc_lo, 0xffffffc3, v93
	v_add_co_ci_u32_e32 v4, vcc_lo, -1, v94, vcc_lo
	s_mov_b32 s8, exec_lo
	s_delay_alu instid0(VALU_DEP_1)
	v_cmpx_gt_i64_e64 s[4:5], v[3:4]
	s_cbranch_execz .LBB78_64
; %bb.63:                               ;   in Loop: Header=BB78_53 Depth=1
	v_add_co_u32 v3, vcc_lo, v83, v25
	v_add_co_ci_u32_e32 v4, vcc_lo, v84, v26, vcc_lo
	v_add_co_u32 v5, vcc_lo, v85, v25
	v_add_co_ci_u32_e32 v6, vcc_lo, v86, v26, vcc_lo
	global_load_u16 v1, v[3:4], off
	global_load_u16 v3, v[5:6], off
	s_waitcnt vmcnt(1)
	v_cvt_f32_f16_e32 v19, v1
	s_waitcnt vmcnt(0)
	v_cvt_f32_f16_e32 v11, v3
.LBB78_64:                              ;   in Loop: Header=BB78_53 Depth=1
	;; [unrolled: 19-line block ×7, first 2 shown]
	s_or_b32 exec_lo, exec_lo, s8
	s_waitcnt vmcnt(1)
	ds_bpermute_b32 v3, v2, v59
	ds_bpermute_b32 v5, v2, v59 offset:4
	s_waitcnt vmcnt(0)
	ds_bpermute_b32 v1, v2, v95
	ds_bpermute_b32 v4, v2, v95 offset:4
	s_waitcnt lgkmcnt(3)
	v_sub_f32_e32 v3, v9, v3
	s_waitcnt lgkmcnt(2)
	v_sub_f32_e32 v5, v10, v5
	s_delay_alu instid0(VALU_DEP_2) | instskip(NEXT) | instid1(VALU_DEP_2)
	v_mul_f32_e32 v3, v17, v3
	v_mul_f32_e32 v5, v18, v5
	s_waitcnt lgkmcnt(1)
	s_delay_alu instid0(VALU_DEP_2) | instskip(SKIP_2) | instid1(VALU_DEP_2)
	v_fma_f32 v1, v3, v1, v91
	v_add_f32_e32 v3, v92, v17
	s_waitcnt lgkmcnt(0)
	v_fmac_f32_e32 v1, v5, v4
	ds_bpermute_b32 v5, v2, v59 offset:8
	ds_bpermute_b32 v4, v2, v95 offset:8
	v_add_f32_e32 v3, v18, v3
	s_delay_alu instid0(VALU_DEP_1) | instskip(NEXT) | instid1(VALU_DEP_1)
	v_add_f32_e32 v3, v19, v3
	v_add_f32_e32 v3, v20, v3
	s_delay_alu instid0(VALU_DEP_1) | instskip(SKIP_2) | instid1(VALU_DEP_2)
	v_add_f32_e32 v3, v21, v3
	s_waitcnt lgkmcnt(1)
	v_sub_f32_e32 v5, v11, v5
	v_add_f32_e32 v3, v22, v3
	s_delay_alu instid0(VALU_DEP_2) | instskip(NEXT) | instid1(VALU_DEP_2)
	v_mul_f32_e32 v5, v19, v5
	v_add_f32_e32 v3, v23, v3
	s_waitcnt lgkmcnt(0)
	s_delay_alu instid0(VALU_DEP_2) | instskip(SKIP_4) | instid1(VALU_DEP_1)
	v_fmac_f32_e32 v1, v5, v4
	ds_bpermute_b32 v5, v2, v59 offset:12
	ds_bpermute_b32 v4, v2, v95 offset:12
	s_waitcnt lgkmcnt(1)
	v_sub_f32_e32 v5, v12, v5
	v_mul_f32_e32 v5, v20, v5
	s_waitcnt lgkmcnt(0)
	s_delay_alu instid0(VALU_DEP_1) | instskip(SKIP_4) | instid1(VALU_DEP_1)
	v_fmac_f32_e32 v1, v5, v4
	ds_bpermute_b32 v5, v2, v59 offset:16
	ds_bpermute_b32 v4, v2, v95 offset:16
	s_waitcnt lgkmcnt(1)
	v_sub_f32_e32 v5, v13, v5
	v_mul_f32_e32 v5, v21, v5
	s_waitcnt lgkmcnt(0)
	s_delay_alu instid0(VALU_DEP_1) | instskip(SKIP_4) | instid1(VALU_DEP_1)
	;; [unrolled: 8-line block ×3, first 2 shown]
	v_fmac_f32_e32 v1, v5, v4
	ds_bpermute_b32 v5, v2, v59 offset:24
	ds_bpermute_b32 v4, v2, v95 offset:24
	s_waitcnt lgkmcnt(1)
	v_sub_f32_e32 v5, v15, v5
	v_mul_f32_e32 v5, v23, v5
	s_waitcnt lgkmcnt(0)
	s_delay_alu instid0(VALU_DEP_1)
	v_fmac_f32_e32 v1, v5, v4
	ds_bpermute_b32 v5, v2, v59 offset:28
	ds_bpermute_b32 v4, v2, v95 offset:28
	v_add_f32_e32 v59, v24, v3
	s_waitcnt lgkmcnt(1)
	v_sub_f32_e32 v5, v16, v5
	s_delay_alu instid0(VALU_DEP_1) | instskip(SKIP_1) | instid1(VALU_DEP_1)
	v_mul_f32_e32 v5, v24, v5
	s_waitcnt lgkmcnt(0)
	v_fmac_f32_e32 v1, v5, v4
	s_branch .LBB78_81
.LBB78_75:                              ;   in Loop: Header=BB78_53 Depth=1
                                        ; implicit-def: $vgpr59
                                        ; implicit-def: $vgpr1
	s_cbranch_execz .LBB78_81
; %bb.76:                               ;   in Loop: Header=BB78_53 Depth=1
	s_load_b32 s8, s[28:29], 0x0
	v_mov_b32_e32 v5, 0
	s_waitcnt lgkmcnt(0)
	s_cmp_lt_u32 s14, s8
	s_cselect_b32 s8, 12, 18
	s_delay_alu instid0(SALU_CYCLE_1)
	s_add_u32 s8, s28, s8
	s_addc_u32 s9, s29, 0
	global_load_u16 v1, v2, s[8:9]
	s_mov_b32 s8, exec_lo
	s_waitcnt vmcnt(0)
	v_mad_u32_u24 v1, v56, v1, v55
	s_delay_alu instid0(VALU_DEP_1) | instskip(SKIP_1) | instid1(VALU_DEP_2)
	v_and_b32_e32 v3, 31, v1
	v_mov_b32_e32 v1, 0
	v_cmpx_gt_u32_e32 8, v3
	s_cbranch_execz .LBB78_80
; %bb.77:                               ;   in Loop: Header=BB78_53 Depth=1
	v_add_co_u32 v1, vcc_lo, v93, v3
	v_add_co_ci_u32_e32 v4, vcc_lo, 0, v94, vcc_lo
	v_mov_b32_e32 v5, 0
	s_delay_alu instid0(VALU_DEP_3) | instskip(NEXT) | instid1(VALU_DEP_3)
	v_add_co_u32 v3, vcc_lo, 0xffffffc1, v1
	v_add_co_ci_u32_e32 v4, vcc_lo, -1, v4, vcc_lo
	v_mov_b32_e32 v1, 0
	s_mov_b32 s9, exec_lo
	s_delay_alu instid0(VALU_DEP_2)
	v_cmpx_gt_i64_e64 s[4:5], v[3:4]
	s_cbranch_execz .LBB78_79
; %bb.78:                               ;   in Loop: Header=BB78_53 Depth=1
	v_lshlrev_b64 v[3:4], 2, v[3:4]
	s_delay_alu instid0(VALU_DEP_1) | instskip(NEXT) | instid1(VALU_DEP_2)
	v_add_co_u32 v5, vcc_lo, s24, v3
	v_add_co_ci_u32_e32 v6, vcc_lo, s25, v4, vcc_lo
	v_add_co_u32 v3, vcc_lo, s26, v3
	v_add_co_ci_u32_e32 v4, vcc_lo, s27, v4, vcc_lo
	global_load_b32 v1, v[5:6], off
	global_load_b32 v5, v[3:4], off
.LBB78_79:                              ;   in Loop: Header=BB78_53 Depth=1
	s_or_b32 exec_lo, exec_lo, s9
.LBB78_80:                              ;   in Loop: Header=BB78_53 Depth=1
	s_delay_alu instid0(SALU_CYCLE_1)
	s_or_b32 exec_lo, exec_lo, s8
	v_add_co_u32 v3, vcc_lo, v58, v25
	v_add_co_ci_u32_e32 v4, vcc_lo, v60, v26, vcc_lo
	s_waitcnt vmcnt(1)
	ds_bpermute_b32 v21, v2, v1
	global_load_u16 v3, v[3:4], off
	s_waitcnt vmcnt(0)
	v_cvt_f32_f16_e32 v6, v3
	v_add_co_u32 v3, vcc_lo, v61, v25
	v_add_co_ci_u32_e32 v4, vcc_lo, v62, v26, vcc_lo
	global_load_u16 v3, v[3:4], off
	s_waitcnt vmcnt(0)
	v_cvt_f32_f16_e32 v7, v3
	v_add_co_u32 v3, vcc_lo, v27, v25
	v_add_co_ci_u32_e32 v4, vcc_lo, v28, v26, vcc_lo
	s_waitcnt lgkmcnt(0)
	s_delay_alu instid0(VALU_DEP_3)
	v_sub_f32_e32 v7, v7, v21
	global_load_u16 v3, v[3:4], off
	s_waitcnt vmcnt(0)
	v_cvt_f32_f16_e32 v8, v3
	v_add_co_u32 v3, vcc_lo, v41, v25
	v_add_co_ci_u32_e32 v4, vcc_lo, v42, v26, vcc_lo
	v_mul_f32_e32 v7, v7, v6
	global_load_u16 v3, v[3:4], off
	s_waitcnt vmcnt(0)
	v_cvt_f32_f16_e32 v9, v3
	v_add_co_u32 v3, vcc_lo, v29, v25
	v_add_co_ci_u32_e32 v4, vcc_lo, v30, v26, vcc_lo
	global_load_u16 v3, v[3:4], off
	s_waitcnt vmcnt(0)
	v_cvt_f32_f16_e32 v10, v3
	v_add_co_u32 v3, vcc_lo, v43, v25
	v_add_co_ci_u32_e32 v4, vcc_lo, v44, v26, vcc_lo
	;; [unrolled: 5-line block ×12, first 2 shown]
	global_load_u16 v3, v[3:4], off
	ds_bpermute_b32 v4, v2, v5
	s_waitcnt lgkmcnt(0)
	v_fmac_f32_e32 v91, v7, v4
	ds_bpermute_b32 v7, v2, v1 offset:4
	v_add_f32_e32 v4, v92, v6
	ds_bpermute_b32 v6, v2, v5 offset:4
	v_add_f32_e32 v4, v4, v8
	s_delay_alu instid0(VALU_DEP_1) | instskip(SKIP_1) | instid1(VALU_DEP_1)
	v_add_f32_e32 v4, v4, v10
	s_waitcnt lgkmcnt(1)
	v_dual_add_f32 v4, v4, v12 :: v_dual_sub_f32 v7, v9, v7
	s_delay_alu instid0(VALU_DEP_1) | instskip(SKIP_1) | instid1(VALU_DEP_1)
	v_dual_add_f32 v4, v4, v14 :: v_dual_mul_f32 v7, v7, v8
	s_waitcnt lgkmcnt(0)
	v_dual_add_f32 v4, v4, v16 :: v_dual_fmac_f32 v91, v7, v6
	ds_bpermute_b32 v7, v2, v1 offset:8
	ds_bpermute_b32 v6, v2, v5 offset:8
	v_add_f32_e32 v4, v4, v18
	s_delay_alu instid0(VALU_DEP_1) | instskip(SKIP_2) | instid1(VALU_DEP_1)
	v_add_f32_e32 v59, v4, v20
	s_waitcnt lgkmcnt(1)
	v_sub_f32_e32 v7, v11, v7
	v_mul_f32_e32 v7, v7, v10
	s_waitcnt lgkmcnt(0)
	s_delay_alu instid0(VALU_DEP_1) | instskip(SKIP_4) | instid1(VALU_DEP_1)
	v_fmac_f32_e32 v91, v7, v6
	ds_bpermute_b32 v7, v2, v1 offset:12
	ds_bpermute_b32 v6, v2, v5 offset:12
	s_waitcnt lgkmcnt(1)
	v_sub_f32_e32 v7, v13, v7
	v_mul_f32_e32 v7, v7, v12
	s_waitcnt lgkmcnt(0)
	s_delay_alu instid0(VALU_DEP_1) | instskip(SKIP_4) | instid1(VALU_DEP_1)
	v_fmac_f32_e32 v91, v7, v6
	ds_bpermute_b32 v7, v2, v1 offset:16
	ds_bpermute_b32 v6, v2, v5 offset:16
	;; [unrolled: 8-line block ×3, first 2 shown]
	s_waitcnt lgkmcnt(1)
	v_sub_f32_e32 v7, v17, v7
	v_mul_f32_e32 v7, v7, v16
	s_waitcnt lgkmcnt(0)
	s_delay_alu instid0(VALU_DEP_1)
	v_fmac_f32_e32 v91, v7, v6
	ds_bpermute_b32 v7, v2, v1 offset:24
	ds_bpermute_b32 v1, v2, v1 offset:28
	;; [unrolled: 1-line block ×4, first 2 shown]
	s_waitcnt lgkmcnt(3)
	v_sub_f32_e32 v7, v19, v7
	s_delay_alu instid0(VALU_DEP_1) | instskip(SKIP_1) | instid1(VALU_DEP_1)
	v_mul_f32_e32 v7, v7, v18
	s_waitcnt lgkmcnt(1)
	v_fmac_f32_e32 v91, v7, v6
	s_waitcnt vmcnt(0)
	v_cvt_f32_f16_e32 v3, v3
	s_delay_alu instid0(VALU_DEP_1) | instskip(NEXT) | instid1(VALU_DEP_1)
	v_sub_f32_e32 v1, v3, v1
	v_mul_f32_e32 v1, v1, v20
	s_waitcnt lgkmcnt(0)
	s_delay_alu instid0(VALU_DEP_1) | instskip(NEXT) | instid1(VALU_DEP_1)
	v_fmac_f32_e32 v91, v1, v5
	v_mov_b32_e32 v1, v91
.LBB78_81:                              ;   in Loop: Header=BB78_53 Depth=1
	v_add_co_u32 v27, vcc_lo, v27, s2
	v_add_co_ci_u32_e32 v28, vcc_lo, s3, v28, vcc_lo
	v_add_co_u32 v29, vcc_lo, v29, s2
	v_add_co_ci_u32_e32 v30, vcc_lo, s3, v30, vcc_lo
	;; [unrolled: 2-line block ×27, first 2 shown]
	v_add_co_u32 v85, vcc_lo, v85, s2
	s_add_u32 s12, s12, s15
	v_add_co_ci_u32_e32 v86, vcc_lo, s3, v86, vcc_lo
	s_addc_u32 s13, s13, 0
	v_add_co_u32 v87, vcc_lo, v87, s2
	v_cmp_ge_i64_e64 s8, s[12:13], s[4:5]
	v_add_co_ci_u32_e32 v88, vcc_lo, s3, v88, vcc_lo
	v_add_co_u32 v89, vcc_lo, v89, s2
	v_add_co_ci_u32_e32 v90, vcc_lo, s3, v90, vcc_lo
	s_add_u32 s30, s30, s15
	s_addc_u32 s31, s31, 0
	s_and_b32 vcc_lo, exec_lo, s8
	s_cbranch_vccnz .LBB78_83
; %bb.82:                               ;   in Loop: Header=BB78_53 Depth=1
	v_dual_mov_b32 v92, v59 :: v_dual_mov_b32 v91, v1
	s_branch .LBB78_53
.LBB78_83:
	v_and_b32_e32 v2, 0x3ff, v0
	v_bfe_u32 v0, v0, 10, 10
	s_mov_b32 s15, 0
	s_mov_b32 s2, exec_lo
	s_delay_alu instid0(VALU_DEP_1) | instskip(NEXT) | instid1(VALU_DEP_1)
	v_mad_u32_u24 v3, 0x41, v0, v2
	v_sub_nc_u32_e32 v0, v3, v0
	v_lshl_add_u32 v3, v3, 2, 0
	ds_store_b32 v3, v1
	ds_store_b32 v3, v59 offset:2080
	s_waitcnt lgkmcnt(0)
	s_barrier
	buffer_gl0_inv
	v_cmpx_gt_u32_e32 0x800, v0
	s_cbranch_execz .LBB78_93
; %bb.84:
	s_load_b128 s[8:11], s[0:1], 0x30
	v_lshrrev_b32_e32 v4, 5, v0
	v_mbcnt_lo_u32_b32 v0, -1, 0
	v_and_b32_e32 v3, 31, v2
	v_cmp_eq_u32_e64 s0, 0, v2
	s_lshl_b64 s[4:5], s[14:15], 6
	v_dual_mov_b32 v5, 0 :: v_dual_lshlrev_b32 v8, 1, v4
	v_xor_b32_e32 v1, 4, v0
	v_xor_b32_e32 v2, 2, v0
	;; [unrolled: 1-line block ×3, first 2 shown]
	v_mad_u32_u24 v10, 0x41, v3, v4
	v_cmp_gt_u32_e64 s1, 8, v3
	v_cmp_gt_i32_e32 vcc_lo, 32, v1
                                        ; implicit-def: $vgpr11
	v_cndmask_b32_e32 v1, v0, v1, vcc_lo
	v_cmp_gt_i32_e32 vcc_lo, 32, v2
	s_waitcnt lgkmcnt(0)
	s_cmp_lg_u64 s[8:9], 0
	s_cselect_b32 s3, -1, 0
	s_cmp_lg_u64 s[10:11], 0
	v_cndmask_b32_e32 v2, v0, v2, vcc_lo
	v_cmp_gt_i32_e32 vcc_lo, 32, v6
	s_cselect_b32 s12, -1, 0
	s_lshl_b64 s[16:17], s[14:15], 7
	s_delay_alu instid0(VALU_DEP_2) | instskip(SKIP_2) | instid1(VALU_DEP_1)
	v_lshlrev_b32_e32 v7, 2, v2
	v_cndmask_b32_e32 v0, v0, v6, vcc_lo
	v_add_co_u32 v2, s2, s16, v8
	v_add_co_ci_u32_e64 v9, null, s17, 0, s2
	s_delay_alu instid0(VALU_DEP_3) | instskip(NEXT) | instid1(VALU_DEP_3)
	v_lshlrev_b32_e32 v8, 2, v0
	v_add_co_u32 v0, vcc_lo, s10, v2
	v_lshlrev_b32_e32 v6, 2, v1
	s_delay_alu instid0(VALU_DEP_4)
	v_add_co_ci_u32_e32 v1, vcc_lo, s11, v9, vcc_lo
	v_add_co_u32 v2, vcc_lo, s8, v2
	v_add_co_ci_u32_e32 v3, vcc_lo, s9, v9, vcc_lo
	v_lshl_add_u32 v9, v10, 2, 0
                                        ; implicit-def: $vgpr10
	s_branch .LBB78_86
.LBB78_85:                              ;   in Loop: Header=BB78_86 Depth=1
	s_or_b32 exec_lo, exec_lo, s2
	v_add_co_u32 v4, vcc_lo, v4, 16
	v_add_co_ci_u32_e32 v5, vcc_lo, 0, v5, vcc_lo
	v_add_co_u32 v0, vcc_lo, v0, 32
	s_delay_alu instid0(VALU_DEP_3) | instskip(SKIP_2) | instid1(VALU_DEP_3)
	v_add_nc_u32_e32 v12, -16, v4
	v_add_co_ci_u32_e32 v1, vcc_lo, 0, v1, vcc_lo
	v_add_co_u32 v2, s2, v2, 32
	v_cmp_lt_u32_e32 vcc_lo, 47, v12
	v_add_co_ci_u32_e64 v3, s2, 0, v3, s2
	v_add_nc_u32_e32 v9, 64, v9
	s_or_b32 s15, vcc_lo, s15
	s_delay_alu instid0(SALU_CYCLE_1)
	s_and_not1_b32 exec_lo, exec_lo, s15
	s_cbranch_execz .LBB78_93
.LBB78_86:                              ; =>This Inner Loop Header: Depth=1
	s_and_saveexec_b32 s2, s1
	s_cbranch_execz .LBB78_88
; %bb.87:                               ;   in Loop: Header=BB78_86 Depth=1
	ds_load_b32 v10, v9
	ds_load_b32 v11, v9 offset:2080
.LBB78_88:                              ;   in Loop: Header=BB78_86 Depth=1
	s_or_b32 exec_lo, exec_lo, s2
	s_waitcnt lgkmcnt(1)
	ds_bpermute_b32 v12, v6, v10
	s_waitcnt lgkmcnt(1)
	ds_bpermute_b32 v13, v6, v11
	s_waitcnt lgkmcnt(0)
	v_dual_add_f32 v10, v10, v12 :: v_dual_add_f32 v11, v11, v13
	ds_bpermute_b32 v12, v7, v10
	ds_bpermute_b32 v13, v7, v11
	s_waitcnt lgkmcnt(0)
	v_dual_add_f32 v12, v10, v12 :: v_dual_add_f32 v13, v11, v13
	v_add_co_u32 v10, vcc_lo, s4, v4
	v_add_co_ci_u32_e32 v11, vcc_lo, s5, v5, vcc_lo
	ds_bpermute_b32 v14, v8, v12
	ds_bpermute_b32 v15, v8, v13
	v_cmp_gt_i64_e32 vcc_lo, s[6:7], v[10:11]
	s_and_b32 s8, s0, vcc_lo
	s_waitcnt lgkmcnt(0)
	v_dual_add_f32 v10, v12, v14 :: v_dual_add_f32 v11, v13, v15
	s_and_saveexec_b32 s2, s8
	s_cbranch_execz .LBB78_85
; %bb.89:                               ;   in Loop: Header=BB78_86 Depth=1
	s_and_not1_b32 vcc_lo, exec_lo, s3
	s_cbranch_vccnz .LBB78_91
; %bb.90:                               ;   in Loop: Header=BB78_86 Depth=1
	v_cvt_f16_f32_e32 v12, v10
	global_store_b16 v[2:3], v12, off
.LBB78_91:                              ;   in Loop: Header=BB78_86 Depth=1
	s_and_not1_b32 vcc_lo, exec_lo, s12
	s_cbranch_vccnz .LBB78_85
; %bb.92:                               ;   in Loop: Header=BB78_86 Depth=1
	v_cvt_f16_f32_e32 v12, v11
	global_store_b16 v[0:1], v12, off
	s_branch .LBB78_85
.LBB78_93:
	s_nop 0
	s_sendmsg sendmsg(MSG_DEALLOC_VGPRS)
	s_endpgm
	.section	.rodata,"a",@progbits
	.p2align	6, 0x0
	.amdhsa_kernel _ZN2at6native12_GLOBAL__N_135GammaBetaBackwardCUDAKernelTemplateIN3c104HalfEfLj64ELj8ELj64ELb0ELb0ELb0EEEvllPKT_S7_PKT0_SA_PS5_SB_
		.amdhsa_group_segment_fixed_size 0
		.amdhsa_private_segment_fixed_size 0
		.amdhsa_kernarg_size 320
		.amdhsa_user_sgpr_count 14
		.amdhsa_user_sgpr_dispatch_ptr 0
		.amdhsa_user_sgpr_queue_ptr 0
		.amdhsa_user_sgpr_kernarg_segment_ptr 1
		.amdhsa_user_sgpr_dispatch_id 0
		.amdhsa_user_sgpr_private_segment_size 0
		.amdhsa_wavefront_size32 1
		.amdhsa_uses_dynamic_stack 0
		.amdhsa_enable_private_segment 0
		.amdhsa_system_sgpr_workgroup_id_x 1
		.amdhsa_system_sgpr_workgroup_id_y 1
		.amdhsa_system_sgpr_workgroup_id_z 0
		.amdhsa_system_sgpr_workgroup_info 0
		.amdhsa_system_vgpr_workitem_id 1
		.amdhsa_next_free_vgpr 96
		.amdhsa_next_free_sgpr 40
		.amdhsa_reserve_vcc 1
		.amdhsa_float_round_mode_32 0
		.amdhsa_float_round_mode_16_64 0
		.amdhsa_float_denorm_mode_32 3
		.amdhsa_float_denorm_mode_16_64 3
		.amdhsa_dx10_clamp 1
		.amdhsa_ieee_mode 1
		.amdhsa_fp16_overflow 0
		.amdhsa_workgroup_processor_mode 1
		.amdhsa_memory_ordered 1
		.amdhsa_forward_progress 0
		.amdhsa_shared_vgpr_count 0
		.amdhsa_exception_fp_ieee_invalid_op 0
		.amdhsa_exception_fp_denorm_src 0
		.amdhsa_exception_fp_ieee_div_zero 0
		.amdhsa_exception_fp_ieee_overflow 0
		.amdhsa_exception_fp_ieee_underflow 0
		.amdhsa_exception_fp_ieee_inexact 0
		.amdhsa_exception_int_div_zero 0
	.end_amdhsa_kernel
	.section	.text._ZN2at6native12_GLOBAL__N_135GammaBetaBackwardCUDAKernelTemplateIN3c104HalfEfLj64ELj8ELj64ELb0ELb0ELb0EEEvllPKT_S7_PKT0_SA_PS5_SB_,"axG",@progbits,_ZN2at6native12_GLOBAL__N_135GammaBetaBackwardCUDAKernelTemplateIN3c104HalfEfLj64ELj8ELj64ELb0ELb0ELb0EEEvllPKT_S7_PKT0_SA_PS5_SB_,comdat
.Lfunc_end78:
	.size	_ZN2at6native12_GLOBAL__N_135GammaBetaBackwardCUDAKernelTemplateIN3c104HalfEfLj64ELj8ELj64ELb0ELb0ELb0EEEvllPKT_S7_PKT0_SA_PS5_SB_, .Lfunc_end78-_ZN2at6native12_GLOBAL__N_135GammaBetaBackwardCUDAKernelTemplateIN3c104HalfEfLj64ELj8ELj64ELb0ELb0ELb0EEEvllPKT_S7_PKT0_SA_PS5_SB_
                                        ; -- End function
	.section	.AMDGPU.csdata,"",@progbits
; Kernel info:
; codeLenInByte = 8672
; NumSgprs: 42
; NumVgprs: 96
; ScratchSize: 0
; MemoryBound: 0
; FloatMode: 240
; IeeeMode: 1
; LDSByteSize: 0 bytes/workgroup (compile time only)
; SGPRBlocks: 5
; VGPRBlocks: 11
; NumSGPRsForWavesPerEU: 42
; NumVGPRsForWavesPerEU: 96
; Occupancy: 16
; WaveLimiterHint : 0
; COMPUTE_PGM_RSRC2:SCRATCH_EN: 0
; COMPUTE_PGM_RSRC2:USER_SGPR: 14
; COMPUTE_PGM_RSRC2:TRAP_HANDLER: 0
; COMPUTE_PGM_RSRC2:TGID_X_EN: 1
; COMPUTE_PGM_RSRC2:TGID_Y_EN: 1
; COMPUTE_PGM_RSRC2:TGID_Z_EN: 0
; COMPUTE_PGM_RSRC2:TIDIG_COMP_CNT: 1
	.section	.text._ZN2at6native12_GLOBAL__N_135GammaBetaBackwardCUDAKernelTemplateIN3c104HalfEfLj64ELj16ELj128ELb0ELb1ELb0EEEvllPKT_S7_PKT0_SA_PS5_SB_,"axG",@progbits,_ZN2at6native12_GLOBAL__N_135GammaBetaBackwardCUDAKernelTemplateIN3c104HalfEfLj64ELj16ELj128ELb0ELb1ELb0EEEvllPKT_S7_PKT0_SA_PS5_SB_,comdat
	.globl	_ZN2at6native12_GLOBAL__N_135GammaBetaBackwardCUDAKernelTemplateIN3c104HalfEfLj64ELj16ELj128ELb0ELb1ELb0EEEvllPKT_S7_PKT0_SA_PS5_SB_ ; -- Begin function _ZN2at6native12_GLOBAL__N_135GammaBetaBackwardCUDAKernelTemplateIN3c104HalfEfLj64ELj16ELj128ELb0ELb1ELb0EEEvllPKT_S7_PKT0_SA_PS5_SB_
	.p2align	8
	.type	_ZN2at6native12_GLOBAL__N_135GammaBetaBackwardCUDAKernelTemplateIN3c104HalfEfLj64ELj16ELj128ELb0ELb1ELb0EEEvllPKT_S7_PKT0_SA_PS5_SB_,@function
_ZN2at6native12_GLOBAL__N_135GammaBetaBackwardCUDAKernelTemplateIN3c104HalfEfLj64ELj16ELj128ELb0ELb1ELb0EEEvllPKT_S7_PKT0_SA_PS5_SB_: ; @_ZN2at6native12_GLOBAL__N_135GammaBetaBackwardCUDAKernelTemplateIN3c104HalfEfLj64ELj16ELj128ELb0ELb1ELb0EEEvllPKT_S7_PKT0_SA_PS5_SB_
; %bb.0:
	s_load_b128 s[20:23], s[0:1], 0x0
	s_mov_b32 s3, 0
	s_lshl_b32 s2, s15, 7
	v_bfe_u32 v7, v0, 10, 10
	s_waitcnt lgkmcnt(0)
	v_cmp_lt_i64_e64 s4, s[2:3], s[20:21]
	s_delay_alu instid0(VALU_DEP_1)
	s_and_b32 vcc_lo, exec_lo, s4
	s_cbranch_vccnz .LBB79_2
; %bb.1:
	v_bfe_u32 v1, v0, 10, 10
	s_mov_b32 s5, 0
	s_mov_b32 s4, s3
	s_branch .LBB79_3
.LBB79_2:
	s_mov_b32 s4, -1
                                        ; implicit-def: $sgpr5
                                        ; implicit-def: $vgpr1
.LBB79_3:
	s_load_b128 s[16:19], s[0:1], 0x30
	v_dual_mov_b32 v15, s5 :: v_dual_and_b32 v6, 0x3ff, v0
	v_mov_b32_e32 v17, s5
	s_and_not1_b32 vcc_lo, exec_lo, s4
	s_cbranch_vccnz .LBB79_11
; %bb.4:
	s_clause 0x2
	s_load_b32 s12, s[0:1], 0x4c
	s_load_b32 s15, s[0:1], 0x44
	s_load_b256 s[4:11], s[0:1], 0x10
	v_dual_mov_b32 v1, 0 :: v_dual_lshlrev_b32 v0, 3, v7
	v_dual_mov_b32 v8, 8 :: v_dual_mov_b32 v9, 4
	v_dual_mov_b32 v10, 12 :: v_dual_mov_b32 v11, 16
	s_delay_alu instid0(VALU_DEP_3) | instskip(NEXT) | instid1(VALU_DEP_1)
	v_add_co_u32 v2, s0, v0, s2
	v_add_co_ci_u32_e64 v3, null, 0, 0, s0
	v_lshl_add_u32 v0, s14, 6, v6
	s_delay_alu instid0(VALU_DEP_3) | instskip(SKIP_1) | instid1(VALU_DEP_4)
	v_mul_lo_u32 v17, s23, v2
	v_mad_u64_u32 v[4:5], null, s22, v2, 0
	v_mul_lo_u32 v18, s22, v3
	v_dual_mov_b32 v12, 20 :: v_dual_mov_b32 v13, 24
	s_waitcnt lgkmcnt(0)
	s_and_b32 s0, s12, 0xffff
	s_lshl_b32 s12, s15, 7
	v_mad_u32_u24 v15, v7, s0, v6
	v_mov_b32_e32 v14, 28
	s_mul_i32 s1, s23, s12
	v_add3_u32 v5, v5, v18, v17
	s_mul_hi_u32 s15, s22, s12
	v_and_b32_e32 v19, 31, v15
	v_lshlrev_b64 v[15:16], 1, v[0:1]
	s_mov_b32 s13, 0
	v_lshlrev_b64 v[17:18], 1, v[4:5]
	s_add_i32 s27, s15, s1
	v_add_co_u32 v2, vcc_lo, v2, v19
	v_add_co_ci_u32_e32 v3, vcc_lo, 0, v3, vcc_lo
	s_delay_alu instid0(VALU_DEP_3) | instskip(SKIP_1) | instid1(VALU_DEP_3)
	v_add_co_u32 v0, vcc_lo, v17, v15
	v_cmp_gt_u32_e64 s0, 8, v19
	v_lshlrev_b64 v[4:5], 2, v[2:3]
	v_add_co_ci_u32_e32 v16, vcc_lo, v18, v16, vcc_lo
	v_mov_b32_e32 v17, 0
	v_mov_b32_e32 v15, 0
	s_mul_i32 s26, s22, s12
	s_lshl_b64 s[24:25], s[12:13], 2
	s_lshl_b64 s[26:27], s[26:27], 1
	;; [unrolled: 1-line block ×3, first 2 shown]
	s_branch .LBB79_7
.LBB79_5:                               ;   in Loop: Header=BB79_7 Depth=1
	s_or_b32 exec_lo, exec_lo, s13
.LBB79_6:                               ;   in Loop: Header=BB79_7 Depth=1
	s_delay_alu instid0(SALU_CYCLE_1) | instskip(SKIP_4) | instid1(VALU_DEP_4)
	s_or_b32 exec_lo, exec_lo, s1
	v_add_co_u32 v20, vcc_lo, s4, v0
	v_add_co_ci_u32_e32 v21, vcc_lo, s5, v16, vcc_lo
	v_add_co_u32 v22, vcc_lo, s6, v0
	v_add_co_ci_u32_e32 v23, vcc_lo, s7, v16, vcc_lo
	v_add_co_u32 v24, vcc_lo, v20, s22
	s_delay_alu instid0(VALU_DEP_4) | instskip(NEXT) | instid1(VALU_DEP_4)
	v_add_co_ci_u32_e32 v25, vcc_lo, s23, v21, vcc_lo
	v_add_co_u32 v26, vcc_lo, v22, s22
	s_delay_alu instid0(VALU_DEP_4) | instskip(NEXT) | instid1(VALU_DEP_4)
	v_add_co_ci_u32_e32 v27, vcc_lo, s23, v23, vcc_lo
	v_add_co_u32 v28, vcc_lo, v24, s22
	s_delay_alu instid0(VALU_DEP_4)
	v_add_co_ci_u32_e32 v29, vcc_lo, s23, v25, vcc_lo
	global_load_u16 v30, v[20:21], off
	global_load_u16 v31, v[22:23], off
	;; [unrolled: 1-line block ×5, first 2 shown]
	v_add_co_u32 v20, vcc_lo, v26, s22
	v_add_co_ci_u32_e32 v21, vcc_lo, s23, v27, vcc_lo
	v_add_co_u32 v22, vcc_lo, v28, s22
	v_add_co_ci_u32_e32 v23, vcc_lo, s23, v29, vcc_lo
	s_delay_alu instid0(VALU_DEP_4) | instskip(NEXT) | instid1(VALU_DEP_4)
	v_add_co_u32 v24, vcc_lo, v20, s22
	v_add_co_ci_u32_e32 v25, vcc_lo, s23, v21, vcc_lo
	s_delay_alu instid0(VALU_DEP_4) | instskip(NEXT) | instid1(VALU_DEP_4)
	;; [unrolled: 3-line block ×3, first 2 shown]
	v_add_co_u32 v28, vcc_lo, v24, s22
	v_add_co_ci_u32_e32 v29, vcc_lo, s23, v25, vcc_lo
	global_load_u16 v35, v[20:21], off
	global_load_u16 v36, v[22:23], off
	;; [unrolled: 1-line block ×5, first 2 shown]
	v_add_co_u32 v20, vcc_lo, v26, s22
	v_add_co_ci_u32_e32 v21, vcc_lo, s23, v27, vcc_lo
	v_add_co_u32 v22, vcc_lo, v28, s22
	v_add_co_ci_u32_e32 v23, vcc_lo, s23, v29, vcc_lo
	s_delay_alu instid0(VALU_DEP_4) | instskip(NEXT) | instid1(VALU_DEP_4)
	v_add_co_u32 v24, vcc_lo, v20, s22
	v_add_co_ci_u32_e32 v25, vcc_lo, s23, v21, vcc_lo
	s_delay_alu instid0(VALU_DEP_4) | instskip(NEXT) | instid1(VALU_DEP_4)
	v_add_co_u32 v26, vcc_lo, v22, s22
	v_add_co_ci_u32_e32 v27, vcc_lo, s23, v23, vcc_lo
	global_load_u16 v28, v[20:21], off
	global_load_u16 v29, v[22:23], off
	;; [unrolled: 1-line block ×4, first 2 shown]
	v_add_co_u32 v20, vcc_lo, v26, s22
	v_add_co_ci_u32_e32 v21, vcc_lo, s23, v27, vcc_lo
	v_add_co_u32 v22, vcc_lo, v24, s22
	v_add_co_ci_u32_e32 v23, vcc_lo, s23, v25, vcc_lo
	global_load_u16 v20, v[20:21], off
	global_load_u16 v21, v[22:23], off
	s_waitcnt vmcnt(17)
	ds_bpermute_b32 v22, v1, v18
	ds_bpermute_b32 v25, v9, v18
	s_waitcnt vmcnt(16)
	ds_bpermute_b32 v23, v1, v19
	ds_bpermute_b32 v27, v8, v18
	;; [unrolled: 1-line block ×14, first 2 shown]
	v_add_co_u32 v4, vcc_lo, v4, s24
	s_add_u32 s2, s2, s12
	v_add_co_ci_u32_e32 v5, vcc_lo, s25, v5, vcc_lo
	s_addc_u32 s3, s3, 0
	v_add_co_u32 v2, vcc_lo, v2, s12
	v_add_co_ci_u32_e32 v3, vcc_lo, 0, v3, vcc_lo
	v_cmp_lt_i64_e64 s1, s[2:3], s[20:21]
	v_add_co_u32 v0, vcc_lo, v0, s26
	v_add_co_ci_u32_e32 v16, vcc_lo, s27, v16, vcc_lo
	s_delay_alu instid0(VALU_DEP_3)
	s_and_b32 vcc_lo, exec_lo, s1
	s_waitcnt vmcnt(15)
	v_cvt_f32_f16_e32 v30, v30
	s_waitcnt vmcnt(14)
	v_cvt_f32_f16_e32 v31, v31
	;; [unrolled: 2-line block ×3, first 2 shown]
	s_waitcnt lgkmcnt(15)
	s_delay_alu instid0(VALU_DEP_2)
	v_sub_f32_e32 v22, v31, v22
	v_cvt_f32_f16_e32 v31, v32
	s_waitcnt lgkmcnt(14)
	v_sub_f32_e32 v25, v33, v25
	s_waitcnt vmcnt(10)
	v_cvt_f32_f16_e32 v32, v35
	v_mul_f32_e32 v22, v22, v30
	s_waitcnt lgkmcnt(13)
	s_delay_alu instid0(VALU_DEP_1)
	v_fmac_f32_e32 v15, v22, v23
	v_mul_f32_e32 v22, v25, v31
	s_waitcnt lgkmcnt(12)
	v_sub_f32_e32 v23, v32, v27
	s_waitcnt vmcnt(8)
	v_cvt_f32_f16_e32 v25, v37
	v_cvt_f32_f16_e32 v27, v36
	v_add_f32_e32 v17, v17, v30
	v_cvt_f32_f16_e32 v30, v34
	s_waitcnt lgkmcnt(11)
	v_fmac_f32_e32 v15, v22, v24
	s_waitcnt vmcnt(6)
	v_cvt_f32_f16_e32 v24, v39
	v_mul_f32_e32 v22, v23, v30
	s_waitcnt lgkmcnt(9)
	s_delay_alu instid0(VALU_DEP_1)
	v_fmac_f32_e32 v15, v22, v26
	s_waitcnt vmcnt(5)
	v_cvt_f32_f16_e32 v26, v28
	s_waitcnt vmcnt(1)
	v_cvt_f32_f16_e32 v20, v20
	v_sub_f32_e32 v23, v25, v43
	v_cvt_f32_f16_e32 v25, v38
	s_waitcnt vmcnt(0)
	v_cvt_f32_f16_e32 v21, v21
	s_waitcnt lgkmcnt(5)
	v_sub_f32_e32 v18, v20, v18
	v_dual_mul_f32 v22, v23, v27 :: v_dual_sub_f32 v23, v24, v45
	v_cvt_f32_f16_e32 v24, v29
	s_delay_alu instid0(VALU_DEP_3) | instskip(SKIP_1) | instid1(VALU_DEP_3)
	v_dual_add_f32 v17, v17, v31 :: v_dual_mul_f32 v18, v18, v21
	s_waitcnt lgkmcnt(4)
	v_dual_fmac_f32 v15, v22, v42 :: v_dual_mul_f32 v22, v23, v25
	s_delay_alu instid0(VALU_DEP_3) | instskip(SKIP_2) | instid1(VALU_DEP_2)
	v_sub_f32_e32 v23, v24, v47
	v_cvt_f32_f16_e32 v24, v41
	s_waitcnt lgkmcnt(3)
	v_dual_fmac_f32 v15, v22, v44 :: v_dual_mul_f32 v22, v23, v26
	s_delay_alu instid0(VALU_DEP_2) | instskip(SKIP_2) | instid1(VALU_DEP_3)
	v_sub_f32_e32 v23, v24, v49
	v_add_f32_e32 v17, v17, v30
	s_waitcnt lgkmcnt(2)
	v_fmac_f32_e32 v15, v22, v46
	s_delay_alu instid0(VALU_DEP_2) | instskip(NEXT) | instid1(VALU_DEP_1)
	v_add_f32_e32 v17, v17, v27
	v_add_f32_e32 v17, v17, v25
	v_cvt_f32_f16_e32 v25, v40
	s_delay_alu instid0(VALU_DEP_1) | instskip(NEXT) | instid1(VALU_DEP_1)
	v_dual_add_f32 v17, v17, v26 :: v_dual_mul_f32 v22, v23, v25
	v_add_f32_e32 v17, v17, v25
	s_waitcnt lgkmcnt(1)
	s_delay_alu instid0(VALU_DEP_2) | instskip(NEXT) | instid1(VALU_DEP_2)
	v_fmac_f32_e32 v15, v22, v48
	v_add_f32_e32 v17, v17, v21
	s_waitcnt lgkmcnt(0)
	s_delay_alu instid0(VALU_DEP_2)
	v_fmac_f32_e32 v15, v18, v19
	s_cbranch_vccz .LBB79_10
.LBB79_7:                               ; =>This Inner Loop Header: Depth=1
	v_dual_mov_b32 v19, 0 :: v_dual_mov_b32 v18, 0
	s_and_saveexec_b32 s1, s0
	s_cbranch_execz .LBB79_6
; %bb.8:                                ;   in Loop: Header=BB79_7 Depth=1
	v_dual_mov_b32 v18, 0 :: v_dual_mov_b32 v19, 0
	s_mov_b32 s13, exec_lo
	v_cmpx_gt_i64_e64 s[20:21], v[2:3]
	s_cbranch_execz .LBB79_5
; %bb.9:                                ;   in Loop: Header=BB79_7 Depth=1
	v_add_co_u32 v18, vcc_lo, s8, v4
	v_add_co_ci_u32_e32 v19, vcc_lo, s9, v5, vcc_lo
	v_add_co_u32 v20, vcc_lo, s10, v4
	v_add_co_ci_u32_e32 v21, vcc_lo, s11, v5, vcc_lo
	global_load_b32 v18, v[18:19], off
	global_load_b32 v19, v[20:21], off
	s_branch .LBB79_5
.LBB79_10:
	v_mov_b32_e32 v1, v7
.LBB79_11:
	s_delay_alu instid0(VALU_DEP_1) | instskip(SKIP_2) | instid1(VALU_DEP_1)
	v_mad_u32_u24 v2, 0x41, v1, v6
	s_mov_b32 s15, 0
	s_mov_b32 s0, exec_lo
	v_sub_nc_u32_e32 v0, v2, v1
	v_lshl_add_u32 v1, v2, 2, 0
	ds_store_b32 v1, v15
	ds_store_b32 v1, v17 offset:4160
	s_waitcnt lgkmcnt(0)
	s_barrier
	buffer_gl0_inv
	v_cmpx_gt_u32_e32 0x800, v0
	s_cbranch_execz .LBB79_21
; %bb.12:
	v_mbcnt_lo_u32_b32 v1, -1, 0
	v_lshrrev_b32_e32 v3, 5, v0
	v_cmp_eq_u32_e64 s1, 0, v6
	s_cmp_lg_u64 s[16:17], 0
	s_cselect_b32 s2, -1, 0
	v_xor_b32_e32 v0, 8, v1
	v_xor_b32_e32 v4, 4, v1
	;; [unrolled: 1-line block ×3, first 2 shown]
	s_cmp_lg_u64 s[18:19], 0
	s_delay_alu instid0(VALU_DEP_3)
	v_cmp_gt_i32_e32 vcc_lo, 32, v0
	s_cselect_b32 s3, -1, 0
	s_lshl_b64 s[4:5], s[14:15], 7
	v_cndmask_b32_e32 v0, v1, v0, vcc_lo
	v_cmp_gt_i32_e32 vcc_lo, 32, v4
	v_and_b32_e32 v2, 31, v6
	v_xor_b32_e32 v6, 1, v1
	v_cndmask_b32_e32 v7, v1, v4, vcc_lo
	v_cmp_gt_i32_e32 vcc_lo, 32, v5
	s_delay_alu instid0(VALU_DEP_4)
	v_mad_u32_u24 v11, 0x41, v2, v3
	v_cmp_gt_u32_e64 s0, 16, v2
	v_cndmask_b32_e32 v8, v1, v5, vcc_lo
	v_cmp_gt_i32_e32 vcc_lo, 32, v6
	v_lshlrev_b32_e32 v5, 2, v7
	v_lshlrev_b32_e32 v4, 2, v0
	v_dual_cndmask_b32 v1, v1, v6 :: v_dual_lshlrev_b32 v0, 1, v3
	v_lshlrev_b32_e32 v6, 2, v8
	v_subrev_nc_u32_e32 v8, 32, v3
	s_delay_alu instid0(VALU_DEP_3) | instskip(NEXT) | instid1(VALU_DEP_1)
	v_add_co_u32 v9, s4, s4, v0
	v_add_co_ci_u32_e64 v10, null, s5, 0, s4
	v_lshlrev_b32_e32 v7, 2, v1
	s_delay_alu instid0(VALU_DEP_3) | instskip(NEXT) | instid1(VALU_DEP_3)
	v_add_co_u32 v0, vcc_lo, s18, v9
	v_add_co_ci_u32_e32 v1, vcc_lo, s19, v10, vcc_lo
	v_add_co_u32 v2, vcc_lo, s16, v9
	v_add_co_ci_u32_e32 v3, vcc_lo, s17, v10, vcc_lo
	v_lshl_add_u32 v9, v11, 2, 0
                                        ; implicit-def: $vgpr10
                                        ; implicit-def: $vgpr11
	s_branch .LBB79_14
.LBB79_13:                              ;   in Loop: Header=BB79_14 Depth=1
	s_or_b32 exec_lo, exec_lo, s4
	v_add_co_u32 v0, vcc_lo, v0, 64
	v_add_co_u32 v8, s4, v8, 32
	v_add_co_ci_u32_e32 v1, vcc_lo, 0, v1, vcc_lo
	v_add_co_u32 v2, vcc_lo, v2, 64
	s_xor_b32 s4, s4, -1
	v_add_co_ci_u32_e32 v3, vcc_lo, 0, v3, vcc_lo
	v_add_nc_u32_e32 v9, 0x80, v9
	s_and_b32 s4, exec_lo, s4
	s_delay_alu instid0(SALU_CYCLE_1) | instskip(NEXT) | instid1(SALU_CYCLE_1)
	s_or_b32 s15, s4, s15
	s_and_not1_b32 exec_lo, exec_lo, s15
	s_cbranch_execz .LBB79_21
.LBB79_14:                              ; =>This Inner Loop Header: Depth=1
	s_and_saveexec_b32 s4, s0
	s_cbranch_execz .LBB79_16
; %bb.15:                               ;   in Loop: Header=BB79_14 Depth=1
	ds_load_b32 v10, v9
	ds_load_b32 v11, v9 offset:4160
.LBB79_16:                              ;   in Loop: Header=BB79_14 Depth=1
	s_or_b32 exec_lo, exec_lo, s4
	s_waitcnt lgkmcnt(1)
	ds_bpermute_b32 v12, v4, v10
	s_waitcnt lgkmcnt(1)
	ds_bpermute_b32 v13, v4, v11
	s_waitcnt lgkmcnt(0)
	v_dual_add_f32 v10, v10, v12 :: v_dual_add_f32 v11, v11, v13
	ds_bpermute_b32 v12, v5, v10
	ds_bpermute_b32 v13, v5, v11
	s_waitcnt lgkmcnt(0)
	v_dual_add_f32 v10, v10, v12 :: v_dual_add_f32 v11, v11, v13
	ds_bpermute_b32 v12, v6, v10
	;; [unrolled: 4-line block ×3, first 2 shown]
	ds_bpermute_b32 v13, v7, v11
	s_waitcnt lgkmcnt(0)
	v_dual_add_f32 v10, v10, v12 :: v_dual_add_f32 v11, v11, v13
	s_and_saveexec_b32 s4, s1
	s_cbranch_execz .LBB79_13
; %bb.17:                               ;   in Loop: Header=BB79_14 Depth=1
	s_and_not1_b32 vcc_lo, exec_lo, s2
	s_cbranch_vccnz .LBB79_19
; %bb.18:                               ;   in Loop: Header=BB79_14 Depth=1
	v_cvt_f16_f32_e32 v12, v10
	global_store_b16 v[2:3], v12, off
.LBB79_19:                              ;   in Loop: Header=BB79_14 Depth=1
	s_and_not1_b32 vcc_lo, exec_lo, s3
	s_cbranch_vccnz .LBB79_13
; %bb.20:                               ;   in Loop: Header=BB79_14 Depth=1
	v_cvt_f16_f32_e32 v12, v11
	global_store_b16 v[0:1], v12, off
	s_branch .LBB79_13
.LBB79_21:
	s_nop 0
	s_sendmsg sendmsg(MSG_DEALLOC_VGPRS)
	s_endpgm
	.section	.rodata,"a",@progbits
	.p2align	6, 0x0
	.amdhsa_kernel _ZN2at6native12_GLOBAL__N_135GammaBetaBackwardCUDAKernelTemplateIN3c104HalfEfLj64ELj16ELj128ELb0ELb1ELb0EEEvllPKT_S7_PKT0_SA_PS5_SB_
		.amdhsa_group_segment_fixed_size 0
		.amdhsa_private_segment_fixed_size 0
		.amdhsa_kernarg_size 320
		.amdhsa_user_sgpr_count 14
		.amdhsa_user_sgpr_dispatch_ptr 0
		.amdhsa_user_sgpr_queue_ptr 0
		.amdhsa_user_sgpr_kernarg_segment_ptr 1
		.amdhsa_user_sgpr_dispatch_id 0
		.amdhsa_user_sgpr_private_segment_size 0
		.amdhsa_wavefront_size32 1
		.amdhsa_uses_dynamic_stack 0
		.amdhsa_enable_private_segment 0
		.amdhsa_system_sgpr_workgroup_id_x 1
		.amdhsa_system_sgpr_workgroup_id_y 1
		.amdhsa_system_sgpr_workgroup_id_z 0
		.amdhsa_system_sgpr_workgroup_info 0
		.amdhsa_system_vgpr_workitem_id 1
		.amdhsa_next_free_vgpr 50
		.amdhsa_next_free_sgpr 28
		.amdhsa_reserve_vcc 1
		.amdhsa_float_round_mode_32 0
		.amdhsa_float_round_mode_16_64 0
		.amdhsa_float_denorm_mode_32 3
		.amdhsa_float_denorm_mode_16_64 3
		.amdhsa_dx10_clamp 1
		.amdhsa_ieee_mode 1
		.amdhsa_fp16_overflow 0
		.amdhsa_workgroup_processor_mode 1
		.amdhsa_memory_ordered 1
		.amdhsa_forward_progress 0
		.amdhsa_shared_vgpr_count 0
		.amdhsa_exception_fp_ieee_invalid_op 0
		.amdhsa_exception_fp_denorm_src 0
		.amdhsa_exception_fp_ieee_div_zero 0
		.amdhsa_exception_fp_ieee_overflow 0
		.amdhsa_exception_fp_ieee_underflow 0
		.amdhsa_exception_fp_ieee_inexact 0
		.amdhsa_exception_int_div_zero 0
	.end_amdhsa_kernel
	.section	.text._ZN2at6native12_GLOBAL__N_135GammaBetaBackwardCUDAKernelTemplateIN3c104HalfEfLj64ELj16ELj128ELb0ELb1ELb0EEEvllPKT_S7_PKT0_SA_PS5_SB_,"axG",@progbits,_ZN2at6native12_GLOBAL__N_135GammaBetaBackwardCUDAKernelTemplateIN3c104HalfEfLj64ELj16ELj128ELb0ELb1ELb0EEEvllPKT_S7_PKT0_SA_PS5_SB_,comdat
.Lfunc_end79:
	.size	_ZN2at6native12_GLOBAL__N_135GammaBetaBackwardCUDAKernelTemplateIN3c104HalfEfLj64ELj16ELj128ELb0ELb1ELb0EEEvllPKT_S7_PKT0_SA_PS5_SB_, .Lfunc_end79-_ZN2at6native12_GLOBAL__N_135GammaBetaBackwardCUDAKernelTemplateIN3c104HalfEfLj64ELj16ELj128ELb0ELb1ELb0EEEvllPKT_S7_PKT0_SA_PS5_SB_
                                        ; -- End function
	.section	.AMDGPU.csdata,"",@progbits
; Kernel info:
; codeLenInByte = 1896
; NumSgprs: 30
; NumVgprs: 50
; ScratchSize: 0
; MemoryBound: 0
; FloatMode: 240
; IeeeMode: 1
; LDSByteSize: 0 bytes/workgroup (compile time only)
; SGPRBlocks: 3
; VGPRBlocks: 6
; NumSGPRsForWavesPerEU: 30
; NumVGPRsForWavesPerEU: 50
; Occupancy: 16
; WaveLimiterHint : 0
; COMPUTE_PGM_RSRC2:SCRATCH_EN: 0
; COMPUTE_PGM_RSRC2:USER_SGPR: 14
; COMPUTE_PGM_RSRC2:TRAP_HANDLER: 0
; COMPUTE_PGM_RSRC2:TGID_X_EN: 1
; COMPUTE_PGM_RSRC2:TGID_Y_EN: 1
; COMPUTE_PGM_RSRC2:TGID_Z_EN: 0
; COMPUTE_PGM_RSRC2:TIDIG_COMP_CNT: 1
	.section	.text._ZN2at6native12_GLOBAL__N_135GammaBetaBackwardCUDAKernelTemplateIN3c104HalfEfLj64ELj16ELj128ELb0ELb0ELb0EEEvllPKT_S7_PKT0_SA_PS5_SB_,"axG",@progbits,_ZN2at6native12_GLOBAL__N_135GammaBetaBackwardCUDAKernelTemplateIN3c104HalfEfLj64ELj16ELj128ELb0ELb0ELb0EEEvllPKT_S7_PKT0_SA_PS5_SB_,comdat
	.globl	_ZN2at6native12_GLOBAL__N_135GammaBetaBackwardCUDAKernelTemplateIN3c104HalfEfLj64ELj16ELj128ELb0ELb0ELb0EEEvllPKT_S7_PKT0_SA_PS5_SB_ ; -- Begin function _ZN2at6native12_GLOBAL__N_135GammaBetaBackwardCUDAKernelTemplateIN3c104HalfEfLj64ELj16ELj128ELb0ELb0ELb0EEEvllPKT_S7_PKT0_SA_PS5_SB_
	.p2align	8
	.type	_ZN2at6native12_GLOBAL__N_135GammaBetaBackwardCUDAKernelTemplateIN3c104HalfEfLj64ELj16ELj128ELb0ELb0ELb0EEEvllPKT_S7_PKT0_SA_PS5_SB_,@function
_ZN2at6native12_GLOBAL__N_135GammaBetaBackwardCUDAKernelTemplateIN3c104HalfEfLj64ELj16ELj128ELb0ELb0ELb0EEEvllPKT_S7_PKT0_SA_PS5_SB_: ; @_ZN2at6native12_GLOBAL__N_135GammaBetaBackwardCUDAKernelTemplateIN3c104HalfEfLj64ELj16ELj128ELb0ELb0ELb0EEEvllPKT_S7_PKT0_SA_PS5_SB_
; %bb.0:
	s_clause 0x1
	s_load_b256 s[4:11], s[0:1], 0x0
	s_load_b128 s[24:27], s[0:1], 0x20
	s_mov_b32 s29, 0
	s_lshl_b32 s12, s15, 7
	s_mov_b32 s13, s29
	s_lshl_b32 s33, s14, 6
	s_delay_alu instid0(SALU_CYCLE_1) | instskip(SKIP_3) | instid1(VALU_DEP_2)
	s_or_b32 s28, s33, 63
	s_waitcnt lgkmcnt(0)
	v_cmp_lt_i64_e64 s15, s[12:13], s[4:5]
	v_cmp_ge_i64_e64 s2, s[28:29], s[6:7]
	v_cndmask_b32_e64 v1, 0, 1, s15
	s_delay_alu instid0(VALU_DEP_2) | instskip(NEXT) | instid1(VALU_DEP_1)
	s_and_b32 vcc_lo, exec_lo, s2
	v_cmp_ne_u32_e64 s2, 1, v1
	s_cbranch_vccz .LBB80_49
; %bb.1:
	v_mov_b32_e32 v1, 0
	v_mov_b32_e32 v59, 0
	s_delay_alu instid0(VALU_DEP_3)
	s_and_b32 vcc_lo, exec_lo, s2
	s_cbranch_vccnz .LBB80_50
; %bb.2:
	v_bfe_u32 v27, v0, 10, 10
	s_load_b32 s3, s[0:1], 0x44
	v_dual_mov_b32 v2, 0 :: v_dual_and_b32 v29, 0x3ff, v0
	s_add_u32 s30, s0, 64
	s_delay_alu instid0(VALU_DEP_2) | instskip(NEXT) | instid1(VALU_DEP_2)
	v_dual_mov_b32 v59, 0 :: v_dual_lshlrev_b32 v28, 3, v27
	v_add_nc_u32_e32 v1, s33, v29
	s_addc_u32 s31, s1, 0
	v_mov_b32_e32 v63, 0
	s_delay_alu instid0(VALU_DEP_3) | instskip(NEXT) | instid1(VALU_DEP_1)
	v_add_co_u32 v9, s2, v28, s12
	v_add_co_ci_u32_e64 v10, null, 0, 0, s2
	v_cmp_gt_i64_e64 s2, s[6:7], v[1:2]
	s_delay_alu instid0(VALU_DEP_3) | instskip(NEXT) | instid1(VALU_DEP_3)
	v_add_co_u32 v5, vcc_lo, v9, 7
	v_add_co_ci_u32_e32 v3, vcc_lo, 0, v10, vcc_lo
	v_add_co_u32 v8, vcc_lo, v9, 6
	s_delay_alu instid0(VALU_DEP_3) | instskip(NEXT) | instid1(VALU_DEP_3)
	v_mul_lo_u32 v6, s7, v5
	v_mul_lo_u32 v7, s6, v3
	v_mad_u64_u32 v[3:4], null, s6, v5, 0
	v_add_co_ci_u32_e32 v5, vcc_lo, 0, v10, vcc_lo
	v_lshlrev_b64 v[25:26], 1, v[1:2]
	v_mul_lo_u32 v1, s7, v8
	s_waitcnt lgkmcnt(0)
	s_lshl_b32 s28, s3, 7
	s_mov_b32 s16, 0
	s_delay_alu instid0(VALU_DEP_4) | instskip(SKIP_3) | instid1(VALU_DEP_3)
	v_add3_u32 v4, v4, v7, v6
	v_mul_lo_u32 v7, s6, v5
	v_mad_u64_u32 v[5:6], null, s6, v8, 0
	s_mul_i32 s3, s7, s28
	v_lshlrev_b64 v[3:4], 1, v[3:4]
	s_mul_hi_u32 s17, s6, s28
	s_mul_i32 s18, s6, s28
	s_add_i32 s19, s17, s3
	s_mov_b64 s[38:39], s[12:13]
	s_delay_alu instid0(VALU_DEP_2) | instskip(SKIP_4) | instid1(VALU_DEP_1)
	v_add3_u32 v6, v6, v7, v1
	v_add_co_u32 v30, vcc_lo, s8, v3
	v_add_co_ci_u32_e32 v31, vcc_lo, s9, v4, vcc_lo
	v_add_co_u32 v1, vcc_lo, v9, 5
	v_add_co_u32 v32, s3, s10, v3
	v_add_co_ci_u32_e64 v33, s3, s11, v4, s3
	v_lshlrev_b64 v[3:4], 1, v[5:6]
	v_add_co_ci_u32_e32 v5, vcc_lo, 0, v10, vcc_lo
	v_add_co_u32 v12, vcc_lo, v9, 4
	v_mul_lo_u32 v11, s7, v1
	s_delay_alu instid0(VALU_DEP_3) | instskip(SKIP_4) | instid1(VALU_DEP_3)
	v_mul_lo_u32 v13, s6, v5
	v_mad_u64_u32 v[5:6], null, s6, v1, 0
	v_add_co_ci_u32_e32 v7, vcc_lo, 0, v10, vcc_lo
	v_mul_lo_u32 v1, s7, v12
	v_add_co_u32 v34, vcc_lo, s8, v3
	v_mul_lo_u32 v14, s6, v7
	v_mad_u64_u32 v[7:8], null, s6, v12, 0
	v_add3_u32 v6, v6, v13, v11
	v_add_co_ci_u32_e32 v35, vcc_lo, s9, v4, vcc_lo
	v_add_co_u32 v36, vcc_lo, s10, v3
	v_add_co_ci_u32_e32 v37, vcc_lo, s11, v4, vcc_lo
	s_delay_alu instid0(VALU_DEP_4) | instskip(SKIP_3) | instid1(VALU_DEP_4)
	v_lshlrev_b64 v[3:4], 1, v[5:6]
	v_add3_u32 v8, v8, v14, v1
	v_add_co_u32 v1, vcc_lo, v9, 3
	v_add_co_ci_u32_e32 v11, vcc_lo, 0, v10, vcc_lo
	v_add_co_u32 v38, vcc_lo, s8, v3
	s_delay_alu instid0(VALU_DEP_4)
	v_lshlrev_b64 v[5:6], 1, v[7:8]
	v_add_co_ci_u32_e32 v39, vcc_lo, s9, v4, vcc_lo
	v_mul_lo_u32 v12, s7, v1
	v_mul_lo_u32 v11, s6, v11
	v_mad_u64_u32 v[7:8], null, s6, v1, 0
	v_add_co_u32 v40, vcc_lo, s10, v3
	v_add_co_ci_u32_e32 v41, vcc_lo, s11, v4, vcc_lo
	v_add_co_u32 v42, vcc_lo, s8, v5
	v_add_co_ci_u32_e32 v43, vcc_lo, s9, v6, vcc_lo
	v_add_co_u32 v1, vcc_lo, v9, 2
	v_add3_u32 v8, v8, v11, v12
	v_add_co_ci_u32_e32 v11, vcc_lo, 0, v10, vcc_lo
	v_add_co_u32 v44, vcc_lo, s10, v5
	v_add_co_ci_u32_e32 v45, vcc_lo, s11, v6, vcc_lo
	v_mul_lo_u32 v12, s7, v1
	s_delay_alu instid0(VALU_DEP_4)
	v_mul_lo_u32 v11, s6, v11
	v_mad_u64_u32 v[5:6], null, s6, v1, 0
	v_lshlrev_b64 v[3:4], 1, v[7:8]
	v_mul_lo_u32 v1, s7, v9
	v_mul_lo_u32 v10, s6, v10
	v_mad_u64_u32 v[7:8], null, s6, v9, 0
	s_lshl_b64 s[34:35], s[18:19], 1
	s_delay_alu instid0(VALU_DEP_4)
	v_add_co_u32 v46, vcc_lo, s8, v3
	v_add3_u32 v6, v6, v11, v12
	v_add_co_ci_u32_e32 v47, vcc_lo, s9, v4, vcc_lo
	v_add_co_u32 v48, vcc_lo, s10, v3
	v_add3_u32 v8, v8, v10, v1
	v_add_co_ci_u32_e32 v49, vcc_lo, s11, v4, vcc_lo
	v_lshlrev_b64 v[3:4], 1, v[5:6]
	v_add_co_u32 v5, vcc_lo, v7, s6
	s_delay_alu instid0(VALU_DEP_4) | instskip(SKIP_1) | instid1(VALU_DEP_3)
	v_add_co_ci_u32_e32 v6, vcc_lo, s7, v8, vcc_lo
	s_add_u32 s36, s12, 0x7f
	v_add_co_u32 v50, vcc_lo, s8, v3
	s_delay_alu instid0(VALU_DEP_2) | instskip(SKIP_3) | instid1(VALU_DEP_4)
	v_lshlrev_b64 v[5:6], 1, v[5:6]
	v_add_co_ci_u32_e32 v51, vcc_lo, s9, v4, vcc_lo
	v_add_co_u32 v52, vcc_lo, s10, v3
	v_add_co_ci_u32_e32 v53, vcc_lo, s11, v4, vcc_lo
	v_add_co_u32 v54, vcc_lo, s8, v5
	v_lshlrev_b64 v[3:4], 1, v[7:8]
	v_add_co_ci_u32_e32 v55, vcc_lo, s9, v6, vcc_lo
	v_add_co_u32 v56, vcc_lo, s10, v5
	v_add_co_ci_u32_e32 v57, vcc_lo, s11, v6, vcc_lo
	s_delay_alu instid0(VALU_DEP_4)
	v_add_co_u32 v58, vcc_lo, s8, v3
	v_add_co_ci_u32_e32 v60, vcc_lo, s9, v4, vcc_lo
	v_add_co_u32 v61, vcc_lo, s10, v3
	v_add_co_ci_u32_e32 v62, vcc_lo, s11, v4, vcc_lo
	s_addc_u32 s37, 0, 0
.LBB80_3:                               ; =>This Inner Loop Header: Depth=1
	s_delay_alu instid0(SALU_CYCLE_1) | instskip(SKIP_1) | instid1(VALU_DEP_1)
	v_cmp_ge_i64_e64 s3, s[36:37], s[4:5]
	v_add_co_u32 v64, s17, v28, s36
	v_add_co_ci_u32_e64 v65, null, 0, s37, s17
	s_delay_alu instid0(VALU_DEP_3)
	s_and_b32 vcc_lo, exec_lo, s3
	s_cbranch_vccz .LBB80_25
; %bb.4:                                ;   in Loop: Header=BB80_3 Depth=1
	s_load_b32 s3, s[30:31], 0xc
	v_dual_mov_b32 v67, 0 :: v_dual_mov_b32 v66, 0
	s_waitcnt lgkmcnt(0)
	s_and_b32 s3, s3, 0xffff
	s_delay_alu instid0(SALU_CYCLE_1) | instskip(SKIP_1) | instid1(VALU_DEP_1)
	v_mad_u32_u24 v1, v27, s3, v29
	s_mov_b32 s3, exec_lo
	v_and_b32_e32 v1, 31, v1
	s_delay_alu instid0(VALU_DEP_1)
	v_cmpx_gt_u32_e32 8, v1
	s_cbranch_execz .LBB80_8
; %bb.5:                                ;   in Loop: Header=BB80_3 Depth=1
	v_add_co_u32 v1, vcc_lo, v64, v1
	v_add_co_ci_u32_e32 v4, vcc_lo, 0, v65, vcc_lo
	v_dual_mov_b32 v66, 0 :: v_dual_mov_b32 v67, 0
	s_delay_alu instid0(VALU_DEP_3) | instskip(NEXT) | instid1(VALU_DEP_3)
	v_add_co_u32 v3, vcc_lo, 0xffffff81, v1
	v_add_co_ci_u32_e32 v4, vcc_lo, -1, v4, vcc_lo
	s_mov_b32 s17, exec_lo
	s_delay_alu instid0(VALU_DEP_1)
	v_cmpx_gt_i64_e64 s[4:5], v[3:4]
	s_cbranch_execz .LBB80_7
; %bb.6:                                ;   in Loop: Header=BB80_3 Depth=1
	v_lshlrev_b64 v[3:4], 2, v[3:4]
	s_delay_alu instid0(VALU_DEP_1) | instskip(NEXT) | instid1(VALU_DEP_2)
	v_add_co_u32 v5, vcc_lo, s24, v3
	v_add_co_ci_u32_e32 v6, vcc_lo, s25, v4, vcc_lo
	v_add_co_u32 v3, vcc_lo, s26, v3
	v_add_co_ci_u32_e32 v4, vcc_lo, s27, v4, vcc_lo
	global_load_b32 v66, v[5:6], off
	global_load_b32 v67, v[3:4], off
.LBB80_7:                               ;   in Loop: Header=BB80_3 Depth=1
	s_or_b32 exec_lo, exec_lo, s17
.LBB80_8:                               ;   in Loop: Header=BB80_3 Depth=1
	s_delay_alu instid0(SALU_CYCLE_1)
	s_or_b32 exec_lo, exec_lo, s3
	v_add_co_u32 v3, vcc_lo, 0xffffff81, v64
	v_add_co_ci_u32_e32 v4, vcc_lo, -1, v65, vcc_lo
	s_mov_b32 s22, s16
	s_mov_b32 s23, s16
	;; [unrolled: 1-line block ×7, first 2 shown]
	v_dual_mov_b32 v9, s16 :: v_dual_mov_b32 v10, s17
	v_dual_mov_b32 v15, s22 :: v_dual_mov_b32 v16, s23
	;; [unrolled: 1-line block ×4, first 2 shown]
	v_cmp_gt_i64_e32 vcc_lo, s[4:5], v[3:4]
	s_delay_alu instid0(VALU_DEP_4) | instskip(NEXT) | instid1(VALU_DEP_3)
	v_dual_mov_b32 v24, v16 :: v_dual_mov_b32 v23, v15
	v_dual_mov_b32 v21, v13 :: v_dual_mov_b32 v22, v14
	v_dual_mov_b32 v20, v12 :: v_dual_mov_b32 v19, v11
	v_dual_mov_b32 v18, v10 :: v_dual_mov_b32 v17, v9
	s_and_b32 s17, s2, vcc_lo
	s_delay_alu instid0(SALU_CYCLE_1)
	s_and_saveexec_b32 s3, s17
	s_cbranch_execz .LBB80_10
; %bb.9:                                ;   in Loop: Header=BB80_3 Depth=1
	v_add_co_u32 v3, vcc_lo, v58, v25
	v_add_co_ci_u32_e32 v4, vcc_lo, v60, v26, vcc_lo
	v_add_co_u32 v5, vcc_lo, v61, v25
	v_add_co_ci_u32_e32 v6, vcc_lo, v62, v26, vcc_lo
	v_mov_b32_e32 v8, v2
	global_load_u16 v1, v[3:4], off
	global_load_u16 v9, v[5:6], off
	v_mov_b32_e32 v3, v2
	v_mov_b32_e32 v4, v2
	;; [unrolled: 1-line block ×6, first 2 shown]
	s_waitcnt vmcnt(1)
	v_cvt_f32_f16_e32 v1, v1
	v_dual_mov_b32 v11, v2 :: v_dual_mov_b32 v24, v8
	v_dual_mov_b32 v10, v2 :: v_dual_mov_b32 v23, v7
	s_waitcnt vmcnt(0)
	v_cvt_f32_f16_e32 v9, v9
	v_dual_mov_b32 v12, v2 :: v_dual_mov_b32 v21, v5
	v_dual_mov_b32 v13, v2 :: v_dual_mov_b32 v20, v4
	;; [unrolled: 1-line block ×4, first 2 shown]
	v_mov_b32_e32 v22, v6
	v_mov_b32_e32 v18, v2
.LBB80_10:                              ;   in Loop: Header=BB80_3 Depth=1
	s_or_b32 exec_lo, exec_lo, s3
	v_add_co_u32 v3, vcc_lo, 0xffffff82, v64
	v_add_co_ci_u32_e32 v4, vcc_lo, -1, v65, vcc_lo
	s_delay_alu instid0(VALU_DEP_1) | instskip(SKIP_1) | instid1(SALU_CYCLE_1)
	v_cmp_gt_i64_e32 vcc_lo, s[4:5], v[3:4]
	s_and_b32 s17, s2, vcc_lo
	s_and_saveexec_b32 s3, s17
	s_cbranch_execz .LBB80_12
; %bb.11:                               ;   in Loop: Header=BB80_3 Depth=1
	v_add_co_u32 v3, vcc_lo, v54, v25
	v_add_co_ci_u32_e32 v4, vcc_lo, v55, v26, vcc_lo
	v_add_co_u32 v5, vcc_lo, v56, v25
	v_add_co_ci_u32_e32 v6, vcc_lo, v57, v26, vcc_lo
	global_load_u16 v1, v[3:4], off
	global_load_u16 v3, v[5:6], off
	s_waitcnt vmcnt(1)
	v_cvt_f32_f16_e32 v18, v1
	s_waitcnt vmcnt(0)
	v_cvt_f32_f16_e32 v10, v3
.LBB80_12:                              ;   in Loop: Header=BB80_3 Depth=1
	s_or_b32 exec_lo, exec_lo, s3
	v_add_co_u32 v3, vcc_lo, 0xffffff83, v64
	v_add_co_ci_u32_e32 v4, vcc_lo, -1, v65, vcc_lo
	s_delay_alu instid0(VALU_DEP_1) | instskip(SKIP_1) | instid1(SALU_CYCLE_1)
	v_cmp_gt_i64_e32 vcc_lo, s[4:5], v[3:4]
	s_and_b32 s17, s2, vcc_lo
	s_and_saveexec_b32 s3, s17
	s_cbranch_execz .LBB80_14
; %bb.13:                               ;   in Loop: Header=BB80_3 Depth=1
	v_add_co_u32 v3, vcc_lo, v50, v25
	v_add_co_ci_u32_e32 v4, vcc_lo, v51, v26, vcc_lo
	v_add_co_u32 v5, vcc_lo, v52, v25
	v_add_co_ci_u32_e32 v6, vcc_lo, v53, v26, vcc_lo
	global_load_u16 v1, v[3:4], off
	global_load_u16 v3, v[5:6], off
	s_waitcnt vmcnt(1)
	v_cvt_f32_f16_e32 v19, v1
	s_waitcnt vmcnt(0)
	v_cvt_f32_f16_e32 v11, v3
.LBB80_14:                              ;   in Loop: Header=BB80_3 Depth=1
	;; [unrolled: 20-line block ×7, first 2 shown]
	s_or_b32 exec_lo, exec_lo, s3
	s_waitcnt vmcnt(1)
	ds_bpermute_b32 v1, v2, v66
	ds_bpermute_b32 v3, v2, v66 offset:4
	ds_bpermute_b32 v4, v2, v66 offset:8
	;; [unrolled: 1-line block ×3, first 2 shown]
	s_waitcnt vmcnt(0)
	ds_bpermute_b32 v5, v2, v67
	ds_bpermute_b32 v7, v2, v67 offset:4
	ds_bpermute_b32 v8, v2, v66 offset:16
	;; [unrolled: 1-line block ×5, first 2 shown]
	s_waitcnt lgkmcnt(9)
	v_sub_f32_e32 v1, v9, v1
	v_add_f32_e32 v9, v59, v17
	s_waitcnt lgkmcnt(7)
	v_sub_f32_e32 v4, v11, v4
	s_waitcnt lgkmcnt(6)
	v_dual_sub_f32 v6, v12, v6 :: v_dual_sub_f32 v3, v10, v3
	v_mul_f32_e32 v1, v17, v1
	ds_bpermute_b32 v10, v2, v67 offset:16
	ds_bpermute_b32 v17, v2, v66 offset:24
	v_mul_f32_e32 v6, v20, v6
	v_dual_mul_f32 v4, v19, v4 :: v_dual_mul_f32 v3, v18, v3
	s_waitcnt lgkmcnt(5)
	v_sub_f32_e32 v8, v13, v8
	v_fma_f32 v1, v1, v5, v63
	ds_bpermute_b32 v5, v2, v67 offset:20
	ds_bpermute_b32 v11, v2, v67 offset:24
	v_dual_mul_f32 v8, v21, v8 :: v_dual_fmac_f32 v1, v3, v7
	v_add_f32_e32 v7, v18, v9
	ds_bpermute_b32 v3, v2, v67 offset:28
	s_waitcnt lgkmcnt(7)
	v_fmac_f32_e32 v1, v4, v68
	v_add_f32_e32 v7, v19, v7
	ds_bpermute_b32 v4, v2, v66 offset:28
	s_waitcnt lgkmcnt(6)
	v_sub_f32_e32 v9, v14, v70
	v_dual_fmac_f32 v1, v6, v69 :: v_dual_add_f32 v6, v20, v7
	s_waitcnt lgkmcnt(4)
	v_sub_f32_e32 v7, v15, v17
	s_delay_alu instid0(VALU_DEP_3) | instskip(NEXT) | instid1(VALU_DEP_3)
	v_mul_f32_e32 v9, v22, v9
	v_fmac_f32_e32 v1, v8, v10
	s_delay_alu instid0(VALU_DEP_3) | instskip(SKIP_1) | instid1(VALU_DEP_2)
	v_dual_add_f32 v6, v21, v6 :: v_dual_mul_f32 v7, v23, v7
	s_waitcnt lgkmcnt(3)
	v_fmac_f32_e32 v1, v9, v5
	s_delay_alu instid0(VALU_DEP_2) | instskip(SKIP_1) | instid1(VALU_DEP_2)
	v_add_f32_e32 v5, v22, v6
	s_waitcnt lgkmcnt(2)
	v_fmac_f32_e32 v1, v7, v11
	s_delay_alu instid0(VALU_DEP_2)
	v_add_f32_e32 v5, v23, v5
	s_branch .LBB80_40
.LBB80_25:                              ;   in Loop: Header=BB80_3 Depth=1
                                        ; implicit-def: $vgpr3
                                        ; implicit-def: $vgpr9_vgpr10_vgpr11_vgpr12_vgpr13_vgpr14_vgpr15_vgpr16
                                        ; implicit-def: $vgpr17_vgpr18_vgpr19_vgpr20_vgpr21_vgpr22_vgpr23_vgpr24
                                        ; implicit-def: $vgpr4
                                        ; implicit-def: $vgpr1
                                        ; implicit-def: $vgpr5
	s_cbranch_execz .LBB80_40
; %bb.26:                               ;   in Loop: Header=BB80_3 Depth=1
	s_load_b32 s3, s[30:31], 0x0
	v_dual_mov_b32 v67, 0 :: v_dual_mov_b32 v66, 0
	s_waitcnt lgkmcnt(0)
	s_cmp_lt_u32 s14, s3
	s_cselect_b32 s3, 12, 18
	s_delay_alu instid0(SALU_CYCLE_1)
	s_add_u32 s18, s30, s3
	s_addc_u32 s19, s31, 0
	s_mov_b32 s3, exec_lo
	global_load_u16 v1, v2, s[18:19]
	s_waitcnt vmcnt(0)
	v_mad_u32_u24 v1, v27, v1, v29
	s_delay_alu instid0(VALU_DEP_1) | instskip(NEXT) | instid1(VALU_DEP_1)
	v_and_b32_e32 v1, 31, v1
	v_cmpx_gt_u32_e32 8, v1
	s_cbranch_execz .LBB80_30
; %bb.27:                               ;   in Loop: Header=BB80_3 Depth=1
	v_add_co_u32 v1, vcc_lo, v64, v1
	v_add_co_ci_u32_e32 v4, vcc_lo, 0, v65, vcc_lo
	v_dual_mov_b32 v66, 0 :: v_dual_mov_b32 v67, 0
	s_delay_alu instid0(VALU_DEP_3) | instskip(NEXT) | instid1(VALU_DEP_3)
	v_add_co_u32 v3, vcc_lo, 0xffffff81, v1
	v_add_co_ci_u32_e32 v4, vcc_lo, -1, v4, vcc_lo
	s_mov_b32 s17, exec_lo
	s_delay_alu instid0(VALU_DEP_1)
	v_cmpx_gt_i64_e64 s[4:5], v[3:4]
	s_cbranch_execz .LBB80_29
; %bb.28:                               ;   in Loop: Header=BB80_3 Depth=1
	v_lshlrev_b64 v[3:4], 2, v[3:4]
	s_delay_alu instid0(VALU_DEP_1) | instskip(NEXT) | instid1(VALU_DEP_2)
	v_add_co_u32 v5, vcc_lo, s24, v3
	v_add_co_ci_u32_e32 v6, vcc_lo, s25, v4, vcc_lo
	v_add_co_u32 v3, vcc_lo, s26, v3
	v_add_co_ci_u32_e32 v4, vcc_lo, s27, v4, vcc_lo
	global_load_b32 v66, v[5:6], off
	global_load_b32 v67, v[3:4], off
.LBB80_29:                              ;   in Loop: Header=BB80_3 Depth=1
	s_or_b32 exec_lo, exec_lo, s17
.LBB80_30:                              ;   in Loop: Header=BB80_3 Depth=1
	s_delay_alu instid0(SALU_CYCLE_1)
	s_or_b32 exec_lo, exec_lo, s3
	s_mov_b32 s22, s16
	s_mov_b32 s23, s16
	;; [unrolled: 1-line block ×7, first 2 shown]
	v_dual_mov_b32 v9, s16 :: v_dual_mov_b32 v10, s17
	v_dual_mov_b32 v15, s22 :: v_dual_mov_b32 v16, s23
	;; [unrolled: 1-line block ×4, first 2 shown]
	s_delay_alu instid0(VALU_DEP_3) | instskip(NEXT) | instid1(VALU_DEP_3)
	v_dual_mov_b32 v24, v16 :: v_dual_mov_b32 v23, v15
	v_dual_mov_b32 v20, v12 :: v_dual_mov_b32 v19, v11
	s_delay_alu instid0(VALU_DEP_3)
	v_dual_mov_b32 v22, v14 :: v_dual_mov_b32 v21, v13
	v_dual_mov_b32 v18, v10 :: v_dual_mov_b32 v17, v9
	s_and_saveexec_b32 s3, s2
	s_cbranch_execnz .LBB80_42
; %bb.31:                               ;   in Loop: Header=BB80_3 Depth=1
	s_or_b32 exec_lo, exec_lo, s3
	s_and_saveexec_b32 s3, s2
	s_cbranch_execnz .LBB80_43
.LBB80_32:                              ;   in Loop: Header=BB80_3 Depth=1
	s_or_b32 exec_lo, exec_lo, s3
	s_and_saveexec_b32 s3, s2
	s_cbranch_execnz .LBB80_44
.LBB80_33:                              ;   in Loop: Header=BB80_3 Depth=1
	s_or_b32 exec_lo, exec_lo, s3
	s_and_saveexec_b32 s3, s2
	s_cbranch_execnz .LBB80_45
.LBB80_34:                              ;   in Loop: Header=BB80_3 Depth=1
	s_or_b32 exec_lo, exec_lo, s3
	s_and_saveexec_b32 s3, s2
	s_cbranch_execnz .LBB80_46
.LBB80_35:                              ;   in Loop: Header=BB80_3 Depth=1
	s_or_b32 exec_lo, exec_lo, s3
	s_and_saveexec_b32 s3, s2
	s_cbranch_execnz .LBB80_47
.LBB80_36:                              ;   in Loop: Header=BB80_3 Depth=1
	s_or_b32 exec_lo, exec_lo, s3
	s_and_saveexec_b32 s3, s2
	s_cbranch_execnz .LBB80_48
.LBB80_37:                              ;   in Loop: Header=BB80_3 Depth=1
	s_or_b32 exec_lo, exec_lo, s3
	s_and_saveexec_b32 s3, s2
	s_cbranch_execz .LBB80_39
.LBB80_38:                              ;   in Loop: Header=BB80_3 Depth=1
	v_add_co_u32 v3, vcc_lo, v30, v25
	v_add_co_ci_u32_e32 v4, vcc_lo, v31, v26, vcc_lo
	v_add_co_u32 v5, vcc_lo, v32, v25
	v_add_co_ci_u32_e32 v6, vcc_lo, v33, v26, vcc_lo
	global_load_u16 v1, v[3:4], off
	global_load_u16 v3, v[5:6], off
	s_waitcnt vmcnt(1)
	v_cvt_f32_f16_e32 v24, v1
	s_waitcnt vmcnt(0)
	v_cvt_f32_f16_e32 v16, v3
.LBB80_39:                              ;   in Loop: Header=BB80_3 Depth=1
	s_or_b32 exec_lo, exec_lo, s3
	s_waitcnt vmcnt(1)
	ds_bpermute_b32 v1, v2, v66
	ds_bpermute_b32 v3, v2, v66 offset:4
	ds_bpermute_b32 v4, v2, v66 offset:8
	s_waitcnt vmcnt(0)
	ds_bpermute_b32 v5, v2, v67
	ds_bpermute_b32 v6, v2, v66 offset:12
	ds_bpermute_b32 v7, v2, v67 offset:4
	ds_bpermute_b32 v8, v2, v66 offset:16
	ds_bpermute_b32 v64, v2, v67 offset:8
	ds_bpermute_b32 v65, v2, v66 offset:20
	s_waitcnt lgkmcnt(8)
	v_sub_f32_e32 v1, v9, v1
	ds_bpermute_b32 v9, v2, v67 offset:12
	s_waitcnt lgkmcnt(7)
	v_dual_sub_f32 v4, v11, v4 :: v_dual_sub_f32 v3, v10, v3
	v_add_f32_e32 v10, v59, v17
	s_waitcnt lgkmcnt(5)
	v_dual_mul_f32 v1, v17, v1 :: v_dual_sub_f32 v6, v12, v6
	ds_bpermute_b32 v17, v2, v67 offset:16
	v_dual_mul_f32 v3, v18, v3 :: v_dual_mul_f32 v4, v19, v4
	v_dual_fmac_f32 v63, v1, v5 :: v_dual_mul_f32 v6, v20, v6
	ds_bpermute_b32 v1, v2, v66 offset:24
	ds_bpermute_b32 v5, v2, v67 offset:20
	s_waitcnt lgkmcnt(4)
	v_sub_f32_e32 v11, v14, v65
	v_fmac_f32_e32 v63, v3, v7
	v_add_f32_e32 v3, v18, v10
	v_sub_f32_e32 v7, v13, v8
	ds_bpermute_b32 v8, v2, v67 offset:24
	v_dual_fmac_f32 v63, v4, v64 :: v_dual_add_f32 v10, v19, v3
	v_mul_f32_e32 v7, v21, v7
	ds_bpermute_b32 v3, v2, v67 offset:28
	ds_bpermute_b32 v4, v2, v66 offset:28
	s_waitcnt lgkmcnt(6)
	v_dual_fmac_f32 v63, v6, v9 :: v_dual_add_f32 v6, v20, v10
	v_mul_f32_e32 v9, v22, v11
	s_waitcnt lgkmcnt(5)
	s_delay_alu instid0(VALU_DEP_2) | instskip(SKIP_3) | instid1(VALU_DEP_2)
	v_dual_fmac_f32 v63, v7, v17 :: v_dual_add_f32 v6, v21, v6
	s_waitcnt lgkmcnt(4)
	v_sub_f32_e32 v1, v15, v1
	s_waitcnt lgkmcnt(3)
	v_fmac_f32_e32 v63, v9, v5
	v_add_f32_e32 v5, v22, v6
	s_delay_alu instid0(VALU_DEP_3) | instskip(NEXT) | instid1(VALU_DEP_2)
	v_mul_f32_e32 v1, v23, v1
	v_add_f32_e32 v5, v23, v5
	s_waitcnt lgkmcnt(2)
	s_delay_alu instid0(VALU_DEP_2) | instskip(NEXT) | instid1(VALU_DEP_1)
	v_fmac_f32_e32 v63, v1, v8
	v_mov_b32_e32 v1, v63
.LBB80_40:                              ;   in Loop: Header=BB80_3 Depth=1
	v_add_co_u32 v30, vcc_lo, v30, s34
	v_add_co_ci_u32_e32 v31, vcc_lo, s35, v31, vcc_lo
	v_add_co_u32 v32, vcc_lo, v32, s34
	v_add_co_ci_u32_e32 v33, vcc_lo, s35, v33, vcc_lo
	;; [unrolled: 2-line block ×12, first 2 shown]
	v_add_co_u32 v54, vcc_lo, v54, s34
	s_waitcnt lgkmcnt(0)
	v_sub_f32_e32 v4, v16, v4
	v_add_co_ci_u32_e32 v55, vcc_lo, s35, v55, vcc_lo
	v_add_co_u32 v56, vcc_lo, v56, s34
	s_add_u32 s38, s38, s28
	v_add_co_ci_u32_e32 v57, vcc_lo, s35, v57, vcc_lo
	v_mul_f32_e32 v4, v24, v4
	s_addc_u32 s39, s39, 0
	v_add_co_u32 v58, vcc_lo, v58, s34
	v_cmp_lt_i64_e64 s3, s[38:39], s[4:5]
	v_add_co_ci_u32_e32 v60, vcc_lo, s35, v60, vcc_lo
	v_add_co_u32 v61, vcc_lo, v61, s34
	v_add_f32_e32 v59, v5, v24
	v_fmac_f32_e32 v1, v4, v3
	v_add_co_ci_u32_e32 v62, vcc_lo, s35, v62, vcc_lo
	s_add_u32 s36, s36, s28
	s_addc_u32 s37, s37, 0
	s_and_b32 vcc_lo, exec_lo, s3
	s_cbranch_vccz .LBB80_50
; %bb.41:                               ;   in Loop: Header=BB80_3 Depth=1
	v_mov_b32_e32 v63, v1
	s_branch .LBB80_3
.LBB80_42:                              ;   in Loop: Header=BB80_3 Depth=1
	v_add_co_u32 v3, vcc_lo, v58, v25
	v_add_co_ci_u32_e32 v4, vcc_lo, v60, v26, vcc_lo
	v_add_co_u32 v5, vcc_lo, v61, v25
	v_add_co_ci_u32_e32 v6, vcc_lo, v62, v26, vcc_lo
	v_mov_b32_e32 v8, v2
	global_load_u16 v1, v[3:4], off
	global_load_u16 v9, v[5:6], off
	v_mov_b32_e32 v3, v2
	v_mov_b32_e32 v4, v2
	v_mov_b32_e32 v5, v2
	v_mov_b32_e32 v6, v2
	v_mov_b32_e32 v7, v2
	v_mov_b32_e32 v15, v2
	s_waitcnt vmcnt(1)
	v_cvt_f32_f16_e32 v1, v1
	v_dual_mov_b32 v11, v2 :: v_dual_mov_b32 v24, v8
	v_dual_mov_b32 v10, v2 :: v_dual_mov_b32 v23, v7
	s_waitcnt vmcnt(0)
	v_cvt_f32_f16_e32 v9, v9
	v_dual_mov_b32 v12, v2 :: v_dual_mov_b32 v21, v5
	v_dual_mov_b32 v13, v2 :: v_dual_mov_b32 v20, v4
	;; [unrolled: 1-line block ×4, first 2 shown]
	v_mov_b32_e32 v22, v6
	v_mov_b32_e32 v18, v2
	s_or_b32 exec_lo, exec_lo, s3
	s_and_saveexec_b32 s3, s2
	s_cbranch_execz .LBB80_32
.LBB80_43:                              ;   in Loop: Header=BB80_3 Depth=1
	v_add_co_u32 v3, vcc_lo, v54, v25
	v_add_co_ci_u32_e32 v4, vcc_lo, v55, v26, vcc_lo
	v_add_co_u32 v5, vcc_lo, v56, v25
	v_add_co_ci_u32_e32 v6, vcc_lo, v57, v26, vcc_lo
	global_load_u16 v1, v[3:4], off
	global_load_u16 v3, v[5:6], off
	s_waitcnt vmcnt(1)
	v_cvt_f32_f16_e32 v18, v1
	s_waitcnt vmcnt(0)
	v_cvt_f32_f16_e32 v10, v3
	s_or_b32 exec_lo, exec_lo, s3
	s_and_saveexec_b32 s3, s2
	s_cbranch_execz .LBB80_33
.LBB80_44:                              ;   in Loop: Header=BB80_3 Depth=1
	v_add_co_u32 v3, vcc_lo, v50, v25
	v_add_co_ci_u32_e32 v4, vcc_lo, v51, v26, vcc_lo
	v_add_co_u32 v5, vcc_lo, v52, v25
	v_add_co_ci_u32_e32 v6, vcc_lo, v53, v26, vcc_lo
	global_load_u16 v1, v[3:4], off
	global_load_u16 v3, v[5:6], off
	s_waitcnt vmcnt(1)
	v_cvt_f32_f16_e32 v19, v1
	s_waitcnt vmcnt(0)
	v_cvt_f32_f16_e32 v11, v3
	s_or_b32 exec_lo, exec_lo, s3
	s_and_saveexec_b32 s3, s2
	s_cbranch_execz .LBB80_34
.LBB80_45:                              ;   in Loop: Header=BB80_3 Depth=1
	v_add_co_u32 v3, vcc_lo, v46, v25
	v_add_co_ci_u32_e32 v4, vcc_lo, v47, v26, vcc_lo
	v_add_co_u32 v5, vcc_lo, v48, v25
	v_add_co_ci_u32_e32 v6, vcc_lo, v49, v26, vcc_lo
	global_load_u16 v1, v[3:4], off
	global_load_u16 v3, v[5:6], off
	s_waitcnt vmcnt(1)
	v_cvt_f32_f16_e32 v20, v1
	s_waitcnt vmcnt(0)
	v_cvt_f32_f16_e32 v12, v3
	s_or_b32 exec_lo, exec_lo, s3
	s_and_saveexec_b32 s3, s2
	s_cbranch_execz .LBB80_35
.LBB80_46:                              ;   in Loop: Header=BB80_3 Depth=1
	v_add_co_u32 v3, vcc_lo, v42, v25
	v_add_co_ci_u32_e32 v4, vcc_lo, v43, v26, vcc_lo
	v_add_co_u32 v5, vcc_lo, v44, v25
	v_add_co_ci_u32_e32 v6, vcc_lo, v45, v26, vcc_lo
	global_load_u16 v1, v[3:4], off
	global_load_u16 v3, v[5:6], off
	s_waitcnt vmcnt(1)
	v_cvt_f32_f16_e32 v21, v1
	s_waitcnt vmcnt(0)
	v_cvt_f32_f16_e32 v13, v3
	s_or_b32 exec_lo, exec_lo, s3
	s_and_saveexec_b32 s3, s2
	s_cbranch_execz .LBB80_36
.LBB80_47:                              ;   in Loop: Header=BB80_3 Depth=1
	v_add_co_u32 v3, vcc_lo, v38, v25
	v_add_co_ci_u32_e32 v4, vcc_lo, v39, v26, vcc_lo
	v_add_co_u32 v5, vcc_lo, v40, v25
	v_add_co_ci_u32_e32 v6, vcc_lo, v41, v26, vcc_lo
	global_load_u16 v1, v[3:4], off
	global_load_u16 v3, v[5:6], off
	s_waitcnt vmcnt(1)
	v_cvt_f32_f16_e32 v22, v1
	s_waitcnt vmcnt(0)
	v_cvt_f32_f16_e32 v14, v3
	s_or_b32 exec_lo, exec_lo, s3
	s_and_saveexec_b32 s3, s2
	s_cbranch_execz .LBB80_37
.LBB80_48:                              ;   in Loop: Header=BB80_3 Depth=1
	v_add_co_u32 v3, vcc_lo, v34, v25
	v_add_co_ci_u32_e32 v4, vcc_lo, v35, v26, vcc_lo
	v_add_co_u32 v5, vcc_lo, v36, v25
	v_add_co_ci_u32_e32 v6, vcc_lo, v37, v26, vcc_lo
	global_load_u16 v1, v[3:4], off
	global_load_u16 v3, v[5:6], off
	s_waitcnt vmcnt(1)
	v_cvt_f32_f16_e32 v23, v1
	s_waitcnt vmcnt(0)
	v_cvt_f32_f16_e32 v15, v3
	s_or_b32 exec_lo, exec_lo, s3
	s_and_saveexec_b32 s3, s2
	s_cbranch_execnz .LBB80_38
	s_branch .LBB80_39
.LBB80_49:
	s_mov_b32 s29, -1
                                        ; implicit-def: $vgpr1
                                        ; implicit-def: $vgpr59
.LBB80_50:
	s_delay_alu instid0(SALU_CYCLE_1)
	s_and_not1_b32 vcc_lo, exec_lo, s29
	s_cbranch_vccnz .LBB80_83
; %bb.51:
	v_mov_b32_e32 v1, 0
	v_mov_b32_e32 v59, 0
	s_and_not1_b32 vcc_lo, exec_lo, s15
	s_mov_b32 s16, 0
	s_cbranch_vccnz .LBB80_83
; %bb.52:
	s_load_b32 s2, s[0:1], 0x44
	v_dual_mov_b32 v2, 0 :: v_dual_and_b32 v55, 0x3ff, v0
	v_bfe_u32 v56, v0, 10, 10
	s_add_u32 s28, s0, 64
	s_addc_u32 s29, s1, 0
	s_delay_alu instid0(VALU_DEP_2) | instskip(NEXT) | instid1(VALU_DEP_2)
	v_dual_mov_b32 v92, 0 :: v_dual_add_nc_u32 v1, s33, v55
	v_lshlrev_b32_e32 v3, 4, v56
	v_lshlrev_b32_e32 v57, 3, v56
	v_mov_b32_e32 v91, 0
	s_delay_alu instid0(VALU_DEP_4)
	v_lshlrev_b64 v[25:26], 1, v[1:2]
	s_waitcnt lgkmcnt(0)
	s_lshl_b32 s15, s2, 7
	s_add_u32 s30, s12, 0x7f
	s_addc_u32 s31, 0, 0
	s_lshl_b64 s[2:3], s[12:13], 1
	s_mul_i32 s17, s7, s15
	v_add_co_u32 v1, s2, v3, s2
	s_delay_alu instid0(VALU_DEP_1) | instskip(SKIP_1) | instid1(VALU_DEP_3)
	v_add_co_ci_u32_e64 v3, null, 0, s3, s2
	v_add_co_u32 v59, s3, v57, s12
	v_add_co_u32 v7, vcc_lo, v1, 2
	s_delay_alu instid0(VALU_DEP_3) | instskip(SKIP_3) | instid1(VALU_DEP_4)
	v_add_co_ci_u32_e32 v4, vcc_lo, 0, v3, vcc_lo
	v_add_co_u32 v8, vcc_lo, v1, 4
	v_add_co_ci_u32_e32 v5, vcc_lo, 0, v3, vcc_lo
	v_add_co_u32 v11, vcc_lo, v1, 6
	v_mul_lo_u32 v9, s6, v4
	v_add_co_ci_u32_e32 v4, vcc_lo, 0, v3, vcc_lo
	v_add_co_u32 v14, vcc_lo, v1, 8
	v_mul_lo_u32 v12, s6, v5
	;; [unrolled: 3-line block ×4, first 2 shown]
	v_add_co_ci_u32_e32 v5, vcc_lo, 0, v3, vcc_lo
	v_add_co_ci_u32_e64 v75, null, 0, 0, s3
	v_add_co_u32 v1, vcc_lo, v1, 14
	v_mul_lo_u32 v21, s6, v4
	s_delay_alu instid0(VALU_DEP_4) | instskip(SKIP_4) | instid1(VALU_DEP_4)
	v_mul_lo_u32 v23, s6, v5
	v_add_co_ci_u32_e32 v5, vcc_lo, 0, v3, vcc_lo
	v_mul_lo_u32 v6, s7, v59
	v_mul_lo_u32 v41, s6, v75
	v_mad_u64_u32 v[3:4], null, s6, v59, 0
	v_mul_lo_u32 v61, s6, v5
	v_mad_u64_u32 v[27:28], null, s6, v7, s[8:9]
	;; [unrolled: 2-line block ×3, first 2 shown]
	v_add3_u32 v4, v4, v41, v6
	v_mad_u64_u32 v[41:42], null, s6, v7, s[10:11]
	v_mul_lo_u32 v13, s7, v8
	v_mad_u64_u32 v[43:44], null, s6, v8, s[10:11]
	s_delay_alu instid0(VALU_DEP_4)
	v_lshlrev_b64 v[5:6], 1, v[3:4]
	v_add3_u32 v28, v10, v28, v9
	v_mad_u64_u32 v[31:32], null, s6, v11, s[8:9]
	v_add3_u32 v42, v10, v42, v9
	v_add3_u32 v30, v13, v30, v12
	v_add_co_u32 v58, vcc_lo, s8, v5
	v_add_co_ci_u32_e32 v60, vcc_lo, s9, v6, vcc_lo
	v_add_co_u32 v9, vcc_lo, v59, 7
	v_add_co_ci_u32_e32 v7, vcc_lo, 0, v75, vcc_lo
	v_add3_u32 v44, v13, v44, v12
	v_add_co_u32 v12, vcc_lo, v59, 6
	v_mul_lo_u32 v16, s7, v11
	v_mad_u64_u32 v[39:40], null, s6, v1, s[8:9]
	v_mul_lo_u32 v62, s7, v1
	v_mad_u64_u32 v[45:46], null, s6, v11, s[10:11]
	v_mad_u64_u32 v[53:54], null, s6, v1, s[10:11]
	v_mul_lo_u32 v1, s7, v9
	v_mul_lo_u32 v11, s6, v7
	v_mad_u64_u32 v[7:8], null, s6, v9, 0
	v_add_co_ci_u32_e32 v10, vcc_lo, 0, v75, vcc_lo
	v_mad_u64_u32 v[33:34], null, s6, v14, s[8:9]
	v_mul_lo_u32 v19, s7, v14
	v_mad_u64_u32 v[47:48], null, s6, v14, s[10:11]
	v_mul_lo_u32 v13, s7, v12
	v_mul_lo_u32 v14, s6, v10
	v_mad_u64_u32 v[9:10], null, s6, v12, 0
	v_add3_u32 v8, v8, v11, v1
	v_add3_u32 v40, v62, v40, v61
	;; [unrolled: 1-line block ×3, first 2 shown]
	v_add_co_u32 v61, vcc_lo, s10, v5
	v_add_co_ci_u32_e32 v62, vcc_lo, s11, v6, vcc_lo
	v_lshlrev_b64 v[5:6], 1, v[7:8]
	v_add3_u32 v10, v10, v14, v13
	v_add_co_u32 v1, vcc_lo, v59, 5
	v_add_co_ci_u32_e32 v11, vcc_lo, 0, v75, vcc_lo
	s_delay_alu instid0(VALU_DEP_4) | instskip(NEXT) | instid1(VALU_DEP_4)
	v_add_co_u32 v63, vcc_lo, s8, v5
	v_lshlrev_b64 v[7:8], 1, v[9:10]
	v_add_co_ci_u32_e32 v64, vcc_lo, s9, v6, vcc_lo
	v_mul_lo_u32 v12, s7, v1
	v_mul_lo_u32 v11, s6, v11
	v_mad_u64_u32 v[9:10], null, s6, v1, 0
	v_add_co_u32 v65, vcc_lo, s10, v5
	v_add_co_ci_u32_e32 v66, vcc_lo, s11, v6, vcc_lo
	v_add_co_u32 v67, vcc_lo, s8, v7
	v_add_co_ci_u32_e32 v68, vcc_lo, s9, v8, vcc_lo
	s_mul_hi_u32 s2, s6, s15
	v_add_co_u32 v1, vcc_lo, v59, 4
	v_add3_u32 v10, v10, v11, v12
	s_add_i32 s3, s2, s17
	v_add_co_u32 v69, s2, s10, v7
	v_add_co_ci_u32_e32 v7, vcc_lo, 0, v75, vcc_lo
	v_add_co_u32 v12, vcc_lo, v59, 3
	v_lshlrev_b64 v[5:6], 1, v[9:10]
	v_add_co_ci_u32_e32 v9, vcc_lo, 0, v75, vcc_lo
	v_add_co_ci_u32_e64 v70, s2, s11, v8, s2
	v_mul_lo_u32 v11, s7, v1
	v_mul_lo_u32 v13, s6, v7
	v_mad_u64_u32 v[7:8], null, s6, v1, 0
	v_mul_lo_u32 v1, s7, v12
	v_mul_lo_u32 v14, s6, v9
	v_mad_u64_u32 v[9:10], null, s6, v12, 0
	v_add_co_u32 v71, vcc_lo, s8, v5
	v_add_co_ci_u32_e32 v72, vcc_lo, s9, v6, vcc_lo
	v_add3_u32 v8, v8, v13, v11
	v_add_co_u32 v73, vcc_lo, s10, v5
	v_add_co_ci_u32_e32 v74, vcc_lo, s11, v6, vcc_lo
	v_add3_u32 v10, v10, v14, v1
	v_add_co_u32 v1, vcc_lo, v59, 2
	v_lshlrev_b64 v[5:6], 1, v[7:8]
	v_add_co_ci_u32_e32 v11, vcc_lo, 0, v75, vcc_lo
	s_delay_alu instid0(VALU_DEP_4) | instskip(NEXT) | instid1(VALU_DEP_4)
	v_lshlrev_b64 v[7:8], 1, v[9:10]
	v_mul_lo_u32 v12, s7, v1
	v_mad_u64_u32 v[9:10], null, s6, v1, 0
	v_add_co_u32 v75, vcc_lo, s8, v5
	v_mul_lo_u32 v11, s6, v11
	v_add_co_ci_u32_e32 v76, vcc_lo, s9, v6, vcc_lo
	v_add_co_u32 v77, vcc_lo, s10, v5
	v_add_co_ci_u32_e32 v78, vcc_lo, s11, v6, vcc_lo
	v_add_co_u32 v79, vcc_lo, s8, v7
	v_add_co_ci_u32_e32 v80, vcc_lo, s9, v8, vcc_lo
	v_add3_u32 v10, v10, v11, v12
	v_add_co_u32 v81, vcc_lo, s10, v7
	v_add_co_ci_u32_e32 v82, vcc_lo, s11, v8, vcc_lo
	v_add_co_u32 v3, vcc_lo, v3, s6
	s_delay_alu instid0(VALU_DEP_4) | instskip(SKIP_3) | instid1(VALU_DEP_4)
	v_lshlrev_b64 v[5:6], 1, v[9:10]
	v_add_co_ci_u32_e32 v4, vcc_lo, s7, v4, vcc_lo
	v_mad_u64_u32 v[35:36], null, s6, v18, s[8:9]
	v_mul_lo_u32 v22, s7, v18
	v_add_co_u32 v83, vcc_lo, s8, v5
	s_delay_alu instid0(VALU_DEP_4)
	v_lshlrev_b64 v[3:4], 1, v[3:4]
	v_add_co_ci_u32_e32 v84, vcc_lo, s9, v6, vcc_lo
	v_mad_u64_u32 v[37:38], null, s6, v20, s[8:9]
	v_mul_lo_u32 v24, s7, v20
	v_mad_u64_u32 v[49:50], null, s6, v18, s[10:11]
	v_mad_u64_u32 v[51:52], null, s6, v20, s[10:11]
	v_add_co_u32 v85, vcc_lo, s10, v5
	v_add_co_ci_u32_e32 v86, vcc_lo, s11, v6, vcc_lo
	v_add_co_u32 v87, vcc_lo, s8, v3
	v_add_co_ci_u32_e32 v88, vcc_lo, s9, v4, vcc_lo
	v_add_co_u32 v89, vcc_lo, s10, v3
	v_add3_u32 v32, v16, v32, v15
	v_add3_u32 v34, v19, v34, v17
	;; [unrolled: 1-line block ×8, first 2 shown]
	v_add_co_ci_u32_e32 v90, vcc_lo, s11, v4, vcc_lo
	s_mul_i32 s2, s6, s15
	s_delay_alu instid0(SALU_CYCLE_1)
	s_lshl_b64 s[2:3], s[2:3], 1
.LBB80_53:                              ; =>This Inner Loop Header: Depth=1
	v_cmp_ge_i64_e64 s8, s[30:31], s[4:5]
	v_add_co_u32 v93, s9, v57, s30
	s_delay_alu instid0(VALU_DEP_1) | instskip(NEXT) | instid1(VALU_DEP_3)
	v_add_co_ci_u32_e64 v94, null, 0, s31, s9
	s_and_b32 vcc_lo, exec_lo, s8
	s_cbranch_vccz .LBB80_75
; %bb.54:                               ;   in Loop: Header=BB80_53 Depth=1
	s_load_b32 s8, s[28:29], 0xc
	v_mov_b32_e32 v95, 0
	v_mov_b32_e32 v59, 0
	s_waitcnt lgkmcnt(0)
	s_and_b32 s8, s8, 0xffff
	s_delay_alu instid0(SALU_CYCLE_1) | instskip(SKIP_1) | instid1(VALU_DEP_1)
	v_mad_u32_u24 v1, v56, s8, v55
	s_mov_b32 s8, exec_lo
	v_and_b32_e32 v1, 31, v1
	s_delay_alu instid0(VALU_DEP_1)
	v_cmpx_gt_u32_e32 8, v1
	s_cbranch_execz .LBB80_58
; %bb.55:                               ;   in Loop: Header=BB80_53 Depth=1
	v_add_co_u32 v1, vcc_lo, v93, v1
	v_add_co_ci_u32_e32 v4, vcc_lo, 0, v94, vcc_lo
	v_mov_b32_e32 v59, 0
	s_delay_alu instid0(VALU_DEP_3) | instskip(NEXT) | instid1(VALU_DEP_3)
	v_add_co_u32 v3, vcc_lo, 0xffffff81, v1
	v_add_co_ci_u32_e32 v4, vcc_lo, -1, v4, vcc_lo
	v_mov_b32_e32 v95, 0
	s_mov_b32 s9, exec_lo
	s_delay_alu instid0(VALU_DEP_2)
	v_cmpx_gt_i64_e64 s[4:5], v[3:4]
	s_cbranch_execz .LBB80_57
; %bb.56:                               ;   in Loop: Header=BB80_53 Depth=1
	v_lshlrev_b64 v[3:4], 2, v[3:4]
	s_delay_alu instid0(VALU_DEP_1) | instskip(NEXT) | instid1(VALU_DEP_2)
	v_add_co_u32 v5, vcc_lo, s24, v3
	v_add_co_ci_u32_e32 v6, vcc_lo, s25, v4, vcc_lo
	v_add_co_u32 v3, vcc_lo, s26, v3
	v_add_co_ci_u32_e32 v4, vcc_lo, s27, v4, vcc_lo
	global_load_b32 v59, v[5:6], off
	global_load_b32 v95, v[3:4], off
.LBB80_57:                              ;   in Loop: Header=BB80_53 Depth=1
	s_or_b32 exec_lo, exec_lo, s9
.LBB80_58:                              ;   in Loop: Header=BB80_53 Depth=1
	s_delay_alu instid0(SALU_CYCLE_1)
	s_or_b32 exec_lo, exec_lo, s8
	s_mov_b32 s22, s16
	s_mov_b32 s23, s16
	;; [unrolled: 1-line block ×7, first 2 shown]
	v_dual_mov_b32 v9, s16 :: v_dual_mov_b32 v10, s17
	v_dual_mov_b32 v15, s22 :: v_dual_mov_b32 v16, s23
	;; [unrolled: 1-line block ×4, first 2 shown]
	v_add_co_u32 v3, vcc_lo, 0xffffff81, v93
	s_delay_alu instid0(VALU_DEP_4) | instskip(SKIP_1) | instid1(VALU_DEP_4)
	v_dual_mov_b32 v24, v16 :: v_dual_mov_b32 v23, v15
	v_add_co_ci_u32_e32 v4, vcc_lo, -1, v94, vcc_lo
	v_dual_mov_b32 v22, v14 :: v_dual_mov_b32 v21, v13
	v_dual_mov_b32 v20, v12 :: v_dual_mov_b32 v19, v11
	;; [unrolled: 1-line block ×3, first 2 shown]
	s_mov_b32 s8, exec_lo
	v_cmpx_gt_i64_e64 s[4:5], v[3:4]
	s_cbranch_execz .LBB80_60
; %bb.59:                               ;   in Loop: Header=BB80_53 Depth=1
	v_add_co_u32 v3, vcc_lo, v58, v25
	v_add_co_ci_u32_e32 v4, vcc_lo, v60, v26, vcc_lo
	v_add_co_u32 v5, vcc_lo, v61, v25
	v_add_co_ci_u32_e32 v6, vcc_lo, v62, v26, vcc_lo
	v_mov_b32_e32 v8, v2
	global_load_u16 v1, v[3:4], off
	global_load_u16 v9, v[5:6], off
	v_mov_b32_e32 v3, v2
	v_mov_b32_e32 v4, v2
	;; [unrolled: 1-line block ×6, first 2 shown]
	s_waitcnt vmcnt(1)
	v_cvt_f32_f16_e32 v1, v1
	v_dual_mov_b32 v11, v2 :: v_dual_mov_b32 v24, v8
	v_dual_mov_b32 v10, v2 :: v_dual_mov_b32 v23, v7
	s_waitcnt vmcnt(0)
	v_cvt_f32_f16_e32 v9, v9
	v_dual_mov_b32 v12, v2 :: v_dual_mov_b32 v21, v5
	v_dual_mov_b32 v13, v2 :: v_dual_mov_b32 v20, v4
	;; [unrolled: 1-line block ×4, first 2 shown]
	v_mov_b32_e32 v22, v6
	v_mov_b32_e32 v18, v2
.LBB80_60:                              ;   in Loop: Header=BB80_53 Depth=1
	s_or_b32 exec_lo, exec_lo, s8
	v_add_co_u32 v3, vcc_lo, 0xffffff82, v93
	v_add_co_ci_u32_e32 v4, vcc_lo, -1, v94, vcc_lo
	s_mov_b32 s8, exec_lo
	s_delay_alu instid0(VALU_DEP_1)
	v_cmpx_gt_i64_e64 s[4:5], v[3:4]
	s_cbranch_execz .LBB80_62
; %bb.61:                               ;   in Loop: Header=BB80_53 Depth=1
	v_add_co_u32 v3, vcc_lo, v87, v25
	v_add_co_ci_u32_e32 v4, vcc_lo, v88, v26, vcc_lo
	v_add_co_u32 v5, vcc_lo, v89, v25
	v_add_co_ci_u32_e32 v6, vcc_lo, v90, v26, vcc_lo
	global_load_u16 v1, v[3:4], off
	global_load_u16 v3, v[5:6], off
	s_waitcnt vmcnt(1)
	v_cvt_f32_f16_e32 v18, v1
	s_waitcnt vmcnt(0)
	v_cvt_f32_f16_e32 v10, v3
.LBB80_62:                              ;   in Loop: Header=BB80_53 Depth=1
	s_or_b32 exec_lo, exec_lo, s8
	v_add_co_u32 v3, vcc_lo, 0xffffff83, v93
	v_add_co_ci_u32_e32 v4, vcc_lo, -1, v94, vcc_lo
	s_mov_b32 s8, exec_lo
	s_delay_alu instid0(VALU_DEP_1)
	v_cmpx_gt_i64_e64 s[4:5], v[3:4]
	s_cbranch_execz .LBB80_64
; %bb.63:                               ;   in Loop: Header=BB80_53 Depth=1
	v_add_co_u32 v3, vcc_lo, v83, v25
	v_add_co_ci_u32_e32 v4, vcc_lo, v84, v26, vcc_lo
	v_add_co_u32 v5, vcc_lo, v85, v25
	v_add_co_ci_u32_e32 v6, vcc_lo, v86, v26, vcc_lo
	global_load_u16 v1, v[3:4], off
	global_load_u16 v3, v[5:6], off
	s_waitcnt vmcnt(1)
	v_cvt_f32_f16_e32 v19, v1
	s_waitcnt vmcnt(0)
	v_cvt_f32_f16_e32 v11, v3
.LBB80_64:                              ;   in Loop: Header=BB80_53 Depth=1
	;; [unrolled: 19-line block ×7, first 2 shown]
	s_or_b32 exec_lo, exec_lo, s8
	s_waitcnt vmcnt(1)
	ds_bpermute_b32 v3, v2, v59
	ds_bpermute_b32 v5, v2, v59 offset:4
	s_waitcnt vmcnt(0)
	ds_bpermute_b32 v1, v2, v95
	ds_bpermute_b32 v4, v2, v95 offset:4
	s_waitcnt lgkmcnt(3)
	v_sub_f32_e32 v3, v9, v3
	s_waitcnt lgkmcnt(2)
	v_sub_f32_e32 v5, v10, v5
	s_delay_alu instid0(VALU_DEP_2) | instskip(NEXT) | instid1(VALU_DEP_2)
	v_mul_f32_e32 v3, v17, v3
	v_mul_f32_e32 v5, v18, v5
	s_waitcnt lgkmcnt(1)
	s_delay_alu instid0(VALU_DEP_2) | instskip(SKIP_2) | instid1(VALU_DEP_2)
	v_fma_f32 v1, v3, v1, v91
	v_add_f32_e32 v3, v92, v17
	s_waitcnt lgkmcnt(0)
	v_fmac_f32_e32 v1, v5, v4
	ds_bpermute_b32 v5, v2, v59 offset:8
	ds_bpermute_b32 v4, v2, v95 offset:8
	v_add_f32_e32 v3, v18, v3
	s_delay_alu instid0(VALU_DEP_1) | instskip(NEXT) | instid1(VALU_DEP_1)
	v_add_f32_e32 v3, v19, v3
	v_add_f32_e32 v3, v20, v3
	s_delay_alu instid0(VALU_DEP_1) | instskip(SKIP_2) | instid1(VALU_DEP_2)
	v_add_f32_e32 v3, v21, v3
	s_waitcnt lgkmcnt(1)
	v_sub_f32_e32 v5, v11, v5
	v_add_f32_e32 v3, v22, v3
	s_delay_alu instid0(VALU_DEP_2) | instskip(NEXT) | instid1(VALU_DEP_2)
	v_mul_f32_e32 v5, v19, v5
	v_add_f32_e32 v3, v23, v3
	s_waitcnt lgkmcnt(0)
	s_delay_alu instid0(VALU_DEP_2) | instskip(SKIP_4) | instid1(VALU_DEP_1)
	v_fmac_f32_e32 v1, v5, v4
	ds_bpermute_b32 v5, v2, v59 offset:12
	ds_bpermute_b32 v4, v2, v95 offset:12
	s_waitcnt lgkmcnt(1)
	v_sub_f32_e32 v5, v12, v5
	v_mul_f32_e32 v5, v20, v5
	s_waitcnt lgkmcnt(0)
	s_delay_alu instid0(VALU_DEP_1) | instskip(SKIP_4) | instid1(VALU_DEP_1)
	v_fmac_f32_e32 v1, v5, v4
	ds_bpermute_b32 v5, v2, v59 offset:16
	ds_bpermute_b32 v4, v2, v95 offset:16
	s_waitcnt lgkmcnt(1)
	v_sub_f32_e32 v5, v13, v5
	v_mul_f32_e32 v5, v21, v5
	s_waitcnt lgkmcnt(0)
	s_delay_alu instid0(VALU_DEP_1) | instskip(SKIP_4) | instid1(VALU_DEP_1)
	;; [unrolled: 8-line block ×3, first 2 shown]
	v_fmac_f32_e32 v1, v5, v4
	ds_bpermute_b32 v5, v2, v59 offset:24
	ds_bpermute_b32 v4, v2, v95 offset:24
	s_waitcnt lgkmcnt(1)
	v_sub_f32_e32 v5, v15, v5
	v_mul_f32_e32 v5, v23, v5
	s_waitcnt lgkmcnt(0)
	s_delay_alu instid0(VALU_DEP_1)
	v_fmac_f32_e32 v1, v5, v4
	ds_bpermute_b32 v5, v2, v59 offset:28
	ds_bpermute_b32 v4, v2, v95 offset:28
	v_add_f32_e32 v59, v24, v3
	s_waitcnt lgkmcnt(1)
	v_sub_f32_e32 v5, v16, v5
	s_delay_alu instid0(VALU_DEP_1) | instskip(SKIP_1) | instid1(VALU_DEP_1)
	v_mul_f32_e32 v5, v24, v5
	s_waitcnt lgkmcnt(0)
	v_fmac_f32_e32 v1, v5, v4
	s_branch .LBB80_81
.LBB80_75:                              ;   in Loop: Header=BB80_53 Depth=1
                                        ; implicit-def: $vgpr59
                                        ; implicit-def: $vgpr1
	s_cbranch_execz .LBB80_81
; %bb.76:                               ;   in Loop: Header=BB80_53 Depth=1
	s_load_b32 s8, s[28:29], 0x0
	v_mov_b32_e32 v5, 0
	s_waitcnt lgkmcnt(0)
	s_cmp_lt_u32 s14, s8
	s_cselect_b32 s8, 12, 18
	s_delay_alu instid0(SALU_CYCLE_1)
	s_add_u32 s8, s28, s8
	s_addc_u32 s9, s29, 0
	global_load_u16 v1, v2, s[8:9]
	s_mov_b32 s8, exec_lo
	s_waitcnt vmcnt(0)
	v_mad_u32_u24 v1, v56, v1, v55
	s_delay_alu instid0(VALU_DEP_1) | instskip(SKIP_1) | instid1(VALU_DEP_2)
	v_and_b32_e32 v3, 31, v1
	v_mov_b32_e32 v1, 0
	v_cmpx_gt_u32_e32 8, v3
	s_cbranch_execz .LBB80_80
; %bb.77:                               ;   in Loop: Header=BB80_53 Depth=1
	v_add_co_u32 v1, vcc_lo, v93, v3
	v_add_co_ci_u32_e32 v4, vcc_lo, 0, v94, vcc_lo
	v_mov_b32_e32 v5, 0
	s_delay_alu instid0(VALU_DEP_3) | instskip(NEXT) | instid1(VALU_DEP_3)
	v_add_co_u32 v3, vcc_lo, 0xffffff81, v1
	v_add_co_ci_u32_e32 v4, vcc_lo, -1, v4, vcc_lo
	v_mov_b32_e32 v1, 0
	s_mov_b32 s9, exec_lo
	s_delay_alu instid0(VALU_DEP_2)
	v_cmpx_gt_i64_e64 s[4:5], v[3:4]
	s_cbranch_execz .LBB80_79
; %bb.78:                               ;   in Loop: Header=BB80_53 Depth=1
	v_lshlrev_b64 v[3:4], 2, v[3:4]
	s_delay_alu instid0(VALU_DEP_1) | instskip(NEXT) | instid1(VALU_DEP_2)
	v_add_co_u32 v5, vcc_lo, s24, v3
	v_add_co_ci_u32_e32 v6, vcc_lo, s25, v4, vcc_lo
	v_add_co_u32 v3, vcc_lo, s26, v3
	v_add_co_ci_u32_e32 v4, vcc_lo, s27, v4, vcc_lo
	global_load_b32 v1, v[5:6], off
	global_load_b32 v5, v[3:4], off
.LBB80_79:                              ;   in Loop: Header=BB80_53 Depth=1
	s_or_b32 exec_lo, exec_lo, s9
.LBB80_80:                              ;   in Loop: Header=BB80_53 Depth=1
	s_delay_alu instid0(SALU_CYCLE_1)
	s_or_b32 exec_lo, exec_lo, s8
	v_add_co_u32 v3, vcc_lo, v58, v25
	v_add_co_ci_u32_e32 v4, vcc_lo, v60, v26, vcc_lo
	s_waitcnt vmcnt(1)
	ds_bpermute_b32 v21, v2, v1
	global_load_u16 v3, v[3:4], off
	s_waitcnt vmcnt(0)
	v_cvt_f32_f16_e32 v6, v3
	v_add_co_u32 v3, vcc_lo, v61, v25
	v_add_co_ci_u32_e32 v4, vcc_lo, v62, v26, vcc_lo
	global_load_u16 v3, v[3:4], off
	s_waitcnt vmcnt(0)
	v_cvt_f32_f16_e32 v7, v3
	v_add_co_u32 v3, vcc_lo, v27, v25
	v_add_co_ci_u32_e32 v4, vcc_lo, v28, v26, vcc_lo
	s_waitcnt lgkmcnt(0)
	s_delay_alu instid0(VALU_DEP_3)
	v_sub_f32_e32 v7, v7, v21
	global_load_u16 v3, v[3:4], off
	s_waitcnt vmcnt(0)
	v_cvt_f32_f16_e32 v8, v3
	v_add_co_u32 v3, vcc_lo, v41, v25
	v_add_co_ci_u32_e32 v4, vcc_lo, v42, v26, vcc_lo
	v_mul_f32_e32 v7, v7, v6
	global_load_u16 v3, v[3:4], off
	s_waitcnt vmcnt(0)
	v_cvt_f32_f16_e32 v9, v3
	v_add_co_u32 v3, vcc_lo, v29, v25
	v_add_co_ci_u32_e32 v4, vcc_lo, v30, v26, vcc_lo
	global_load_u16 v3, v[3:4], off
	s_waitcnt vmcnt(0)
	v_cvt_f32_f16_e32 v10, v3
	v_add_co_u32 v3, vcc_lo, v43, v25
	v_add_co_ci_u32_e32 v4, vcc_lo, v44, v26, vcc_lo
	;; [unrolled: 5-line block ×12, first 2 shown]
	global_load_u16 v3, v[3:4], off
	ds_bpermute_b32 v4, v2, v5
	s_waitcnt lgkmcnt(0)
	v_fmac_f32_e32 v91, v7, v4
	ds_bpermute_b32 v7, v2, v1 offset:4
	v_add_f32_e32 v4, v92, v6
	ds_bpermute_b32 v6, v2, v5 offset:4
	v_add_f32_e32 v4, v4, v8
	s_delay_alu instid0(VALU_DEP_1) | instskip(SKIP_1) | instid1(VALU_DEP_1)
	v_add_f32_e32 v4, v4, v10
	s_waitcnt lgkmcnt(1)
	v_dual_add_f32 v4, v4, v12 :: v_dual_sub_f32 v7, v9, v7
	s_delay_alu instid0(VALU_DEP_1) | instskip(SKIP_1) | instid1(VALU_DEP_1)
	v_dual_add_f32 v4, v4, v14 :: v_dual_mul_f32 v7, v7, v8
	s_waitcnt lgkmcnt(0)
	v_dual_add_f32 v4, v4, v16 :: v_dual_fmac_f32 v91, v7, v6
	ds_bpermute_b32 v7, v2, v1 offset:8
	ds_bpermute_b32 v6, v2, v5 offset:8
	v_add_f32_e32 v4, v4, v18
	s_delay_alu instid0(VALU_DEP_1) | instskip(SKIP_2) | instid1(VALU_DEP_1)
	v_add_f32_e32 v59, v4, v20
	s_waitcnt lgkmcnt(1)
	v_sub_f32_e32 v7, v11, v7
	v_mul_f32_e32 v7, v7, v10
	s_waitcnt lgkmcnt(0)
	s_delay_alu instid0(VALU_DEP_1) | instskip(SKIP_4) | instid1(VALU_DEP_1)
	v_fmac_f32_e32 v91, v7, v6
	ds_bpermute_b32 v7, v2, v1 offset:12
	ds_bpermute_b32 v6, v2, v5 offset:12
	s_waitcnt lgkmcnt(1)
	v_sub_f32_e32 v7, v13, v7
	v_mul_f32_e32 v7, v7, v12
	s_waitcnt lgkmcnt(0)
	s_delay_alu instid0(VALU_DEP_1) | instskip(SKIP_4) | instid1(VALU_DEP_1)
	v_fmac_f32_e32 v91, v7, v6
	ds_bpermute_b32 v7, v2, v1 offset:16
	ds_bpermute_b32 v6, v2, v5 offset:16
	;; [unrolled: 8-line block ×3, first 2 shown]
	s_waitcnt lgkmcnt(1)
	v_sub_f32_e32 v7, v17, v7
	v_mul_f32_e32 v7, v7, v16
	s_waitcnt lgkmcnt(0)
	s_delay_alu instid0(VALU_DEP_1)
	v_fmac_f32_e32 v91, v7, v6
	ds_bpermute_b32 v7, v2, v1 offset:24
	ds_bpermute_b32 v1, v2, v1 offset:28
	;; [unrolled: 1-line block ×4, first 2 shown]
	s_waitcnt lgkmcnt(3)
	v_sub_f32_e32 v7, v19, v7
	s_delay_alu instid0(VALU_DEP_1) | instskip(SKIP_1) | instid1(VALU_DEP_1)
	v_mul_f32_e32 v7, v7, v18
	s_waitcnt lgkmcnt(1)
	v_fmac_f32_e32 v91, v7, v6
	s_waitcnt vmcnt(0)
	v_cvt_f32_f16_e32 v3, v3
	s_delay_alu instid0(VALU_DEP_1) | instskip(NEXT) | instid1(VALU_DEP_1)
	v_sub_f32_e32 v1, v3, v1
	v_mul_f32_e32 v1, v1, v20
	s_waitcnt lgkmcnt(0)
	s_delay_alu instid0(VALU_DEP_1) | instskip(NEXT) | instid1(VALU_DEP_1)
	v_fmac_f32_e32 v91, v1, v5
	v_mov_b32_e32 v1, v91
.LBB80_81:                              ;   in Loop: Header=BB80_53 Depth=1
	v_add_co_u32 v27, vcc_lo, v27, s2
	v_add_co_ci_u32_e32 v28, vcc_lo, s3, v28, vcc_lo
	v_add_co_u32 v29, vcc_lo, v29, s2
	v_add_co_ci_u32_e32 v30, vcc_lo, s3, v30, vcc_lo
	;; [unrolled: 2-line block ×27, first 2 shown]
	v_add_co_u32 v85, vcc_lo, v85, s2
	s_add_u32 s12, s12, s15
	v_add_co_ci_u32_e32 v86, vcc_lo, s3, v86, vcc_lo
	s_addc_u32 s13, s13, 0
	v_add_co_u32 v87, vcc_lo, v87, s2
	v_cmp_ge_i64_e64 s8, s[12:13], s[4:5]
	v_add_co_ci_u32_e32 v88, vcc_lo, s3, v88, vcc_lo
	v_add_co_u32 v89, vcc_lo, v89, s2
	v_add_co_ci_u32_e32 v90, vcc_lo, s3, v90, vcc_lo
	s_add_u32 s30, s30, s15
	s_addc_u32 s31, s31, 0
	s_and_b32 vcc_lo, exec_lo, s8
	s_cbranch_vccnz .LBB80_83
; %bb.82:                               ;   in Loop: Header=BB80_53 Depth=1
	v_dual_mov_b32 v92, v59 :: v_dual_mov_b32 v91, v1
	s_branch .LBB80_53
.LBB80_83:
	v_and_b32_e32 v2, 0x3ff, v0
	v_bfe_u32 v0, v0, 10, 10
	s_mov_b32 s15, 0
	s_mov_b32 s2, exec_lo
	s_delay_alu instid0(VALU_DEP_1) | instskip(NEXT) | instid1(VALU_DEP_1)
	v_mad_u32_u24 v3, 0x41, v0, v2
	v_sub_nc_u32_e32 v0, v3, v0
	v_lshl_add_u32 v3, v3, 2, 0
	ds_store_b32 v3, v1
	ds_store_b32 v3, v59 offset:4160
	s_waitcnt lgkmcnt(0)
	s_barrier
	buffer_gl0_inv
	v_cmpx_gt_u32_e32 0x800, v0
	s_cbranch_execz .LBB80_93
; %bb.84:
	v_mbcnt_lo_u32_b32 v1, -1, 0
	v_lshrrev_b32_e32 v4, 5, v0
	s_load_b128 s[8:11], s[0:1], 0x30
	v_cmp_eq_u32_e64 s0, 0, v2
	s_lshl_b64 s[4:5], s[14:15], 6
	v_xor_b32_e32 v0, 8, v1
	v_xor_b32_e32 v5, 2, v1
	;; [unrolled: 1-line block ×3, first 2 shown]
                                        ; implicit-def: $vgpr12
	v_mov_b32_e32 v9, 0
	s_delay_alu instid0(VALU_DEP_4) | instskip(SKIP_3) | instid1(VALU_DEP_3)
	v_cmp_gt_i32_e32 vcc_lo, 32, v0
	v_and_b32_e32 v3, 31, v2
	v_xor_b32_e32 v2, 4, v1
	v_cndmask_b32_e32 v0, v1, v0, vcc_lo
	v_mad_u32_u24 v11, 0x41, v3, v4
	s_delay_alu instid0(VALU_DEP_3)
	v_cmp_gt_i32_e32 vcc_lo, 32, v2
	v_cmp_gt_u32_e64 s1, 16, v3
	v_cndmask_b32_e32 v2, v1, v2, vcc_lo
	v_cmp_gt_i32_e32 vcc_lo, 32, v5
	s_waitcnt lgkmcnt(0)
	s_cmp_lg_u64 s[8:9], 0
	s_cselect_b32 s3, -1, 0
	s_cmp_lg_u64 s[10:11], 0
	v_cndmask_b32_e32 v7, v1, v5, vcc_lo
	v_cmp_gt_i32_e32 vcc_lo, 32, v6
	v_lshlrev_b32_e32 v5, 2, v0
	v_lshlrev_b32_e32 v0, 1, v4
	s_cselect_b32 s12, -1, 0
	s_lshl_b64 s[16:17], s[14:15], 7
	v_cndmask_b32_e32 v1, v1, v6, vcc_lo
	v_lshlrev_b32_e32 v6, 2, v2
	v_add_co_u32 v2, s2, s16, v0
	s_delay_alu instid0(VALU_DEP_1) | instskip(NEXT) | instid1(VALU_DEP_4)
	v_add_co_ci_u32_e64 v10, null, s17, 0, s2
	v_lshlrev_b32_e32 v8, 2, v1
	s_delay_alu instid0(VALU_DEP_3) | instskip(NEXT) | instid1(VALU_DEP_3)
	v_add_co_u32 v0, vcc_lo, s10, v2
	v_add_co_ci_u32_e32 v1, vcc_lo, s11, v10, vcc_lo
	v_add_co_u32 v2, vcc_lo, s8, v2
	v_lshlrev_b32_e32 v7, 2, v7
	v_add_co_ci_u32_e32 v3, vcc_lo, s9, v10, vcc_lo
	v_lshl_add_u32 v10, v11, 2, 0
                                        ; implicit-def: $vgpr11
	s_branch .LBB80_86
.LBB80_85:                              ;   in Loop: Header=BB80_86 Depth=1
	s_or_b32 exec_lo, exec_lo, s2
	v_add_co_u32 v4, vcc_lo, v4, 32
	v_add_co_ci_u32_e32 v9, vcc_lo, 0, v9, vcc_lo
	v_add_co_u32 v0, vcc_lo, v0, 64
	s_delay_alu instid0(VALU_DEP_3) | instskip(SKIP_2) | instid1(VALU_DEP_3)
	v_subrev_nc_u32_e32 v13, 32, v4
	v_add_co_ci_u32_e32 v1, vcc_lo, 0, v1, vcc_lo
	v_add_co_u32 v2, s2, v2, 64
	v_cmp_lt_u32_e32 vcc_lo, 31, v13
	v_add_co_ci_u32_e64 v3, s2, 0, v3, s2
	v_add_nc_u32_e32 v10, 0x80, v10
	s_or_b32 s15, vcc_lo, s15
	s_delay_alu instid0(SALU_CYCLE_1)
	s_and_not1_b32 exec_lo, exec_lo, s15
	s_cbranch_execz .LBB80_93
.LBB80_86:                              ; =>This Inner Loop Header: Depth=1
	s_and_saveexec_b32 s2, s1
	s_cbranch_execz .LBB80_88
; %bb.87:                               ;   in Loop: Header=BB80_86 Depth=1
	ds_load_b32 v11, v10
	ds_load_b32 v12, v10 offset:4160
.LBB80_88:                              ;   in Loop: Header=BB80_86 Depth=1
	s_or_b32 exec_lo, exec_lo, s2
	s_waitcnt lgkmcnt(1)
	ds_bpermute_b32 v13, v5, v11
	s_waitcnt lgkmcnt(1)
	ds_bpermute_b32 v14, v5, v12
	s_waitcnt lgkmcnt(0)
	v_dual_add_f32 v11, v11, v13 :: v_dual_add_f32 v12, v12, v14
	ds_bpermute_b32 v13, v6, v11
	ds_bpermute_b32 v14, v6, v12
	s_waitcnt lgkmcnt(0)
	v_dual_add_f32 v11, v11, v13 :: v_dual_add_f32 v12, v12, v14
	ds_bpermute_b32 v13, v7, v11
	ds_bpermute_b32 v14, v7, v12
	s_waitcnt lgkmcnt(0)
	v_dual_add_f32 v13, v11, v13 :: v_dual_add_f32 v14, v12, v14
	v_add_co_u32 v11, vcc_lo, s4, v4
	v_add_co_ci_u32_e32 v12, vcc_lo, s5, v9, vcc_lo
	ds_bpermute_b32 v15, v8, v13
	ds_bpermute_b32 v16, v8, v14
	v_cmp_gt_i64_e32 vcc_lo, s[6:7], v[11:12]
	s_and_b32 s8, s0, vcc_lo
	s_waitcnt lgkmcnt(0)
	v_dual_add_f32 v11, v13, v15 :: v_dual_add_f32 v12, v14, v16
	s_and_saveexec_b32 s2, s8
	s_cbranch_execz .LBB80_85
; %bb.89:                               ;   in Loop: Header=BB80_86 Depth=1
	s_and_not1_b32 vcc_lo, exec_lo, s3
	s_cbranch_vccnz .LBB80_91
; %bb.90:                               ;   in Loop: Header=BB80_86 Depth=1
	v_cvt_f16_f32_e32 v13, v11
	global_store_b16 v[2:3], v13, off
.LBB80_91:                              ;   in Loop: Header=BB80_86 Depth=1
	s_and_not1_b32 vcc_lo, exec_lo, s12
	s_cbranch_vccnz .LBB80_85
; %bb.92:                               ;   in Loop: Header=BB80_86 Depth=1
	v_cvt_f16_f32_e32 v13, v12
	global_store_b16 v[0:1], v13, off
	s_branch .LBB80_85
.LBB80_93:
	s_nop 0
	s_sendmsg sendmsg(MSG_DEALLOC_VGPRS)
	s_endpgm
	.section	.rodata,"a",@progbits
	.p2align	6, 0x0
	.amdhsa_kernel _ZN2at6native12_GLOBAL__N_135GammaBetaBackwardCUDAKernelTemplateIN3c104HalfEfLj64ELj16ELj128ELb0ELb0ELb0EEEvllPKT_S7_PKT0_SA_PS5_SB_
		.amdhsa_group_segment_fixed_size 0
		.amdhsa_private_segment_fixed_size 0
		.amdhsa_kernarg_size 320
		.amdhsa_user_sgpr_count 14
		.amdhsa_user_sgpr_dispatch_ptr 0
		.amdhsa_user_sgpr_queue_ptr 0
		.amdhsa_user_sgpr_kernarg_segment_ptr 1
		.amdhsa_user_sgpr_dispatch_id 0
		.amdhsa_user_sgpr_private_segment_size 0
		.amdhsa_wavefront_size32 1
		.amdhsa_uses_dynamic_stack 0
		.amdhsa_enable_private_segment 0
		.amdhsa_system_sgpr_workgroup_id_x 1
		.amdhsa_system_sgpr_workgroup_id_y 1
		.amdhsa_system_sgpr_workgroup_id_z 0
		.amdhsa_system_sgpr_workgroup_info 0
		.amdhsa_system_vgpr_workitem_id 1
		.amdhsa_next_free_vgpr 96
		.amdhsa_next_free_sgpr 40
		.amdhsa_reserve_vcc 1
		.amdhsa_float_round_mode_32 0
		.amdhsa_float_round_mode_16_64 0
		.amdhsa_float_denorm_mode_32 3
		.amdhsa_float_denorm_mode_16_64 3
		.amdhsa_dx10_clamp 1
		.amdhsa_ieee_mode 1
		.amdhsa_fp16_overflow 0
		.amdhsa_workgroup_processor_mode 1
		.amdhsa_memory_ordered 1
		.amdhsa_forward_progress 0
		.amdhsa_shared_vgpr_count 0
		.amdhsa_exception_fp_ieee_invalid_op 0
		.amdhsa_exception_fp_denorm_src 0
		.amdhsa_exception_fp_ieee_div_zero 0
		.amdhsa_exception_fp_ieee_overflow 0
		.amdhsa_exception_fp_ieee_underflow 0
		.amdhsa_exception_fp_ieee_inexact 0
		.amdhsa_exception_int_div_zero 0
	.end_amdhsa_kernel
	.section	.text._ZN2at6native12_GLOBAL__N_135GammaBetaBackwardCUDAKernelTemplateIN3c104HalfEfLj64ELj16ELj128ELb0ELb0ELb0EEEvllPKT_S7_PKT0_SA_PS5_SB_,"axG",@progbits,_ZN2at6native12_GLOBAL__N_135GammaBetaBackwardCUDAKernelTemplateIN3c104HalfEfLj64ELj16ELj128ELb0ELb0ELb0EEEvllPKT_S7_PKT0_SA_PS5_SB_,comdat
.Lfunc_end80:
	.size	_ZN2at6native12_GLOBAL__N_135GammaBetaBackwardCUDAKernelTemplateIN3c104HalfEfLj64ELj16ELj128ELb0ELb0ELb0EEEvllPKT_S7_PKT0_SA_PS5_SB_, .Lfunc_end80-_ZN2at6native12_GLOBAL__N_135GammaBetaBackwardCUDAKernelTemplateIN3c104HalfEfLj64ELj16ELj128ELb0ELb0ELb0EEEvllPKT_S7_PKT0_SA_PS5_SB_
                                        ; -- End function
	.section	.AMDGPU.csdata,"",@progbits
; Kernel info:
; codeLenInByte = 8732
; NumSgprs: 42
; NumVgprs: 96
; ScratchSize: 0
; MemoryBound: 0
; FloatMode: 240
; IeeeMode: 1
; LDSByteSize: 0 bytes/workgroup (compile time only)
; SGPRBlocks: 5
; VGPRBlocks: 11
; NumSGPRsForWavesPerEU: 42
; NumVGPRsForWavesPerEU: 96
; Occupancy: 16
; WaveLimiterHint : 0
; COMPUTE_PGM_RSRC2:SCRATCH_EN: 0
; COMPUTE_PGM_RSRC2:USER_SGPR: 14
; COMPUTE_PGM_RSRC2:TRAP_HANDLER: 0
; COMPUTE_PGM_RSRC2:TGID_X_EN: 1
; COMPUTE_PGM_RSRC2:TGID_Y_EN: 1
; COMPUTE_PGM_RSRC2:TGID_Z_EN: 0
; COMPUTE_PGM_RSRC2:TIDIG_COMP_CNT: 1
	.section	.text._ZN2at6native12_GLOBAL__N_135GammaBetaBackwardCUDAKernelTemplateIN3c104HalfEfLj64ELj16ELj256ELb0ELb1ELb0EEEvllPKT_S7_PKT0_SA_PS5_SB_,"axG",@progbits,_ZN2at6native12_GLOBAL__N_135GammaBetaBackwardCUDAKernelTemplateIN3c104HalfEfLj64ELj16ELj256ELb0ELb1ELb0EEEvllPKT_S7_PKT0_SA_PS5_SB_,comdat
	.globl	_ZN2at6native12_GLOBAL__N_135GammaBetaBackwardCUDAKernelTemplateIN3c104HalfEfLj64ELj16ELj256ELb0ELb1ELb0EEEvllPKT_S7_PKT0_SA_PS5_SB_ ; -- Begin function _ZN2at6native12_GLOBAL__N_135GammaBetaBackwardCUDAKernelTemplateIN3c104HalfEfLj64ELj16ELj256ELb0ELb1ELb0EEEvllPKT_S7_PKT0_SA_PS5_SB_
	.p2align	8
	.type	_ZN2at6native12_GLOBAL__N_135GammaBetaBackwardCUDAKernelTemplateIN3c104HalfEfLj64ELj16ELj256ELb0ELb1ELb0EEEvllPKT_S7_PKT0_SA_PS5_SB_,@function
_ZN2at6native12_GLOBAL__N_135GammaBetaBackwardCUDAKernelTemplateIN3c104HalfEfLj64ELj16ELj256ELb0ELb1ELb0EEEvllPKT_S7_PKT0_SA_PS5_SB_: ; @_ZN2at6native12_GLOBAL__N_135GammaBetaBackwardCUDAKernelTemplateIN3c104HalfEfLj64ELj16ELj256ELb0ELb1ELb0EEEvllPKT_S7_PKT0_SA_PS5_SB_
; %bb.0:
	s_load_b128 s[20:23], s[0:1], 0x0
	s_mov_b32 s3, 0
	s_lshl_b32 s2, s15, 8
	v_bfe_u32 v7, v0, 10, 10
	s_waitcnt lgkmcnt(0)
	v_cmp_lt_i64_e64 s4, s[2:3], s[20:21]
	s_delay_alu instid0(VALU_DEP_1)
	s_and_b32 vcc_lo, exec_lo, s4
	s_cbranch_vccnz .LBB81_2
; %bb.1:
	v_bfe_u32 v1, v0, 10, 10
	s_mov_b32 s5, 0
	s_mov_b32 s4, s3
	s_branch .LBB81_3
.LBB81_2:
	s_mov_b32 s4, -1
                                        ; implicit-def: $sgpr5
                                        ; implicit-def: $vgpr1
.LBB81_3:
	s_load_b128 s[16:19], s[0:1], 0x30
	v_dual_mov_b32 v20, s5 :: v_dual_mov_b32 v25, s5
	v_and_b32_e32 v6, 0x3ff, v0
	s_and_not1_b32 vcc_lo, exec_lo, s4
	s_cbranch_vccnz .LBB81_11
; %bb.4:
	s_clause 0x2
	s_load_b32 s12, s[0:1], 0x4c
	s_load_b32 s15, s[0:1], 0x44
	s_load_b256 s[4:11], s[0:1], 0x10
	v_dual_mov_b32 v1, 0 :: v_dual_lshlrev_b32 v2, 4, v7
	v_lshl_add_u32 v0, s14, 6, v6
	v_dual_mov_b32 v8, 16 :: v_dual_mov_b32 v9, 4
	s_delay_alu instid0(VALU_DEP_3) | instskip(NEXT) | instid1(VALU_DEP_1)
	v_add_co_u32 v2, s0, v2, s2
	v_add_co_ci_u32_e64 v3, null, 0, 0, s0
	s_delay_alu instid0(VALU_DEP_4) | instskip(NEXT) | instid1(VALU_DEP_3)
	v_lshlrev_b64 v[26:27], 1, v[0:1]
	v_mul_lo_u32 v20, s23, v2
	v_mad_u64_u32 v[4:5], null, s22, v2, 0
	s_delay_alu instid0(VALU_DEP_4)
	v_mul_lo_u32 v23, s22, v3
	v_dual_mov_b32 v10, 8 :: v_dual_mov_b32 v11, 12
	v_dual_mov_b32 v12, 20 :: v_dual_mov_b32 v13, 24
	s_waitcnt lgkmcnt(0)
	s_and_b32 s0, s12, 0xffff
	s_lshl_b32 s12, s15, 8
	v_mad_u32_u24 v18, v7, s0, v6
	s_delay_alu instid0(VALU_DEP_4) | instskip(SKIP_2) | instid1(VALU_DEP_2)
	v_add3_u32 v5, v5, v23, v20
	s_mul_i32 s1, s23, s12
	s_mul_hi_u32 s15, s22, s12
	v_dual_mov_b32 v19, 48 :: v_dual_and_b32 v24, 31, v18
	v_dual_mov_b32 v14, 28 :: v_dual_mov_b32 v15, 32
	v_dual_mov_b32 v16, 36 :: v_dual_mov_b32 v17, 40
	s_delay_alu instid0(VALU_DEP_3)
	v_cmp_gt_u32_e64 s0, 16, v24
	v_add_co_u32 v2, vcc_lo, v2, v24
	v_lshlrev_b64 v[24:25], 1, v[4:5]
	v_add_co_ci_u32_e32 v3, vcc_lo, 0, v3, vcc_lo
	v_dual_mov_b32 v18, 44 :: v_dual_mov_b32 v21, 52
	v_dual_mov_b32 v22, 56 :: v_dual_mov_b32 v23, 60
	s_delay_alu instid0(VALU_DEP_4) | instskip(NEXT) | instid1(VALU_DEP_4)
	v_add_co_u32 v0, vcc_lo, v24, v26
	v_lshlrev_b64 v[4:5], 2, v[2:3]
	v_add_co_ci_u32_e32 v24, vcc_lo, v25, v27, vcc_lo
	v_dual_mov_b32 v25, 0 :: v_dual_mov_b32 v20, 0
	s_mov_b32 s13, 0
	s_add_i32 s27, s15, s1
	s_mul_i32 s26, s22, s12
	s_lshl_b64 s[24:25], s[12:13], 2
	s_lshl_b64 s[26:27], s[26:27], 1
	;; [unrolled: 1-line block ×3, first 2 shown]
	s_branch .LBB81_7
.LBB81_5:                               ;   in Loop: Header=BB81_7 Depth=1
	s_or_b32 exec_lo, exec_lo, s13
.LBB81_6:                               ;   in Loop: Header=BB81_7 Depth=1
	s_delay_alu instid0(SALU_CYCLE_1)
	s_or_b32 exec_lo, exec_lo, s1
	v_add_co_u32 v28, vcc_lo, s4, v0
	v_add_co_ci_u32_e32 v29, vcc_lo, s5, v24, vcc_lo
	v_add_co_u32 v30, vcc_lo, s6, v0
	v_add_co_ci_u32_e32 v31, vcc_lo, s7, v24, vcc_lo
	global_load_u16 v38, v[28:29], off
	v_add_co_u32 v28, vcc_lo, v28, s22
	v_add_co_ci_u32_e32 v29, vcc_lo, s23, v29, vcc_lo
	v_add_co_u32 v32, vcc_lo, v30, s22
	v_add_co_ci_u32_e32 v33, vcc_lo, s23, v31, vcc_lo
	s_delay_alu instid0(VALU_DEP_4) | instskip(NEXT) | instid1(VALU_DEP_4)
	v_add_co_u32 v34, vcc_lo, v28, s22
	v_add_co_ci_u32_e32 v35, vcc_lo, s23, v29, vcc_lo
	s_delay_alu instid0(VALU_DEP_4) | instskip(NEXT) | instid1(VALU_DEP_4)
	v_add_co_u32 v36, vcc_lo, v32, s22
	v_add_co_ci_u32_e32 v37, vcc_lo, s23, v33, vcc_lo
	global_load_u16 v39, v[30:31], off
	global_load_u16 v40, v[28:29], off
	global_load_u16 v41, v[32:33], off
	global_load_u16 v42, v[34:35], off
	global_load_u16 v43, v[36:37], off
	v_add_co_u32 v28, vcc_lo, v34, s22
	v_add_co_ci_u32_e32 v29, vcc_lo, s23, v35, vcc_lo
	v_add_co_u32 v30, vcc_lo, v36, s22
	v_add_co_ci_u32_e32 v31, vcc_lo, s23, v37, vcc_lo
	s_delay_alu instid0(VALU_DEP_4) | instskip(NEXT) | instid1(VALU_DEP_4)
	v_add_co_u32 v32, vcc_lo, v28, s22
	v_add_co_ci_u32_e32 v33, vcc_lo, s23, v29, vcc_lo
	s_delay_alu instid0(VALU_DEP_4) | instskip(NEXT) | instid1(VALU_DEP_4)
	v_add_co_u32 v34, vcc_lo, v30, s22
	v_add_co_ci_u32_e32 v35, vcc_lo, s23, v31, vcc_lo
	s_delay_alu instid0(VALU_DEP_4) | instskip(NEXT) | instid1(VALU_DEP_4)
	v_add_co_u32 v36, vcc_lo, v32, s22
	v_add_co_ci_u32_e32 v37, vcc_lo, s23, v33, vcc_lo
	global_load_u16 v44, v[28:29], off
	global_load_u16 v45, v[30:31], off
	global_load_u16 v46, v[32:33], off
	global_load_u16 v47, v[34:35], off
	global_load_u16 v48, v[36:37], off
	v_add_co_u32 v28, vcc_lo, v34, s22
	v_add_co_ci_u32_e32 v29, vcc_lo, s23, v35, vcc_lo
	v_add_co_u32 v30, vcc_lo, v36, s22
	v_add_co_ci_u32_e32 v31, vcc_lo, s23, v37, vcc_lo
	s_delay_alu instid0(VALU_DEP_4) | instskip(NEXT) | instid1(VALU_DEP_4)
	;; [unrolled: 18-line block ×5, first 2 shown]
	v_add_co_u32 v32, vcc_lo, v28, s22
	v_add_co_ci_u32_e32 v33, vcc_lo, s23, v29, vcc_lo
	s_delay_alu instid0(VALU_DEP_4) | instskip(NEXT) | instid1(VALU_DEP_4)
	v_add_co_u32 v34, vcc_lo, v30, s22
	v_add_co_ci_u32_e32 v35, vcc_lo, s23, v31, vcc_lo
	global_load_u16 v36, v[28:29], off
	global_load_u16 v37, v[30:31], off
	;; [unrolled: 1-line block ×4, first 2 shown]
	v_add_co_u32 v28, vcc_lo, v34, s22
	v_add_co_ci_u32_e32 v29, vcc_lo, s23, v35, vcc_lo
	v_add_co_u32 v30, vcc_lo, v32, s22
	v_add_co_ci_u32_e32 v31, vcc_lo, s23, v33, vcc_lo
	global_load_u16 v28, v[28:29], off
	global_load_u16 v29, v[30:31], off
	s_waitcnt vmcnt(33)
	ds_bpermute_b32 v31, v1, v26
	ds_bpermute_b32 v33, v9, v26
	s_waitcnt vmcnt(32)
	ds_bpermute_b32 v30, v1, v27
	ds_bpermute_b32 v32, v9, v27
	;; [unrolled: 1-line block ×30, first 2 shown]
	v_add_co_u32 v4, vcc_lo, v4, s24
	s_add_u32 s2, s2, s12
	v_add_co_ci_u32_e32 v5, vcc_lo, s25, v5, vcc_lo
	s_addc_u32 s3, s3, 0
	v_add_co_u32 v2, vcc_lo, v2, s12
	v_add_co_ci_u32_e32 v3, vcc_lo, 0, v3, vcc_lo
	v_cmp_lt_i64_e64 s1, s[2:3], s[20:21]
	v_add_co_u32 v0, vcc_lo, v0, s26
	v_add_co_ci_u32_e32 v24, vcc_lo, s27, v24, vcc_lo
	s_delay_alu instid0(VALU_DEP_3)
	s_and_b32 vcc_lo, exec_lo, s1
	s_waitcnt vmcnt(31)
	v_cvt_f32_f16_e32 v38, v38
	s_waitcnt vmcnt(30)
	v_cvt_f32_f16_e32 v39, v39
	;; [unrolled: 2-line block ×3, first 2 shown]
	s_waitcnt lgkmcnt(31)
	s_delay_alu instid0(VALU_DEP_2)
	v_sub_f32_e32 v31, v39, v31
	v_cvt_f32_f16_e32 v39, v40
	s_waitcnt lgkmcnt(30)
	v_sub_f32_e32 v33, v41, v33
	s_waitcnt vmcnt(26)
	v_cvt_f32_f16_e32 v40, v43
	v_mul_f32_e32 v31, v31, v38
	s_waitcnt lgkmcnt(29)
	s_delay_alu instid0(VALU_DEP_1) | instskip(SKIP_2) | instid1(VALU_DEP_1)
	v_fmac_f32_e32 v20, v31, v30
	v_mul_f32_e32 v30, v33, v39
	s_waitcnt lgkmcnt(27)
	v_dual_fmac_f32 v20, v30, v32 :: v_dual_sub_f32 v31, v40, v35
	s_waitcnt vmcnt(24)
	v_cvt_f32_f16_e32 v33, v45
	v_cvt_f32_f16_e32 v35, v44
	v_add_f32_e32 v25, v25, v38
	v_cvt_f32_f16_e32 v38, v42
	s_waitcnt vmcnt(22)
	v_cvt_f32_f16_e32 v32, v47
	s_waitcnt lgkmcnt(26)
	s_delay_alu instid0(VALU_DEP_2) | instskip(SKIP_2) | instid1(VALU_DEP_2)
	v_dual_mul_f32 v30, v31, v38 :: v_dual_sub_f32 v31, v33, v67
	v_cvt_f32_f16_e32 v33, v46
	s_waitcnt lgkmcnt(25)
	v_fmac_f32_e32 v20, v30, v34
	s_delay_alu instid0(VALU_DEP_3)
	v_mul_f32_e32 v30, v31, v35
	v_add_f32_e32 v25, v25, v39
	s_waitcnt vmcnt(21)
	v_cvt_f32_f16_e32 v34, v48
	s_waitcnt lgkmcnt(23)
	v_dual_fmac_f32 v20, v30, v66 :: v_dual_sub_f32 v31, v32, v69
	v_add_f32_e32 v25, v25, v38
	s_waitcnt vmcnt(20)
	v_cvt_f32_f16_e32 v32, v49
	s_delay_alu instid0(VALU_DEP_3) | instskip(SKIP_1) | instid1(VALU_DEP_1)
	v_mul_f32_e32 v30, v31, v33
	s_waitcnt lgkmcnt(21)
	v_dual_fmac_f32 v20, v30, v68 :: v_dual_sub_f32 v31, v32, v71
	v_add_f32_e32 v25, v25, v35
	s_waitcnt vmcnt(18)
	v_cvt_f32_f16_e32 v32, v51
	s_waitcnt lgkmcnt(19)
	s_delay_alu instid0(VALU_DEP_1) | instskip(SKIP_2) | instid1(VALU_DEP_2)
	v_dual_mul_f32 v30, v31, v34 :: v_dual_sub_f32 v31, v32, v73
	s_waitcnt vmcnt(16)
	v_cvt_f32_f16_e32 v32, v53
	v_dual_fmac_f32 v20, v30, v70 :: v_dual_add_f32 v25, v25, v33
	v_cvt_f32_f16_e32 v33, v50
	s_waitcnt lgkmcnt(17)
	s_delay_alu instid0(VALU_DEP_1) | instskip(SKIP_2) | instid1(VALU_DEP_2)
	v_dual_mul_f32 v30, v31, v33 :: v_dual_sub_f32 v31, v32, v75
	s_waitcnt vmcnt(14)
	v_cvt_f32_f16_e32 v32, v55
	v_dual_fmac_f32 v20, v30, v72 :: v_dual_add_f32 v25, v25, v34
	v_cvt_f32_f16_e32 v34, v52
	s_delay_alu instid0(VALU_DEP_1) | instskip(SKIP_1) | instid1(VALU_DEP_2)
	v_dual_add_f32 v25, v25, v33 :: v_dual_mul_f32 v30, v31, v34
	v_cvt_f32_f16_e32 v33, v54
	v_add_f32_e32 v25, v25, v34
	s_waitcnt lgkmcnt(15)
	s_delay_alu instid0(VALU_DEP_3) | instskip(SKIP_3) | instid1(VALU_DEP_3)
	v_dual_fmac_f32 v20, v30, v74 :: v_dual_sub_f32 v31, v32, v77
	s_waitcnt vmcnt(12)
	v_cvt_f32_f16_e32 v32, v57
	v_cvt_f32_f16_e32 v34, v56
	v_mul_f32_e32 v30, v31, v33
	s_waitcnt lgkmcnt(13)
	s_delay_alu instid0(VALU_DEP_1)
	v_dual_fmac_f32 v20, v30, v76 :: v_dual_sub_f32 v31, v32, v79
	s_waitcnt vmcnt(10)
	v_cvt_f32_f16_e32 v32, v59
	v_add_f32_e32 v25, v25, v33
	v_cvt_f32_f16_e32 v33, v58
	v_mul_f32_e32 v30, v31, v34
	s_delay_alu instid0(VALU_DEP_3)
	v_add_f32_e32 v25, v25, v34
	s_waitcnt vmcnt(9)
	v_cvt_f32_f16_e32 v34, v60
	s_waitcnt lgkmcnt(11)
	v_dual_fmac_f32 v20, v30, v78 :: v_dual_sub_f32 v31, v32, v81
	s_waitcnt vmcnt(8)
	v_cvt_f32_f16_e32 v32, v61
	s_waitcnt vmcnt(1)
	v_cvt_f32_f16_e32 v28, v28
	v_mul_f32_e32 v30, v31, v33
	s_waitcnt vmcnt(0)
	v_cvt_f32_f16_e32 v29, v29
	s_waitcnt lgkmcnt(9)
	s_delay_alu instid0(VALU_DEP_2) | instskip(SKIP_3) | instid1(VALU_DEP_4)
	v_dual_fmac_f32 v20, v30, v80 :: v_dual_sub_f32 v31, v32, v83
	v_cvt_f32_f16_e32 v32, v63
	v_add_f32_e32 v25, v25, v33
	v_cvt_f32_f16_e32 v33, v62
	v_mul_f32_e32 v30, v31, v34
	s_delay_alu instid0(VALU_DEP_3) | instskip(SKIP_2) | instid1(VALU_DEP_3)
	v_add_f32_e32 v25, v25, v34
	v_cvt_f32_f16_e32 v34, v36
	s_waitcnt lgkmcnt(7)
	v_dual_fmac_f32 v20, v30, v82 :: v_dual_sub_f32 v31, v32, v85
	v_cvt_f32_f16_e32 v32, v37
	s_delay_alu instid0(VALU_DEP_2) | instskip(SKIP_1) | instid1(VALU_DEP_1)
	v_mul_f32_e32 v30, v31, v33
	s_waitcnt lgkmcnt(5)
	v_dual_fmac_f32 v20, v30, v84 :: v_dual_sub_f32 v31, v32, v87
	v_cvt_f32_f16_e32 v32, v65
	v_add_f32_e32 v25, v25, v33
	v_cvt_f32_f16_e32 v33, v64
	s_waitcnt lgkmcnt(2)
	v_sub_f32_e32 v26, v28, v26
	v_mul_f32_e32 v30, v31, v34
	s_delay_alu instid0(VALU_DEP_2) | instskip(NEXT) | instid1(VALU_DEP_2)
	v_dual_add_f32 v25, v25, v34 :: v_dual_mul_f32 v26, v26, v29
	v_dual_fmac_f32 v20, v30, v86 :: v_dual_sub_f32 v31, v32, v89
	s_delay_alu instid0(VALU_DEP_2) | instskip(NEXT) | instid1(VALU_DEP_2)
	v_add_f32_e32 v25, v25, v33
	v_mul_f32_e32 v30, v31, v33
	s_waitcnt lgkmcnt(1)
	s_delay_alu instid0(VALU_DEP_1) | instskip(SKIP_1) | instid1(VALU_DEP_1)
	v_dual_fmac_f32 v20, v30, v88 :: v_dual_add_f32 v25, v25, v29
	s_waitcnt lgkmcnt(0)
	v_fmac_f32_e32 v20, v26, v27
	s_cbranch_vccz .LBB81_10
.LBB81_7:                               ; =>This Inner Loop Header: Depth=1
	v_dual_mov_b32 v27, 0 :: v_dual_mov_b32 v26, 0
	s_and_saveexec_b32 s1, s0
	s_cbranch_execz .LBB81_6
; %bb.8:                                ;   in Loop: Header=BB81_7 Depth=1
	v_dual_mov_b32 v26, 0 :: v_dual_mov_b32 v27, 0
	s_mov_b32 s13, exec_lo
	v_cmpx_gt_i64_e64 s[20:21], v[2:3]
	s_cbranch_execz .LBB81_5
; %bb.9:                                ;   in Loop: Header=BB81_7 Depth=1
	v_add_co_u32 v26, vcc_lo, s8, v4
	v_add_co_ci_u32_e32 v27, vcc_lo, s9, v5, vcc_lo
	v_add_co_u32 v28, vcc_lo, s10, v4
	v_add_co_ci_u32_e32 v29, vcc_lo, s11, v5, vcc_lo
	global_load_b32 v26, v[26:27], off
	global_load_b32 v27, v[28:29], off
	s_branch .LBB81_5
.LBB81_10:
	v_mov_b32_e32 v1, v7
.LBB81_11:
	s_delay_alu instid0(VALU_DEP_1) | instskip(SKIP_2) | instid1(VALU_DEP_1)
	v_mad_u32_u24 v2, 0x41, v1, v6
	s_mov_b32 s15, 0
	s_mov_b32 s0, exec_lo
	v_sub_nc_u32_e32 v0, v2, v1
	v_lshl_add_u32 v1, v2, 2, 0
	ds_store_b32 v1, v20
	ds_store_b32 v1, v25 offset:4160
	s_waitcnt lgkmcnt(0)
	s_barrier
	buffer_gl0_inv
	v_cmpx_gt_u32_e32 0x800, v0
	s_cbranch_execz .LBB81_21
; %bb.12:
	v_mbcnt_lo_u32_b32 v1, -1, 0
	v_lshrrev_b32_e32 v3, 5, v0
	v_cmp_eq_u32_e64 s1, 0, v6
	s_cmp_lg_u64 s[16:17], 0
	s_cselect_b32 s2, -1, 0
	v_xor_b32_e32 v0, 8, v1
	v_xor_b32_e32 v4, 4, v1
	;; [unrolled: 1-line block ×3, first 2 shown]
	s_cmp_lg_u64 s[18:19], 0
	s_delay_alu instid0(VALU_DEP_3)
	v_cmp_gt_i32_e32 vcc_lo, 32, v0
	s_cselect_b32 s3, -1, 0
	s_lshl_b64 s[4:5], s[14:15], 7
	v_cndmask_b32_e32 v0, v1, v0, vcc_lo
	v_cmp_gt_i32_e32 vcc_lo, 32, v4
	v_and_b32_e32 v2, 31, v6
	v_xor_b32_e32 v6, 1, v1
	v_cndmask_b32_e32 v7, v1, v4, vcc_lo
	v_cmp_gt_i32_e32 vcc_lo, 32, v5
	s_delay_alu instid0(VALU_DEP_4)
	v_mad_u32_u24 v11, 0x41, v2, v3
	v_cmp_gt_u32_e64 s0, 16, v2
	v_cndmask_b32_e32 v8, v1, v5, vcc_lo
	v_cmp_gt_i32_e32 vcc_lo, 32, v6
	v_lshlrev_b32_e32 v5, 2, v7
	v_lshlrev_b32_e32 v4, 2, v0
	v_dual_cndmask_b32 v1, v1, v6 :: v_dual_lshlrev_b32 v0, 1, v3
	v_lshlrev_b32_e32 v6, 2, v8
	v_subrev_nc_u32_e32 v8, 32, v3
	s_delay_alu instid0(VALU_DEP_3) | instskip(NEXT) | instid1(VALU_DEP_1)
	v_add_co_u32 v9, s4, s4, v0
	v_add_co_ci_u32_e64 v10, null, s5, 0, s4
	v_lshlrev_b32_e32 v7, 2, v1
	s_delay_alu instid0(VALU_DEP_3) | instskip(NEXT) | instid1(VALU_DEP_3)
	v_add_co_u32 v0, vcc_lo, s18, v9
	v_add_co_ci_u32_e32 v1, vcc_lo, s19, v10, vcc_lo
	v_add_co_u32 v2, vcc_lo, s16, v9
	v_add_co_ci_u32_e32 v3, vcc_lo, s17, v10, vcc_lo
	v_lshl_add_u32 v9, v11, 2, 0
                                        ; implicit-def: $vgpr10
                                        ; implicit-def: $vgpr11
	s_branch .LBB81_14
.LBB81_13:                              ;   in Loop: Header=BB81_14 Depth=1
	s_or_b32 exec_lo, exec_lo, s4
	v_add_co_u32 v0, vcc_lo, v0, 64
	v_add_co_u32 v8, s4, v8, 32
	v_add_co_ci_u32_e32 v1, vcc_lo, 0, v1, vcc_lo
	v_add_co_u32 v2, vcc_lo, v2, 64
	s_xor_b32 s4, s4, -1
	v_add_co_ci_u32_e32 v3, vcc_lo, 0, v3, vcc_lo
	v_add_nc_u32_e32 v9, 0x80, v9
	s_and_b32 s4, exec_lo, s4
	s_delay_alu instid0(SALU_CYCLE_1) | instskip(NEXT) | instid1(SALU_CYCLE_1)
	s_or_b32 s15, s4, s15
	s_and_not1_b32 exec_lo, exec_lo, s15
	s_cbranch_execz .LBB81_21
.LBB81_14:                              ; =>This Inner Loop Header: Depth=1
	s_and_saveexec_b32 s4, s0
	s_cbranch_execz .LBB81_16
; %bb.15:                               ;   in Loop: Header=BB81_14 Depth=1
	ds_load_b32 v10, v9
	ds_load_b32 v11, v9 offset:4160
.LBB81_16:                              ;   in Loop: Header=BB81_14 Depth=1
	s_or_b32 exec_lo, exec_lo, s4
	s_waitcnt lgkmcnt(1)
	ds_bpermute_b32 v12, v4, v10
	s_waitcnt lgkmcnt(1)
	ds_bpermute_b32 v13, v4, v11
	s_waitcnt lgkmcnt(0)
	v_dual_add_f32 v10, v10, v12 :: v_dual_add_f32 v11, v11, v13
	ds_bpermute_b32 v12, v5, v10
	ds_bpermute_b32 v13, v5, v11
	s_waitcnt lgkmcnt(0)
	v_dual_add_f32 v10, v10, v12 :: v_dual_add_f32 v11, v11, v13
	ds_bpermute_b32 v12, v6, v10
	;; [unrolled: 4-line block ×3, first 2 shown]
	ds_bpermute_b32 v13, v7, v11
	s_waitcnt lgkmcnt(0)
	v_dual_add_f32 v10, v10, v12 :: v_dual_add_f32 v11, v11, v13
	s_and_saveexec_b32 s4, s1
	s_cbranch_execz .LBB81_13
; %bb.17:                               ;   in Loop: Header=BB81_14 Depth=1
	s_and_not1_b32 vcc_lo, exec_lo, s2
	s_cbranch_vccnz .LBB81_19
; %bb.18:                               ;   in Loop: Header=BB81_14 Depth=1
	v_cvt_f16_f32_e32 v12, v10
	global_store_b16 v[2:3], v12, off
.LBB81_19:                              ;   in Loop: Header=BB81_14 Depth=1
	s_and_not1_b32 vcc_lo, exec_lo, s3
	s_cbranch_vccnz .LBB81_13
; %bb.20:                               ;   in Loop: Header=BB81_14 Depth=1
	v_cvt_f16_f32_e32 v12, v11
	global_store_b16 v[0:1], v12, off
	s_branch .LBB81_13
.LBB81_21:
	s_nop 0
	s_sendmsg sendmsg(MSG_DEALLOC_VGPRS)
	s_endpgm
	.section	.rodata,"a",@progbits
	.p2align	6, 0x0
	.amdhsa_kernel _ZN2at6native12_GLOBAL__N_135GammaBetaBackwardCUDAKernelTemplateIN3c104HalfEfLj64ELj16ELj256ELb0ELb1ELb0EEEvllPKT_S7_PKT0_SA_PS5_SB_
		.amdhsa_group_segment_fixed_size 0
		.amdhsa_private_segment_fixed_size 0
		.amdhsa_kernarg_size 320
		.amdhsa_user_sgpr_count 14
		.amdhsa_user_sgpr_dispatch_ptr 0
		.amdhsa_user_sgpr_queue_ptr 0
		.amdhsa_user_sgpr_kernarg_segment_ptr 1
		.amdhsa_user_sgpr_dispatch_id 0
		.amdhsa_user_sgpr_private_segment_size 0
		.amdhsa_wavefront_size32 1
		.amdhsa_uses_dynamic_stack 0
		.amdhsa_enable_private_segment 0
		.amdhsa_system_sgpr_workgroup_id_x 1
		.amdhsa_system_sgpr_workgroup_id_y 1
		.amdhsa_system_sgpr_workgroup_id_z 0
		.amdhsa_system_sgpr_workgroup_info 0
		.amdhsa_system_vgpr_workitem_id 1
		.amdhsa_next_free_vgpr 90
		.amdhsa_next_free_sgpr 28
		.amdhsa_reserve_vcc 1
		.amdhsa_float_round_mode_32 0
		.amdhsa_float_round_mode_16_64 0
		.amdhsa_float_denorm_mode_32 3
		.amdhsa_float_denorm_mode_16_64 3
		.amdhsa_dx10_clamp 1
		.amdhsa_ieee_mode 1
		.amdhsa_fp16_overflow 0
		.amdhsa_workgroup_processor_mode 1
		.amdhsa_memory_ordered 1
		.amdhsa_forward_progress 0
		.amdhsa_shared_vgpr_count 0
		.amdhsa_exception_fp_ieee_invalid_op 0
		.amdhsa_exception_fp_denorm_src 0
		.amdhsa_exception_fp_ieee_div_zero 0
		.amdhsa_exception_fp_ieee_overflow 0
		.amdhsa_exception_fp_ieee_underflow 0
		.amdhsa_exception_fp_ieee_inexact 0
		.amdhsa_exception_int_div_zero 0
	.end_amdhsa_kernel
	.section	.text._ZN2at6native12_GLOBAL__N_135GammaBetaBackwardCUDAKernelTemplateIN3c104HalfEfLj64ELj16ELj256ELb0ELb1ELb0EEEvllPKT_S7_PKT0_SA_PS5_SB_,"axG",@progbits,_ZN2at6native12_GLOBAL__N_135GammaBetaBackwardCUDAKernelTemplateIN3c104HalfEfLj64ELj16ELj256ELb0ELb1ELb0EEEvllPKT_S7_PKT0_SA_PS5_SB_,comdat
.Lfunc_end81:
	.size	_ZN2at6native12_GLOBAL__N_135GammaBetaBackwardCUDAKernelTemplateIN3c104HalfEfLj64ELj16ELj256ELb0ELb1ELb0EEEvllPKT_S7_PKT0_SA_PS5_SB_, .Lfunc_end81-_ZN2at6native12_GLOBAL__N_135GammaBetaBackwardCUDAKernelTemplateIN3c104HalfEfLj64ELj16ELj256ELb0ELb1ELb0EEEvllPKT_S7_PKT0_SA_PS5_SB_
                                        ; -- End function
	.section	.AMDGPU.csdata,"",@progbits
; Kernel info:
; codeLenInByte = 2700
; NumSgprs: 30
; NumVgprs: 90
; ScratchSize: 0
; MemoryBound: 0
; FloatMode: 240
; IeeeMode: 1
; LDSByteSize: 0 bytes/workgroup (compile time only)
; SGPRBlocks: 3
; VGPRBlocks: 11
; NumSGPRsForWavesPerEU: 30
; NumVGPRsForWavesPerEU: 90
; Occupancy: 16
; WaveLimiterHint : 0
; COMPUTE_PGM_RSRC2:SCRATCH_EN: 0
; COMPUTE_PGM_RSRC2:USER_SGPR: 14
; COMPUTE_PGM_RSRC2:TRAP_HANDLER: 0
; COMPUTE_PGM_RSRC2:TGID_X_EN: 1
; COMPUTE_PGM_RSRC2:TGID_Y_EN: 1
; COMPUTE_PGM_RSRC2:TGID_Z_EN: 0
; COMPUTE_PGM_RSRC2:TIDIG_COMP_CNT: 1
	.section	.text._ZN2at6native12_GLOBAL__N_135GammaBetaBackwardCUDAKernelTemplateIN3c104HalfEfLj64ELj16ELj256ELb0ELb0ELb0EEEvllPKT_S7_PKT0_SA_PS5_SB_,"axG",@progbits,_ZN2at6native12_GLOBAL__N_135GammaBetaBackwardCUDAKernelTemplateIN3c104HalfEfLj64ELj16ELj256ELb0ELb0ELb0EEEvllPKT_S7_PKT0_SA_PS5_SB_,comdat
	.globl	_ZN2at6native12_GLOBAL__N_135GammaBetaBackwardCUDAKernelTemplateIN3c104HalfEfLj64ELj16ELj256ELb0ELb0ELb0EEEvllPKT_S7_PKT0_SA_PS5_SB_ ; -- Begin function _ZN2at6native12_GLOBAL__N_135GammaBetaBackwardCUDAKernelTemplateIN3c104HalfEfLj64ELj16ELj256ELb0ELb0ELb0EEEvllPKT_S7_PKT0_SA_PS5_SB_
	.p2align	8
	.type	_ZN2at6native12_GLOBAL__N_135GammaBetaBackwardCUDAKernelTemplateIN3c104HalfEfLj64ELj16ELj256ELb0ELb0ELb0EEEvllPKT_S7_PKT0_SA_PS5_SB_,@function
_ZN2at6native12_GLOBAL__N_135GammaBetaBackwardCUDAKernelTemplateIN3c104HalfEfLj64ELj16ELj256ELb0ELb0ELb0EEEvllPKT_S7_PKT0_SA_PS5_SB_: ; @_ZN2at6native12_GLOBAL__N_135GammaBetaBackwardCUDAKernelTemplateIN3c104HalfEfLj64ELj16ELj256ELb0ELb0ELb0EEEvllPKT_S7_PKT0_SA_PS5_SB_
; %bb.0:
	s_clause 0x1
	s_load_b256 s[4:11], s[0:1], 0x0
	s_load_b128 s[36:39], s[0:1], 0x20
	s_mov_b32 s35, 0
	s_lshl_b32 s12, s15, 8
	s_mov_b32 s13, s35
	s_lshl_b32 s33, s14, 6
	s_delay_alu instid0(SALU_CYCLE_1) | instskip(SKIP_3) | instid1(VALU_DEP_2)
	s_or_b32 s34, s33, 63
	s_waitcnt lgkmcnt(0)
	v_cmp_lt_i64_e64 s15, s[12:13], s[4:5]
	v_cmp_ge_i64_e64 s2, s[34:35], s[6:7]
	v_cndmask_b32_e64 v1, 0, 1, s15
	s_delay_alu instid0(VALU_DEP_2) | instskip(NEXT) | instid1(VALU_DEP_1)
	s_and_b32 vcc_lo, exec_lo, s2
	v_cmp_ne_u32_e64 s2, 1, v1
	s_cbranch_vccz .LBB82_81
; %bb.1:
	v_mov_b32_e32 v1, 0
	v_mov_b32_e32 v113, 0
	s_delay_alu instid0(VALU_DEP_3)
	s_and_b32 vcc_lo, exec_lo, s2
	s_cbranch_vccnz .LBB82_82
; %bb.2:
	v_bfe_u32 v51, v0, 10, 10
	v_and_b32_e32 v53, 0x3ff, v0
	s_load_b32 s3, s[0:1], 0x44
	s_add_u32 s40, s0, 64
	s_addc_u32 s41, s1, 0
	v_dual_mov_b32 v113, 0 :: v_dual_lshlrev_b32 v52, 4, v51
	v_mov_b32_e32 v119, 0
	s_mov_b32 s16, 0
	s_mov_b64 s[46:47], s[12:13]
	s_delay_alu instid0(VALU_DEP_2) | instskip(NEXT) | instid1(VALU_DEP_1)
	v_add_co_u32 v9, s2, v52, s12
	v_add_co_ci_u32_e64 v10, null, 0, 0, s2
	s_delay_alu instid0(VALU_DEP_2) | instskip(NEXT) | instid1(VALU_DEP_2)
	v_add_co_u32 v1, vcc_lo, v9, 15
	v_add_co_ci_u32_e32 v2, vcc_lo, 0, v10, vcc_lo
	v_add_co_u32 v7, vcc_lo, v9, 14
	s_delay_alu instid0(VALU_DEP_3) | instskip(NEXT) | instid1(VALU_DEP_3)
	v_mul_lo_u32 v5, s7, v1
	v_mul_lo_u32 v6, s6, v2
	v_mad_u64_u32 v[3:4], null, s6, v1, 0
	v_dual_mov_b32 v2, 0 :: v_dual_add_nc_u32 v1, s33, v53
	s_waitcnt lgkmcnt(0)
	s_lshl_b32 s34, s3, 8
	s_delay_alu instid0(SALU_CYCLE_1) | instskip(SKIP_1) | instid1(VALU_DEP_2)
	s_mul_i32 s3, s7, s34
	s_mul_hi_u32 s17, s6, s34
	v_add3_u32 v4, v4, v6, v5
	v_add_co_ci_u32_e32 v5, vcc_lo, 0, v10, vcc_lo
	v_cmp_gt_i64_e64 s2, s[6:7], v[1:2]
	v_lshlrev_b64 v[49:50], 1, v[1:2]
	s_delay_alu instid0(VALU_DEP_4) | instskip(SKIP_4) | instid1(VALU_DEP_4)
	v_lshlrev_b64 v[3:4], 1, v[3:4]
	v_mul_lo_u32 v1, s7, v7
	v_mul_lo_u32 v11, s6, v5
	v_mad_u64_u32 v[5:6], null, s6, v7, 0
	s_add_i32 s19, s17, s3
	v_add_co_u32 v54, vcc_lo, s8, v3
	v_add_co_ci_u32_e32 v55, vcc_lo, s9, v4, vcc_lo
	v_add_co_u32 v12, vcc_lo, v9, 13
	v_add_co_ci_u32_e32 v8, vcc_lo, 0, v10, vcc_lo
	v_add3_u32 v6, v6, v11, v1
	s_delay_alu instid0(VALU_DEP_3) | instskip(SKIP_1) | instid1(VALU_DEP_4)
	v_mul_lo_u32 v13, s7, v12
	v_add_co_u32 v56, vcc_lo, s10, v3
	v_mul_lo_u32 v14, s6, v8
	v_mad_u64_u32 v[7:8], null, s6, v12, 0
	v_add_co_ci_u32_e32 v57, vcc_lo, s11, v4, vcc_lo
	v_lshlrev_b64 v[3:4], 1, v[5:6]
	v_add_co_u32 v1, vcc_lo, v9, 12
	v_add_co_ci_u32_e32 v11, vcc_lo, 0, v10, vcc_lo
	v_add3_u32 v8, v8, v14, v13
	s_delay_alu instid0(VALU_DEP_4) | instskip(SKIP_1) | instid1(VALU_DEP_3)
	v_add_co_u32 v58, vcc_lo, s8, v3
	v_add_co_ci_u32_e32 v59, vcc_lo, s9, v4, vcc_lo
	v_lshlrev_b64 v[5:6], 1, v[7:8]
	v_add_co_u32 v60, vcc_lo, s10, v3
	v_mul_lo_u32 v12, s7, v1
	v_mul_lo_u32 v11, s6, v11
	v_mad_u64_u32 v[7:8], null, s6, v1, 0
	v_add_co_ci_u32_e32 v61, vcc_lo, s11, v4, vcc_lo
	v_add_co_u32 v62, vcc_lo, s8, v5
	v_add_co_ci_u32_e32 v63, vcc_lo, s9, v6, vcc_lo
	v_add_co_u32 v1, vcc_lo, v9, 11
	v_add_co_u32 v64, s3, s10, v5
	v_add_co_ci_u32_e32 v5, vcc_lo, 0, v10, vcc_lo
	v_add3_u32 v8, v8, v11, v12
	v_add_co_u32 v12, vcc_lo, v9, 10
	v_add_co_ci_u32_e64 v65, s3, s11, v6, s3
	v_mul_lo_u32 v11, s7, v1
	v_mul_lo_u32 v13, s6, v5
	v_mad_u64_u32 v[5:6], null, s6, v1, 0
	v_lshlrev_b64 v[3:4], 1, v[7:8]
	v_add_co_ci_u32_e32 v7, vcc_lo, 0, v10, vcc_lo
	v_mul_lo_u32 v1, s7, v12
	s_mul_i32 s18, s6, s34
	s_delay_alu instid0(VALU_DEP_2)
	v_mul_lo_u32 v14, s6, v7
	v_mad_u64_u32 v[7:8], null, s6, v12, 0
	v_add_co_u32 v66, vcc_lo, s8, v3
	v_add3_u32 v6, v6, v13, v11
	v_add_co_ci_u32_e32 v67, vcc_lo, s9, v4, vcc_lo
	v_add_co_u32 v68, vcc_lo, s10, v3
	v_add_co_ci_u32_e32 v69, vcc_lo, s11, v4, vcc_lo
	s_delay_alu instid0(VALU_DEP_4) | instskip(SKIP_3) | instid1(VALU_DEP_4)
	v_lshlrev_b64 v[3:4], 1, v[5:6]
	v_add3_u32 v8, v8, v14, v1
	v_add_co_u32 v1, vcc_lo, v9, 9
	v_add_co_ci_u32_e32 v11, vcc_lo, 0, v10, vcc_lo
	v_add_co_u32 v70, vcc_lo, s8, v3
	s_delay_alu instid0(VALU_DEP_4)
	v_lshlrev_b64 v[5:6], 1, v[7:8]
	v_add_co_ci_u32_e32 v71, vcc_lo, s9, v4, vcc_lo
	v_add_co_u32 v72, vcc_lo, s10, v3
	v_mul_lo_u32 v12, s7, v1
	v_mul_lo_u32 v11, s6, v11
	v_mad_u64_u32 v[7:8], null, s6, v1, 0
	v_add_co_ci_u32_e32 v73, vcc_lo, s11, v4, vcc_lo
	v_add_co_u32 v74, vcc_lo, s8, v5
	v_add_co_ci_u32_e32 v75, vcc_lo, s9, v6, vcc_lo
	v_add_co_u32 v1, vcc_lo, v9, 8
	v_add_co_u32 v76, s3, s10, v5
	v_add_co_ci_u32_e32 v5, vcc_lo, 0, v10, vcc_lo
	v_add3_u32 v8, v8, v11, v12
	v_add_co_u32 v12, vcc_lo, v9, 7
	v_add_co_ci_u32_e64 v77, s3, s11, v6, s3
	v_mul_lo_u32 v11, s7, v1
	v_mul_lo_u32 v13, s6, v5
	v_mad_u64_u32 v[5:6], null, s6, v1, 0
	v_lshlrev_b64 v[3:4], 1, v[7:8]
	v_add_co_ci_u32_e32 v7, vcc_lo, 0, v10, vcc_lo
	v_mul_lo_u32 v1, s7, v12
	s_lshl_b64 s[42:43], s[18:19], 1
	s_add_u32 s44, s12, 0xff
	s_delay_alu instid0(VALU_DEP_2)
	v_mul_lo_u32 v14, s6, v7
	v_mad_u64_u32 v[7:8], null, s6, v12, 0
	v_add_co_u32 v78, vcc_lo, s8, v3
	v_add3_u32 v6, v6, v13, v11
	v_add_co_ci_u32_e32 v79, vcc_lo, s9, v4, vcc_lo
	v_add_co_u32 v80, vcc_lo, s10, v3
	v_add_co_ci_u32_e32 v81, vcc_lo, s11, v4, vcc_lo
	s_delay_alu instid0(VALU_DEP_4) | instskip(SKIP_3) | instid1(VALU_DEP_4)
	v_lshlrev_b64 v[3:4], 1, v[5:6]
	v_add3_u32 v8, v8, v14, v1
	v_add_co_u32 v1, vcc_lo, v9, 6
	v_add_co_ci_u32_e32 v11, vcc_lo, 0, v10, vcc_lo
	v_add_co_u32 v82, vcc_lo, s8, v3
	s_delay_alu instid0(VALU_DEP_4)
	v_lshlrev_b64 v[5:6], 1, v[7:8]
	v_add_co_ci_u32_e32 v83, vcc_lo, s9, v4, vcc_lo
	v_add_co_u32 v84, vcc_lo, s10, v3
	v_mul_lo_u32 v12, s7, v1
	v_mul_lo_u32 v11, s6, v11
	v_mad_u64_u32 v[7:8], null, s6, v1, 0
	v_add_co_ci_u32_e32 v85, vcc_lo, s11, v4, vcc_lo
	v_add_co_u32 v86, vcc_lo, s8, v5
	v_add_co_ci_u32_e32 v87, vcc_lo, s9, v6, vcc_lo
	v_add_co_u32 v1, vcc_lo, v9, 5
	v_add_co_u32 v88, s3, s10, v5
	v_add_co_ci_u32_e32 v5, vcc_lo, 0, v10, vcc_lo
	v_add3_u32 v8, v8, v11, v12
	v_add_co_u32 v12, vcc_lo, v9, 4
	v_add_co_ci_u32_e64 v89, s3, s11, v6, s3
	v_mul_lo_u32 v11, s7, v1
	v_mul_lo_u32 v13, s6, v5
	v_mad_u64_u32 v[5:6], null, s6, v1, 0
	v_lshlrev_b64 v[3:4], 1, v[7:8]
	v_add_co_ci_u32_e32 v7, vcc_lo, 0, v10, vcc_lo
	v_mul_lo_u32 v1, s7, v12
	s_addc_u32 s45, 0, 0
	s_delay_alu instid0(VALU_DEP_2)
	v_mul_lo_u32 v14, s6, v7
	v_mad_u64_u32 v[7:8], null, s6, v12, 0
	v_add_co_u32 v90, vcc_lo, s8, v3
	v_add3_u32 v6, v6, v13, v11
	v_add_co_ci_u32_e32 v91, vcc_lo, s9, v4, vcc_lo
	v_add_co_u32 v92, vcc_lo, s10, v3
	v_add_co_ci_u32_e32 v93, vcc_lo, s11, v4, vcc_lo
	s_delay_alu instid0(VALU_DEP_4) | instskip(SKIP_3) | instid1(VALU_DEP_4)
	v_lshlrev_b64 v[3:4], 1, v[5:6]
	v_add3_u32 v8, v8, v14, v1
	v_add_co_u32 v1, vcc_lo, v9, 3
	v_add_co_ci_u32_e32 v11, vcc_lo, 0, v10, vcc_lo
	v_add_co_u32 v94, vcc_lo, s8, v3
	s_delay_alu instid0(VALU_DEP_4)
	v_lshlrev_b64 v[5:6], 1, v[7:8]
	v_add_co_ci_u32_e32 v95, vcc_lo, s9, v4, vcc_lo
	v_mul_lo_u32 v12, s7, v1
	v_mul_lo_u32 v11, s6, v11
	v_mad_u64_u32 v[7:8], null, s6, v1, 0
	v_add_co_u32 v96, vcc_lo, s10, v3
	v_add_co_ci_u32_e32 v97, vcc_lo, s11, v4, vcc_lo
	v_add_co_u32 v98, vcc_lo, s8, v5
	v_add_co_ci_u32_e32 v99, vcc_lo, s9, v6, vcc_lo
	v_add_co_u32 v1, vcc_lo, v9, 2
	v_add3_u32 v8, v8, v11, v12
	v_add_co_ci_u32_e32 v11, vcc_lo, 0, v10, vcc_lo
	v_add_co_u32 v100, vcc_lo, s10, v5
	v_add_co_ci_u32_e32 v101, vcc_lo, s11, v6, vcc_lo
	v_mul_lo_u32 v12, s7, v1
	s_delay_alu instid0(VALU_DEP_4)
	v_mul_lo_u32 v11, s6, v11
	v_mad_u64_u32 v[5:6], null, s6, v1, 0
	v_lshlrev_b64 v[3:4], 1, v[7:8]
	v_mul_lo_u32 v1, s7, v9
	v_mul_lo_u32 v10, s6, v10
	v_mad_u64_u32 v[7:8], null, s6, v9, 0
	s_delay_alu instid0(VALU_DEP_4)
	v_add_co_u32 v102, vcc_lo, s8, v3
	v_add3_u32 v6, v6, v11, v12
	v_add_co_ci_u32_e32 v103, vcc_lo, s9, v4, vcc_lo
	v_add_co_u32 v104, vcc_lo, s10, v3
	v_add3_u32 v8, v8, v10, v1
	v_add_co_ci_u32_e32 v105, vcc_lo, s11, v4, vcc_lo
	v_lshlrev_b64 v[3:4], 1, v[5:6]
	v_add_co_u32 v5, vcc_lo, v7, s6
	s_delay_alu instid0(VALU_DEP_4) | instskip(NEXT) | instid1(VALU_DEP_3)
	v_add_co_ci_u32_e32 v6, vcc_lo, s7, v8, vcc_lo
	v_add_co_u32 v106, vcc_lo, s8, v3
	s_delay_alu instid0(VALU_DEP_2) | instskip(SKIP_3) | instid1(VALU_DEP_4)
	v_lshlrev_b64 v[5:6], 1, v[5:6]
	v_add_co_ci_u32_e32 v107, vcc_lo, s9, v4, vcc_lo
	v_add_co_u32 v108, vcc_lo, s10, v3
	v_add_co_ci_u32_e32 v109, vcc_lo, s11, v4, vcc_lo
	v_add_co_u32 v110, vcc_lo, s8, v5
	v_lshlrev_b64 v[3:4], 1, v[7:8]
	v_add_co_ci_u32_e32 v111, vcc_lo, s9, v6, vcc_lo
	v_add_co_u32 v112, vcc_lo, s10, v5
	v_add_co_ci_u32_e32 v114, vcc_lo, s11, v6, vcc_lo
	s_delay_alu instid0(VALU_DEP_4)
	v_add_co_u32 v115, vcc_lo, s8, v3
	v_add_co_ci_u32_e32 v116, vcc_lo, s9, v4, vcc_lo
	v_add_co_u32 v117, vcc_lo, s10, v3
	v_add_co_ci_u32_e32 v118, vcc_lo, s11, v4, vcc_lo
.LBB82_3:                               ; =>This Inner Loop Header: Depth=1
	v_cmp_ge_i64_e64 s3, s[44:45], s[4:5]
	v_add_co_u32 v120, s17, v52, s44
	s_delay_alu instid0(VALU_DEP_1) | instskip(NEXT) | instid1(VALU_DEP_3)
	v_add_co_ci_u32_e64 v121, null, 0, s45, s17
	s_and_b32 vcc_lo, exec_lo, s3
	s_cbranch_vccz .LBB82_41
; %bb.4:                                ;   in Loop: Header=BB82_3 Depth=1
	s_load_b32 s3, s[40:41], 0xc
	v_dual_mov_b32 v123, 0 :: v_dual_mov_b32 v122, 0
	s_waitcnt lgkmcnt(0)
	s_and_b32 s3, s3, 0xffff
	s_delay_alu instid0(SALU_CYCLE_1) | instskip(SKIP_1) | instid1(VALU_DEP_1)
	v_mad_u32_u24 v1, v51, s3, v53
	s_mov_b32 s3, exec_lo
	v_and_b32_e32 v1, 31, v1
	s_delay_alu instid0(VALU_DEP_1)
	v_cmpx_gt_u32_e32 16, v1
	s_cbranch_execz .LBB82_8
; %bb.5:                                ;   in Loop: Header=BB82_3 Depth=1
	v_add_co_u32 v1, vcc_lo, v120, v1
	v_add_co_ci_u32_e32 v4, vcc_lo, 0, v121, vcc_lo
	v_dual_mov_b32 v122, 0 :: v_dual_mov_b32 v123, 0
	s_delay_alu instid0(VALU_DEP_3) | instskip(NEXT) | instid1(VALU_DEP_3)
	v_add_co_u32 v3, vcc_lo, 0xffffff01, v1
	v_add_co_ci_u32_e32 v4, vcc_lo, -1, v4, vcc_lo
	s_mov_b32 s17, exec_lo
	s_delay_alu instid0(VALU_DEP_1)
	v_cmpx_gt_i64_e64 s[4:5], v[3:4]
	s_cbranch_execz .LBB82_7
; %bb.6:                                ;   in Loop: Header=BB82_3 Depth=1
	v_lshlrev_b64 v[3:4], 2, v[3:4]
	s_delay_alu instid0(VALU_DEP_1) | instskip(NEXT) | instid1(VALU_DEP_2)
	v_add_co_u32 v5, vcc_lo, s36, v3
	v_add_co_ci_u32_e32 v6, vcc_lo, s37, v4, vcc_lo
	v_add_co_u32 v3, vcc_lo, s38, v3
	v_add_co_ci_u32_e32 v4, vcc_lo, s39, v4, vcc_lo
	global_load_b32 v122, v[5:6], off
	global_load_b32 v123, v[3:4], off
.LBB82_7:                               ;   in Loop: Header=BB82_3 Depth=1
	s_or_b32 exec_lo, exec_lo, s17
.LBB82_8:                               ;   in Loop: Header=BB82_3 Depth=1
	s_delay_alu instid0(SALU_CYCLE_1)
	s_or_b32 exec_lo, exec_lo, s3
	v_add_co_u32 v3, vcc_lo, 0xffffff01, v120
	s_mov_b32 s31, s16
	v_add_co_ci_u32_e32 v4, vcc_lo, -1, v121, vcc_lo
	s_mov_b32 s17, s16
	s_mov_b32 s18, s16
	;; [unrolled: 1-line block ×14, first 2 shown]
	s_delay_alu instid0(SALU_CYCLE_1)
	v_dual_mov_b32 v32, s31 :: v_dual_mov_b32 v31, s30
	v_dual_mov_b32 v30, s29 :: v_dual_mov_b32 v29, s28
	;; [unrolled: 1-line block ×8, first 2 shown]
	v_cmp_gt_i64_e32 vcc_lo, s[4:5], v[3:4]
	v_dual_mov_b32 v48, v32 :: v_dual_mov_b32 v47, v31
	v_dual_mov_b32 v46, v30 :: v_dual_mov_b32 v45, v29
	;; [unrolled: 1-line block ×8, first 2 shown]
	s_and_b32 s17, s2, vcc_lo
	s_delay_alu instid0(SALU_CYCLE_1)
	s_and_saveexec_b32 s3, s17
	s_cbranch_execz .LBB82_10
; %bb.9:                                ;   in Loop: Header=BB82_3 Depth=1
	v_add_co_u32 v3, vcc_lo, v115, v49
	v_add_co_ci_u32_e32 v4, vcc_lo, v116, v50, vcc_lo
	v_add_co_u32 v5, vcc_lo, v117, v49
	v_add_co_ci_u32_e32 v6, vcc_lo, v118, v50, vcc_lo
	v_mov_b32_e32 v16, v2
	global_load_u16 v1, v[3:4], off
	global_load_u16 v17, v[5:6], off
	v_mov_b32_e32 v3, v2
	v_mov_b32_e32 v4, v2
	;; [unrolled: 1-line block ×17, first 2 shown]
	s_waitcnt vmcnt(1)
	v_cvt_f32_f16_e32 v1, v1
	v_dual_mov_b32 v19, v2 :: v_dual_mov_b32 v48, v16
	v_dual_mov_b32 v18, v2 :: v_dual_mov_b32 v47, v15
	;; [unrolled: 1-line block ×9, first 2 shown]
	s_waitcnt vmcnt(0)
	v_cvt_f32_f16_e32 v17, v17
	v_dual_mov_b32 v28, v2 :: v_dual_mov_b32 v37, v5
	v_dual_mov_b32 v30, v2 :: v_dual_mov_b32 v35, v3
	;; [unrolled: 1-line block ×3, first 2 shown]
	v_mov_b32_e32 v42, v10
	v_mov_b32_e32 v38, v6
	;; [unrolled: 1-line block ×3, first 2 shown]
.LBB82_10:                              ;   in Loop: Header=BB82_3 Depth=1
	s_or_b32 exec_lo, exec_lo, s3
	v_add_co_u32 v3, vcc_lo, 0xffffff02, v120
	v_add_co_ci_u32_e32 v4, vcc_lo, -1, v121, vcc_lo
	s_delay_alu instid0(VALU_DEP_1) | instskip(SKIP_1) | instid1(SALU_CYCLE_1)
	v_cmp_gt_i64_e32 vcc_lo, s[4:5], v[3:4]
	s_and_b32 s17, s2, vcc_lo
	s_and_saveexec_b32 s3, s17
	s_cbranch_execz .LBB82_12
; %bb.11:                               ;   in Loop: Header=BB82_3 Depth=1
	v_add_co_u32 v3, vcc_lo, v110, v49
	v_add_co_ci_u32_e32 v4, vcc_lo, v111, v50, vcc_lo
	v_add_co_u32 v5, vcc_lo, v112, v49
	v_add_co_ci_u32_e32 v6, vcc_lo, v114, v50, vcc_lo
	global_load_u16 v1, v[3:4], off
	global_load_u16 v3, v[5:6], off
	s_waitcnt vmcnt(1)
	v_cvt_f32_f16_e32 v34, v1
	s_waitcnt vmcnt(0)
	v_cvt_f32_f16_e32 v18, v3
.LBB82_12:                              ;   in Loop: Header=BB82_3 Depth=1
	s_or_b32 exec_lo, exec_lo, s3
	v_add_co_u32 v3, vcc_lo, 0xffffff03, v120
	v_add_co_ci_u32_e32 v4, vcc_lo, -1, v121, vcc_lo
	s_delay_alu instid0(VALU_DEP_1) | instskip(SKIP_1) | instid1(SALU_CYCLE_1)
	v_cmp_gt_i64_e32 vcc_lo, s[4:5], v[3:4]
	s_and_b32 s17, s2, vcc_lo
	s_and_saveexec_b32 s3, s17
	s_cbranch_execz .LBB82_14
; %bb.13:                               ;   in Loop: Header=BB82_3 Depth=1
	v_add_co_u32 v3, vcc_lo, v106, v49
	v_add_co_ci_u32_e32 v4, vcc_lo, v107, v50, vcc_lo
	v_add_co_u32 v5, vcc_lo, v108, v49
	v_add_co_ci_u32_e32 v6, vcc_lo, v109, v50, vcc_lo
	global_load_u16 v1, v[3:4], off
	global_load_u16 v3, v[5:6], off
	s_waitcnt vmcnt(1)
	v_cvt_f32_f16_e32 v35, v1
	s_waitcnt vmcnt(0)
	v_cvt_f32_f16_e32 v19, v3
.LBB82_14:                              ;   in Loop: Header=BB82_3 Depth=1
	;; [unrolled: 20-line block ×15, first 2 shown]
	s_or_b32 exec_lo, exec_lo, s3
	s_waitcnt vmcnt(1)
	ds_bpermute_b32 v1, v2, v122
	ds_bpermute_b32 v3, v2, v122 offset:4
	ds_bpermute_b32 v6, v2, v122 offset:8
	ds_bpermute_b32 v10, v2, v122 offset:12
	s_waitcnt vmcnt(0)
	ds_bpermute_b32 v4, v2, v123
	ds_bpermute_b32 v7, v2, v123 offset:4
	ds_bpermute_b32 v8, v2, v123 offset:8
	v_add_f32_e32 v5, v113, v33
	ds_bpermute_b32 v12, v2, v122 offset:16
	ds_bpermute_b32 v16, v2, v122 offset:24
	;; [unrolled: 1-line block ×10, first 2 shown]
	s_waitcnt lgkmcnt(16)
	v_sub_f32_e32 v1, v17, v1
	ds_bpermute_b32 v17, v2, v122 offset:28
	s_waitcnt lgkmcnt(15)
	v_sub_f32_e32 v6, v19, v6
	s_waitcnt lgkmcnt(14)
	v_dual_sub_f32 v10, v20, v10 :: v_dual_sub_f32 v3, v18, v3
	v_mul_f32_e32 v1, v33, v1
	ds_bpermute_b32 v19, v2, v122 offset:40
	v_mul_f32_e32 v6, v35, v6
	v_dual_mul_f32 v10, v36, v10 :: v_dual_mul_f32 v3, v34, v3
	s_waitcnt lgkmcnt(14)
	v_fma_f32 v1, v1, v4, v119
	ds_bpermute_b32 v33, v2, v122 offset:36
	ds_bpermute_b32 v18, v2, v123 offset:36
	;; [unrolled: 1-line block ×3, first 2 shown]
	s_waitcnt lgkmcnt(16)
	v_fmac_f32_e32 v1, v3, v7
	s_waitcnt lgkmcnt(14)
	v_sub_f32_e32 v7, v21, v12
	s_waitcnt lgkmcnt(10)
	s_delay_alu instid0(VALU_DEP_2)
	v_dual_sub_f32 v12, v25, v126 :: v_dual_fmac_f32 v1, v6, v8
	ds_bpermute_b32 v6, v2, v122 offset:44
	v_sub_f32_e32 v8, v22, v14
	v_dual_mul_f32 v12, v41, v12 :: v_dual_fmac_f32 v1, v10, v9
	v_dual_sub_f32 v10, v23, v16 :: v_dual_add_f32 v3, v34, v5
	s_waitcnt lgkmcnt(4)
	v_sub_f32_e32 v14, v27, v19
	v_dual_mul_f32 v7, v37, v7 :: v_dual_mul_f32 v8, v38, v8
	s_delay_alu instid0(VALU_DEP_3)
	v_mul_f32_e32 v10, v39, v10
	v_add_f32_e32 v3, v35, v3
	ds_bpermute_b32 v5, v2, v123 offset:44
	ds_bpermute_b32 v9, v2, v123 offset:48
	v_dual_mul_f32 v14, v43, v14 :: v_dual_add_f32 v3, v36, v3
	s_waitcnt lgkmcnt(2)
	v_dual_sub_f32 v6, v28, v6 :: v_dual_fmac_f32 v1, v7, v11
	ds_bpermute_b32 v7, v2, v122 offset:48
	v_mul_f32_e32 v6, v44, v6
	v_fmac_f32_e32 v1, v8, v13
	v_sub_f32_e32 v13, v26, v33
	ds_bpermute_b32 v8, v2, v123 offset:52
	v_fmac_f32_e32 v1, v10, v15
	ds_bpermute_b32 v10, v2, v122 offset:52
	v_add_f32_e32 v3, v37, v3
	v_mul_f32_e32 v13, v42, v13
	s_waitcnt lgkmcnt(2)
	v_sub_f32_e32 v7, v29, v7
	s_waitcnt lgkmcnt(0)
	s_delay_alu instid0(VALU_DEP_1) | instskip(NEXT) | instid1(VALU_DEP_1)
	v_dual_mul_f32 v7, v45, v7 :: v_dual_sub_f32 v10, v30, v10
	v_dual_sub_f32 v11, v24, v17 :: v_dual_mul_f32 v10, v46, v10
	s_delay_alu instid0(VALU_DEP_1) | instskip(NEXT) | instid1(VALU_DEP_1)
	v_mul_f32_e32 v11, v40, v11
	v_fmac_f32_e32 v1, v11, v124
	ds_bpermute_b32 v11, v2, v122 offset:56
	v_fmac_f32_e32 v1, v12, v125
	ds_bpermute_b32 v12, v2, v123 offset:56
	v_fmac_f32_e32 v1, v13, v18
	s_delay_alu instid0(VALU_DEP_1) | instskip(SKIP_4) | instid1(VALU_DEP_2)
	v_fmac_f32_e32 v1, v14, v4
	ds_bpermute_b32 v4, v2, v122 offset:60
	s_waitcnt lgkmcnt(2)
	v_dual_fmac_f32 v1, v6, v5 :: v_dual_sub_f32 v6, v31, v11
	v_add_f32_e32 v3, v38, v3
	v_fmac_f32_e32 v1, v7, v9
	s_delay_alu instid0(VALU_DEP_3) | instskip(NEXT) | instid1(VALU_DEP_3)
	v_mul_f32_e32 v6, v47, v6
	v_add_f32_e32 v3, v39, v3
	s_delay_alu instid0(VALU_DEP_3) | instskip(NEXT) | instid1(VALU_DEP_2)
	v_fmac_f32_e32 v1, v10, v8
	v_add_f32_e32 v3, v40, v3
	s_waitcnt lgkmcnt(1)
	s_delay_alu instid0(VALU_DEP_2) | instskip(NEXT) | instid1(VALU_DEP_2)
	v_fmac_f32_e32 v1, v6, v12
	v_add_f32_e32 v3, v41, v3
	s_delay_alu instid0(VALU_DEP_1) | instskip(SKIP_2) | instid1(VALU_DEP_1)
	v_add_f32_e32 v13, v42, v3
	ds_bpermute_b32 v3, v2, v123 offset:60
	v_add_f32_e32 v13, v43, v13
	v_add_f32_e32 v5, v44, v13
	s_delay_alu instid0(VALU_DEP_1) | instskip(NEXT) | instid1(VALU_DEP_1)
	v_add_f32_e32 v5, v45, v5
	v_add_f32_e32 v5, v46, v5
	s_delay_alu instid0(VALU_DEP_1)
	v_add_f32_e32 v5, v47, v5
	s_branch .LBB82_64
.LBB82_41:                              ;   in Loop: Header=BB82_3 Depth=1
                                        ; implicit-def: $vgpr3
                                        ; implicit-def: $vgpr17_vgpr18_vgpr19_vgpr20_vgpr21_vgpr22_vgpr23_vgpr24_vgpr25_vgpr26_vgpr27_vgpr28_vgpr29_vgpr30_vgpr31_vgpr32
                                        ; implicit-def: $vgpr33_vgpr34_vgpr35_vgpr36_vgpr37_vgpr38_vgpr39_vgpr40_vgpr41_vgpr42_vgpr43_vgpr44_vgpr45_vgpr46_vgpr47_vgpr48
                                        ; implicit-def: $vgpr4
                                        ; implicit-def: $vgpr1
                                        ; implicit-def: $vgpr5
	s_cbranch_execz .LBB82_64
; %bb.42:                               ;   in Loop: Header=BB82_3 Depth=1
	s_load_b32 s3, s[40:41], 0x0
	v_dual_mov_b32 v123, 0 :: v_dual_mov_b32 v122, 0
	s_waitcnt lgkmcnt(0)
	s_cmp_lt_u32 s14, s3
	s_cselect_b32 s3, 12, 18
	s_delay_alu instid0(SALU_CYCLE_1)
	s_add_u32 s18, s40, s3
	s_addc_u32 s19, s41, 0
	s_mov_b32 s3, exec_lo
	global_load_u16 v1, v2, s[18:19]
	s_waitcnt vmcnt(0)
	v_mad_u32_u24 v1, v51, v1, v53
	s_delay_alu instid0(VALU_DEP_1) | instskip(NEXT) | instid1(VALU_DEP_1)
	v_and_b32_e32 v1, 31, v1
	v_cmpx_gt_u32_e32 16, v1
	s_cbranch_execz .LBB82_46
; %bb.43:                               ;   in Loop: Header=BB82_3 Depth=1
	v_add_co_u32 v1, vcc_lo, v120, v1
	v_add_co_ci_u32_e32 v4, vcc_lo, 0, v121, vcc_lo
	v_dual_mov_b32 v122, 0 :: v_dual_mov_b32 v123, 0
	s_delay_alu instid0(VALU_DEP_3) | instskip(NEXT) | instid1(VALU_DEP_3)
	v_add_co_u32 v3, vcc_lo, 0xffffff01, v1
	v_add_co_ci_u32_e32 v4, vcc_lo, -1, v4, vcc_lo
	s_mov_b32 s17, exec_lo
	s_delay_alu instid0(VALU_DEP_1)
	v_cmpx_gt_i64_e64 s[4:5], v[3:4]
	s_cbranch_execz .LBB82_45
; %bb.44:                               ;   in Loop: Header=BB82_3 Depth=1
	v_lshlrev_b64 v[3:4], 2, v[3:4]
	s_delay_alu instid0(VALU_DEP_1) | instskip(NEXT) | instid1(VALU_DEP_2)
	v_add_co_u32 v5, vcc_lo, s36, v3
	v_add_co_ci_u32_e32 v6, vcc_lo, s37, v4, vcc_lo
	v_add_co_u32 v3, vcc_lo, s38, v3
	v_add_co_ci_u32_e32 v4, vcc_lo, s39, v4, vcc_lo
	global_load_b32 v122, v[5:6], off
	global_load_b32 v123, v[3:4], off
.LBB82_45:                              ;   in Loop: Header=BB82_3 Depth=1
	s_or_b32 exec_lo, exec_lo, s17
.LBB82_46:                              ;   in Loop: Header=BB82_3 Depth=1
	s_delay_alu instid0(SALU_CYCLE_1)
	s_or_b32 exec_lo, exec_lo, s3
	s_mov_b32 s31, s16
	s_mov_b32 s17, s16
	;; [unrolled: 1-line block ×15, first 2 shown]
	s_delay_alu instid0(SALU_CYCLE_1)
	v_dual_mov_b32 v32, s31 :: v_dual_mov_b32 v31, s30
	v_dual_mov_b32 v30, s29 :: v_dual_mov_b32 v29, s28
	;; [unrolled: 1-line block ×16, first 2 shown]
	s_and_saveexec_b32 s3, s2
	s_cbranch_execnz .LBB82_66
; %bb.47:                               ;   in Loop: Header=BB82_3 Depth=1
	s_or_b32 exec_lo, exec_lo, s3
	s_and_saveexec_b32 s3, s2
	s_cbranch_execnz .LBB82_67
.LBB82_48:                              ;   in Loop: Header=BB82_3 Depth=1
	s_or_b32 exec_lo, exec_lo, s3
	s_and_saveexec_b32 s3, s2
	s_cbranch_execnz .LBB82_68
.LBB82_49:                              ;   in Loop: Header=BB82_3 Depth=1
	s_or_b32 exec_lo, exec_lo, s3
	s_and_saveexec_b32 s3, s2
	s_cbranch_execnz .LBB82_69
.LBB82_50:                              ;   in Loop: Header=BB82_3 Depth=1
	s_or_b32 exec_lo, exec_lo, s3
	s_and_saveexec_b32 s3, s2
	s_cbranch_execnz .LBB82_70
.LBB82_51:                              ;   in Loop: Header=BB82_3 Depth=1
	s_or_b32 exec_lo, exec_lo, s3
	s_and_saveexec_b32 s3, s2
	s_cbranch_execnz .LBB82_71
.LBB82_52:                              ;   in Loop: Header=BB82_3 Depth=1
	s_or_b32 exec_lo, exec_lo, s3
	s_and_saveexec_b32 s3, s2
	s_cbranch_execnz .LBB82_72
.LBB82_53:                              ;   in Loop: Header=BB82_3 Depth=1
	s_or_b32 exec_lo, exec_lo, s3
	s_and_saveexec_b32 s3, s2
	s_cbranch_execnz .LBB82_73
.LBB82_54:                              ;   in Loop: Header=BB82_3 Depth=1
	s_or_b32 exec_lo, exec_lo, s3
	s_and_saveexec_b32 s3, s2
	s_cbranch_execnz .LBB82_74
.LBB82_55:                              ;   in Loop: Header=BB82_3 Depth=1
	s_or_b32 exec_lo, exec_lo, s3
	s_and_saveexec_b32 s3, s2
	s_cbranch_execnz .LBB82_75
.LBB82_56:                              ;   in Loop: Header=BB82_3 Depth=1
	s_or_b32 exec_lo, exec_lo, s3
	s_and_saveexec_b32 s3, s2
	s_cbranch_execnz .LBB82_76
.LBB82_57:                              ;   in Loop: Header=BB82_3 Depth=1
	s_or_b32 exec_lo, exec_lo, s3
	s_and_saveexec_b32 s3, s2
	s_cbranch_execnz .LBB82_77
.LBB82_58:                              ;   in Loop: Header=BB82_3 Depth=1
	s_or_b32 exec_lo, exec_lo, s3
	s_and_saveexec_b32 s3, s2
	s_cbranch_execnz .LBB82_78
.LBB82_59:                              ;   in Loop: Header=BB82_3 Depth=1
	s_or_b32 exec_lo, exec_lo, s3
	s_and_saveexec_b32 s3, s2
	s_cbranch_execnz .LBB82_79
.LBB82_60:                              ;   in Loop: Header=BB82_3 Depth=1
	s_or_b32 exec_lo, exec_lo, s3
	s_and_saveexec_b32 s3, s2
	s_cbranch_execnz .LBB82_80
.LBB82_61:                              ;   in Loop: Header=BB82_3 Depth=1
	s_or_b32 exec_lo, exec_lo, s3
	s_and_saveexec_b32 s3, s2
	s_cbranch_execz .LBB82_63
.LBB82_62:                              ;   in Loop: Header=BB82_3 Depth=1
	v_add_co_u32 v3, vcc_lo, v54, v49
	v_add_co_ci_u32_e32 v4, vcc_lo, v55, v50, vcc_lo
	v_add_co_u32 v5, vcc_lo, v56, v49
	v_add_co_ci_u32_e32 v6, vcc_lo, v57, v50, vcc_lo
	global_load_u16 v1, v[3:4], off
	global_load_u16 v3, v[5:6], off
	s_waitcnt vmcnt(1)
	v_cvt_f32_f16_e32 v48, v1
	s_waitcnt vmcnt(0)
	v_cvt_f32_f16_e32 v32, v3
.LBB82_63:                              ;   in Loop: Header=BB82_3 Depth=1
	s_or_b32 exec_lo, exec_lo, s3
	s_waitcnt vmcnt(1)
	ds_bpermute_b32 v1, v2, v122
	ds_bpermute_b32 v3, v2, v122 offset:4
	ds_bpermute_b32 v10, v2, v122 offset:12
	s_waitcnt vmcnt(0)
	ds_bpermute_b32 v4, v2, v123
	ds_bpermute_b32 v5, v2, v122 offset:8
	ds_bpermute_b32 v7, v2, v123 offset:4
	v_add_f32_e32 v6, v113, v33
	ds_bpermute_b32 v8, v2, v123 offset:8
	ds_bpermute_b32 v9, v2, v123 offset:12
	;; [unrolled: 1-line block ×10, first 2 shown]
	s_waitcnt lgkmcnt(15)
	v_sub_f32_e32 v1, v17, v1
	s_waitcnt lgkmcnt(13)
	v_dual_sub_f32 v3, v18, v3 :: v_dual_sub_f32 v10, v20, v10
	ds_bpermute_b32 v18, v2, v122 offset:32
	s_waitcnt lgkmcnt(12)
	v_sub_f32_e32 v5, v19, v5
	v_dual_mul_f32 v1, v33, v1 :: v_dual_add_f32 v6, v34, v6
	v_dual_mul_f32 v3, v34, v3 :: v_dual_mul_f32 v10, v36, v10
	ds_bpermute_b32 v17, v2, v123 offset:28
	v_dual_fmac_f32 v119, v1, v4 :: v_dual_add_f32 v6, v35, v6
	v_mul_f32_e32 v5, v35, v5
	ds_bpermute_b32 v1, v2, v122 offset:36
	ds_bpermute_b32 v33, v2, v123 offset:36
	s_waitcnt lgkmcnt(14)
	v_dual_fmac_f32 v119, v3, v7 :: v_dual_add_f32 v6, v36, v6
	ds_bpermute_b32 v3, v2, v122 offset:40
	ds_bpermute_b32 v4, v2, v123 offset:40
	v_add_f32_e32 v6, v37, v6
	s_waitcnt lgkmcnt(11)
	v_dual_fmac_f32 v119, v5, v8 :: v_dual_sub_f32 v8, v22, v14
	ds_bpermute_b32 v5, v2, v123 offset:44
	v_add_f32_e32 v6, v38, v6
	v_dual_fmac_f32 v119, v10, v9 :: v_dual_sub_f32 v10, v23, v16
	v_sub_f32_e32 v7, v21, v12
	v_mul_f32_e32 v8, v38, v8
	s_delay_alu instid0(VALU_DEP_4) | instskip(SKIP_4) | instid1(VALU_DEP_2)
	v_add_f32_e32 v6, v39, v6
	ds_bpermute_b32 v9, v2, v122 offset:44
	v_dual_mul_f32 v10, v39, v10 :: v_dual_mul_f32 v7, v37, v7
	s_waitcnt lgkmcnt(7)
	v_sub_f32_e32 v12, v25, v18
	v_dual_add_f32 v6, v40, v6 :: v_dual_fmac_f32 v119, v7, v11
	s_delay_alu instid0(VALU_DEP_2)
	v_dual_sub_f32 v11, v24, v113 :: v_dual_mul_f32 v12, v41, v12
	ds_bpermute_b32 v7, v2, v123 offset:48
	v_dual_add_f32 v6, v41, v6 :: v_dual_fmac_f32 v119, v8, v13
	v_mul_f32_e32 v11, v40, v11
	ds_bpermute_b32 v8, v2, v122 offset:48
	v_add_f32_e32 v6, v42, v6
	v_fmac_f32_e32 v119, v10, v15
	ds_bpermute_b32 v10, v2, v122 offset:52
	s_waitcnt lgkmcnt(8)
	v_dual_sub_f32 v1, v26, v1 :: v_dual_add_f32 v6, v43, v6
	v_fmac_f32_e32 v119, v11, v17
	ds_bpermute_b32 v11, v2, v123 offset:52
	v_dual_mul_f32 v1, v42, v1 :: v_dual_add_f32 v6, v44, v6
	v_fmac_f32_e32 v119, v12, v120
	ds_bpermute_b32 v12, v2, v122 offset:56
	s_waitcnt lgkmcnt(5)
	v_dual_sub_f32 v9, v28, v9 :: v_dual_add_f32 v6, v45, v6
	s_waitcnt lgkmcnt(2)
	v_dual_sub_f32 v3, v27, v3 :: v_dual_sub_f32 v10, v30, v10
	v_fmac_f32_e32 v119, v1, v33
	s_delay_alu instid0(VALU_DEP_3) | instskip(SKIP_3) | instid1(VALU_DEP_2)
	v_dual_sub_f32 v1, v29, v8 :: v_dual_mul_f32 v8, v44, v9
	ds_bpermute_b32 v9, v2, v123 offset:56
	v_mul_f32_e32 v3, v43, v3
	v_mul_f32_e32 v1, v45, v1
	v_fmac_f32_e32 v119, v3, v4
	ds_bpermute_b32 v3, v2, v123 offset:60
	ds_bpermute_b32 v4, v2, v122 offset:60
	v_fmac_f32_e32 v119, v8, v5
	v_mul_f32_e32 v5, v46, v10
	s_delay_alu instid0(VALU_DEP_2) | instskip(SKIP_2) | instid1(VALU_DEP_2)
	v_fmac_f32_e32 v119, v1, v7
	s_waitcnt lgkmcnt(3)
	v_sub_f32_e32 v1, v31, v12
	v_fmac_f32_e32 v119, v5, v11
	s_delay_alu instid0(VALU_DEP_2) | instskip(SKIP_2) | instid1(VALU_DEP_2)
	v_mul_f32_e32 v1, v47, v1
	v_add_f32_e32 v5, v46, v6
	s_waitcnt lgkmcnt(2)
	v_fmac_f32_e32 v119, v1, v9
	s_delay_alu instid0(VALU_DEP_2) | instskip(NEXT) | instid1(VALU_DEP_2)
	v_add_f32_e32 v5, v47, v5
	v_mov_b32_e32 v1, v119
.LBB82_64:                              ;   in Loop: Header=BB82_3 Depth=1
	v_add_co_u32 v54, vcc_lo, v54, s42
	v_add_co_ci_u32_e32 v55, vcc_lo, s43, v55, vcc_lo
	v_add_co_u32 v56, vcc_lo, v56, s42
	v_add_co_ci_u32_e32 v57, vcc_lo, s43, v57, vcc_lo
	;; [unrolled: 2-line block ×28, first 2 shown]
	v_add_co_u32 v110, vcc_lo, v110, s42
	s_waitcnt lgkmcnt(0)
	v_sub_f32_e32 v4, v32, v4
	v_add_co_ci_u32_e32 v111, vcc_lo, s43, v111, vcc_lo
	v_add_co_u32 v112, vcc_lo, v112, s42
	s_add_u32 s46, s46, s34
	v_add_co_ci_u32_e32 v114, vcc_lo, s43, v114, vcc_lo
	v_mul_f32_e32 v4, v48, v4
	s_addc_u32 s47, s47, 0
	v_add_co_u32 v115, vcc_lo, v115, s42
	v_cmp_lt_i64_e64 s3, s[46:47], s[4:5]
	v_add_co_ci_u32_e32 v116, vcc_lo, s43, v116, vcc_lo
	v_add_co_u32 v117, vcc_lo, v117, s42
	v_add_f32_e32 v113, v5, v48
	v_fmac_f32_e32 v1, v4, v3
	v_add_co_ci_u32_e32 v118, vcc_lo, s43, v118, vcc_lo
	s_add_u32 s44, s44, s34
	s_addc_u32 s45, s45, 0
	s_and_b32 vcc_lo, exec_lo, s3
	s_cbranch_vccz .LBB82_82
; %bb.65:                               ;   in Loop: Header=BB82_3 Depth=1
	v_mov_b32_e32 v119, v1
	s_branch .LBB82_3
.LBB82_66:                              ;   in Loop: Header=BB82_3 Depth=1
	v_add_co_u32 v3, vcc_lo, v115, v49
	v_add_co_ci_u32_e32 v4, vcc_lo, v116, v50, vcc_lo
	v_add_co_u32 v5, vcc_lo, v117, v49
	v_add_co_ci_u32_e32 v6, vcc_lo, v118, v50, vcc_lo
	v_mov_b32_e32 v16, v2
	global_load_u16 v1, v[3:4], off
	global_load_u16 v17, v[5:6], off
	v_mov_b32_e32 v3, v2
	v_mov_b32_e32 v4, v2
	;; [unrolled: 1-line block ×17, first 2 shown]
	s_waitcnt vmcnt(1)
	v_cvt_f32_f16_e32 v1, v1
	v_dual_mov_b32 v19, v2 :: v_dual_mov_b32 v48, v16
	v_dual_mov_b32 v18, v2 :: v_dual_mov_b32 v47, v15
	;; [unrolled: 1-line block ×9, first 2 shown]
	s_waitcnt vmcnt(0)
	v_cvt_f32_f16_e32 v17, v17
	v_dual_mov_b32 v28, v2 :: v_dual_mov_b32 v37, v5
	v_dual_mov_b32 v30, v2 :: v_dual_mov_b32 v35, v3
	;; [unrolled: 1-line block ×3, first 2 shown]
	v_mov_b32_e32 v42, v10
	v_mov_b32_e32 v38, v6
	;; [unrolled: 1-line block ×3, first 2 shown]
	s_or_b32 exec_lo, exec_lo, s3
	s_and_saveexec_b32 s3, s2
	s_cbranch_execz .LBB82_48
.LBB82_67:                              ;   in Loop: Header=BB82_3 Depth=1
	v_add_co_u32 v3, vcc_lo, v110, v49
	v_add_co_ci_u32_e32 v4, vcc_lo, v111, v50, vcc_lo
	v_add_co_u32 v5, vcc_lo, v112, v49
	v_add_co_ci_u32_e32 v6, vcc_lo, v114, v50, vcc_lo
	global_load_u16 v1, v[3:4], off
	global_load_u16 v3, v[5:6], off
	s_waitcnt vmcnt(1)
	v_cvt_f32_f16_e32 v34, v1
	s_waitcnt vmcnt(0)
	v_cvt_f32_f16_e32 v18, v3
	s_or_b32 exec_lo, exec_lo, s3
	s_and_saveexec_b32 s3, s2
	s_cbranch_execz .LBB82_49
.LBB82_68:                              ;   in Loop: Header=BB82_3 Depth=1
	v_add_co_u32 v3, vcc_lo, v106, v49
	v_add_co_ci_u32_e32 v4, vcc_lo, v107, v50, vcc_lo
	v_add_co_u32 v5, vcc_lo, v108, v49
	v_add_co_ci_u32_e32 v6, vcc_lo, v109, v50, vcc_lo
	global_load_u16 v1, v[3:4], off
	global_load_u16 v3, v[5:6], off
	s_waitcnt vmcnt(1)
	v_cvt_f32_f16_e32 v35, v1
	s_waitcnt vmcnt(0)
	v_cvt_f32_f16_e32 v19, v3
	s_or_b32 exec_lo, exec_lo, s3
	s_and_saveexec_b32 s3, s2
	s_cbranch_execz .LBB82_50
.LBB82_69:                              ;   in Loop: Header=BB82_3 Depth=1
	v_add_co_u32 v3, vcc_lo, v102, v49
	v_add_co_ci_u32_e32 v4, vcc_lo, v103, v50, vcc_lo
	v_add_co_u32 v5, vcc_lo, v104, v49
	v_add_co_ci_u32_e32 v6, vcc_lo, v105, v50, vcc_lo
	global_load_u16 v1, v[3:4], off
	global_load_u16 v3, v[5:6], off
	s_waitcnt vmcnt(1)
	v_cvt_f32_f16_e32 v36, v1
	s_waitcnt vmcnt(0)
	v_cvt_f32_f16_e32 v20, v3
	s_or_b32 exec_lo, exec_lo, s3
	s_and_saveexec_b32 s3, s2
	s_cbranch_execz .LBB82_51
.LBB82_70:                              ;   in Loop: Header=BB82_3 Depth=1
	v_add_co_u32 v3, vcc_lo, v98, v49
	v_add_co_ci_u32_e32 v4, vcc_lo, v99, v50, vcc_lo
	v_add_co_u32 v5, vcc_lo, v100, v49
	v_add_co_ci_u32_e32 v6, vcc_lo, v101, v50, vcc_lo
	global_load_u16 v1, v[3:4], off
	global_load_u16 v3, v[5:6], off
	s_waitcnt vmcnt(1)
	v_cvt_f32_f16_e32 v37, v1
	s_waitcnt vmcnt(0)
	v_cvt_f32_f16_e32 v21, v3
	s_or_b32 exec_lo, exec_lo, s3
	s_and_saveexec_b32 s3, s2
	s_cbranch_execz .LBB82_52
.LBB82_71:                              ;   in Loop: Header=BB82_3 Depth=1
	v_add_co_u32 v3, vcc_lo, v94, v49
	v_add_co_ci_u32_e32 v4, vcc_lo, v95, v50, vcc_lo
	v_add_co_u32 v5, vcc_lo, v96, v49
	v_add_co_ci_u32_e32 v6, vcc_lo, v97, v50, vcc_lo
	global_load_u16 v1, v[3:4], off
	global_load_u16 v3, v[5:6], off
	s_waitcnt vmcnt(1)
	v_cvt_f32_f16_e32 v38, v1
	s_waitcnt vmcnt(0)
	v_cvt_f32_f16_e32 v22, v3
	s_or_b32 exec_lo, exec_lo, s3
	s_and_saveexec_b32 s3, s2
	s_cbranch_execz .LBB82_53
.LBB82_72:                              ;   in Loop: Header=BB82_3 Depth=1
	v_add_co_u32 v3, vcc_lo, v90, v49
	v_add_co_ci_u32_e32 v4, vcc_lo, v91, v50, vcc_lo
	v_add_co_u32 v5, vcc_lo, v92, v49
	v_add_co_ci_u32_e32 v6, vcc_lo, v93, v50, vcc_lo
	global_load_u16 v1, v[3:4], off
	global_load_u16 v3, v[5:6], off
	s_waitcnt vmcnt(1)
	v_cvt_f32_f16_e32 v39, v1
	s_waitcnt vmcnt(0)
	v_cvt_f32_f16_e32 v23, v3
	s_or_b32 exec_lo, exec_lo, s3
	s_and_saveexec_b32 s3, s2
	s_cbranch_execz .LBB82_54
.LBB82_73:                              ;   in Loop: Header=BB82_3 Depth=1
	v_add_co_u32 v3, vcc_lo, v86, v49
	v_add_co_ci_u32_e32 v4, vcc_lo, v87, v50, vcc_lo
	v_add_co_u32 v5, vcc_lo, v88, v49
	v_add_co_ci_u32_e32 v6, vcc_lo, v89, v50, vcc_lo
	global_load_u16 v1, v[3:4], off
	global_load_u16 v3, v[5:6], off
	s_waitcnt vmcnt(1)
	v_cvt_f32_f16_e32 v40, v1
	s_waitcnt vmcnt(0)
	v_cvt_f32_f16_e32 v24, v3
	s_or_b32 exec_lo, exec_lo, s3
	s_and_saveexec_b32 s3, s2
	s_cbranch_execz .LBB82_55
.LBB82_74:                              ;   in Loop: Header=BB82_3 Depth=1
	v_add_co_u32 v3, vcc_lo, v82, v49
	v_add_co_ci_u32_e32 v4, vcc_lo, v83, v50, vcc_lo
	v_add_co_u32 v5, vcc_lo, v84, v49
	v_add_co_ci_u32_e32 v6, vcc_lo, v85, v50, vcc_lo
	global_load_u16 v1, v[3:4], off
	global_load_u16 v3, v[5:6], off
	s_waitcnt vmcnt(1)
	v_cvt_f32_f16_e32 v41, v1
	s_waitcnt vmcnt(0)
	v_cvt_f32_f16_e32 v25, v3
	s_or_b32 exec_lo, exec_lo, s3
	s_and_saveexec_b32 s3, s2
	s_cbranch_execz .LBB82_56
.LBB82_75:                              ;   in Loop: Header=BB82_3 Depth=1
	v_add_co_u32 v3, vcc_lo, v78, v49
	v_add_co_ci_u32_e32 v4, vcc_lo, v79, v50, vcc_lo
	v_add_co_u32 v5, vcc_lo, v80, v49
	v_add_co_ci_u32_e32 v6, vcc_lo, v81, v50, vcc_lo
	global_load_u16 v1, v[3:4], off
	global_load_u16 v3, v[5:6], off
	s_waitcnt vmcnt(1)
	v_cvt_f32_f16_e32 v42, v1
	s_waitcnt vmcnt(0)
	v_cvt_f32_f16_e32 v26, v3
	s_or_b32 exec_lo, exec_lo, s3
	s_and_saveexec_b32 s3, s2
	s_cbranch_execz .LBB82_57
.LBB82_76:                              ;   in Loop: Header=BB82_3 Depth=1
	v_add_co_u32 v3, vcc_lo, v74, v49
	v_add_co_ci_u32_e32 v4, vcc_lo, v75, v50, vcc_lo
	v_add_co_u32 v5, vcc_lo, v76, v49
	v_add_co_ci_u32_e32 v6, vcc_lo, v77, v50, vcc_lo
	global_load_u16 v1, v[3:4], off
	global_load_u16 v3, v[5:6], off
	s_waitcnt vmcnt(1)
	v_cvt_f32_f16_e32 v43, v1
	s_waitcnt vmcnt(0)
	v_cvt_f32_f16_e32 v27, v3
	s_or_b32 exec_lo, exec_lo, s3
	s_and_saveexec_b32 s3, s2
	s_cbranch_execz .LBB82_58
.LBB82_77:                              ;   in Loop: Header=BB82_3 Depth=1
	v_add_co_u32 v3, vcc_lo, v70, v49
	v_add_co_ci_u32_e32 v4, vcc_lo, v71, v50, vcc_lo
	v_add_co_u32 v5, vcc_lo, v72, v49
	v_add_co_ci_u32_e32 v6, vcc_lo, v73, v50, vcc_lo
	global_load_u16 v1, v[3:4], off
	global_load_u16 v3, v[5:6], off
	s_waitcnt vmcnt(1)
	v_cvt_f32_f16_e32 v44, v1
	s_waitcnt vmcnt(0)
	v_cvt_f32_f16_e32 v28, v3
	s_or_b32 exec_lo, exec_lo, s3
	s_and_saveexec_b32 s3, s2
	s_cbranch_execz .LBB82_59
.LBB82_78:                              ;   in Loop: Header=BB82_3 Depth=1
	v_add_co_u32 v3, vcc_lo, v66, v49
	v_add_co_ci_u32_e32 v4, vcc_lo, v67, v50, vcc_lo
	v_add_co_u32 v5, vcc_lo, v68, v49
	v_add_co_ci_u32_e32 v6, vcc_lo, v69, v50, vcc_lo
	global_load_u16 v1, v[3:4], off
	global_load_u16 v3, v[5:6], off
	s_waitcnt vmcnt(1)
	v_cvt_f32_f16_e32 v45, v1
	s_waitcnt vmcnt(0)
	v_cvt_f32_f16_e32 v29, v3
	s_or_b32 exec_lo, exec_lo, s3
	s_and_saveexec_b32 s3, s2
	s_cbranch_execz .LBB82_60
.LBB82_79:                              ;   in Loop: Header=BB82_3 Depth=1
	v_add_co_u32 v3, vcc_lo, v62, v49
	v_add_co_ci_u32_e32 v4, vcc_lo, v63, v50, vcc_lo
	v_add_co_u32 v5, vcc_lo, v64, v49
	v_add_co_ci_u32_e32 v6, vcc_lo, v65, v50, vcc_lo
	global_load_u16 v1, v[3:4], off
	global_load_u16 v3, v[5:6], off
	s_waitcnt vmcnt(1)
	v_cvt_f32_f16_e32 v46, v1
	s_waitcnt vmcnt(0)
	v_cvt_f32_f16_e32 v30, v3
	s_or_b32 exec_lo, exec_lo, s3
	s_and_saveexec_b32 s3, s2
	s_cbranch_execz .LBB82_61
.LBB82_80:                              ;   in Loop: Header=BB82_3 Depth=1
	v_add_co_u32 v3, vcc_lo, v58, v49
	v_add_co_ci_u32_e32 v4, vcc_lo, v59, v50, vcc_lo
	v_add_co_u32 v5, vcc_lo, v60, v49
	v_add_co_ci_u32_e32 v6, vcc_lo, v61, v50, vcc_lo
	global_load_u16 v1, v[3:4], off
	global_load_u16 v3, v[5:6], off
	s_waitcnt vmcnt(1)
	v_cvt_f32_f16_e32 v47, v1
	s_waitcnt vmcnt(0)
	v_cvt_f32_f16_e32 v31, v3
	s_or_b32 exec_lo, exec_lo, s3
	s_and_saveexec_b32 s3, s2
	s_cbranch_execnz .LBB82_62
	s_branch .LBB82_63
.LBB82_81:
	s_mov_b32 s35, -1
                                        ; implicit-def: $vgpr1
                                        ; implicit-def: $vgpr113
.LBB82_82:
	s_delay_alu instid0(SALU_CYCLE_1)
	s_and_not1_b32 vcc_lo, exec_lo, s35
	s_cbranch_vccnz .LBB82_131
; %bb.83:
	v_mov_b32_e32 v1, 0
	v_mov_b32_e32 v113, 0
	s_and_not1_b32 vcc_lo, exec_lo, s15
	s_mov_b32 s16, 0
	s_cbranch_vccnz .LBB82_131
; %bb.84:
	s_load_b32 s15, s[0:1], 0x44
	v_bfe_u32 v111, v0, 10, 10
	s_add_u32 s2, s0, 64
	s_addc_u32 s3, s1, 0
	v_dual_mov_b32 v179, 0 :: v_dual_and_b32 v174, 0x3ff, v0
	s_delay_alu instid0(VALU_DEP_2)
	v_lshlrev_b32_e32 v1, 5, v111
	v_lshlrev_b32_e32 v112, 4, v111
	v_mov_b32_e32 v180, 0
	s_waitcnt lgkmcnt(0)
	s_lshl_b32 s15, s15, 8
	s_add_u32 s34, s12, 0xff
	s_addc_u32 s35, 0, 0
	s_lshl_b64 s[18:19], s[12:13], 1
	s_delay_alu instid0(SALU_CYCLE_1) | instskip(NEXT) | instid1(VALU_DEP_1)
	v_add_co_u32 v1, s17, v1, s18
	v_add_co_ci_u32_e64 v2, null, 0, s19, s17
	v_add_co_u32 v46, s17, v112, s12
	s_delay_alu instid0(VALU_DEP_3) | instskip(NEXT) | instid1(VALU_DEP_3)
	v_add_co_u32 v3, vcc_lo, v1, 2
	v_add_co_ci_u32_e32 v4, vcc_lo, 0, v2, vcc_lo
	v_add_co_u32 v5, vcc_lo, v1, 4
	v_add_co_ci_u32_e32 v6, vcc_lo, 0, v2, vcc_lo
	;; [unrolled: 2-line block ×13, first 2 shown]
	v_add_co_u32 v42, vcc_lo, v1, 28
	v_mad_u64_u32 v[53:54], null, s6, v7, s[8:9]
	v_mul_lo_u32 v8, s6, v8
	v_mul_lo_u32 v11, s7, v7
	v_mad_u64_u32 v[83:84], null, s6, v7, s[10:11]
	v_add_co_ci_u32_e32 v43, vcc_lo, 0, v2, vcc_lo
	v_mad_u64_u32 v[51:52], null, s6, v5, s[8:9]
	v_mul_lo_u32 v6, s6, v6
	v_mul_lo_u32 v10, s7, v5
	v_add_co_u32 v45, vcc_lo, v1, 30
	v_add_co_ci_u32_e64 v47, null, 0, 0, s17
	v_mad_u64_u32 v[81:82], null, s6, v5, s[10:11]
	v_add_co_ci_u32_e32 v1, vcc_lo, 0, v2, vcc_lo
	v_add_co_u32 v5, vcc_lo, v46, 15
	v_mad_u64_u32 v[49:50], null, s6, v3, s[8:9]
	v_mul_lo_u32 v4, s6, v4
	v_mul_lo_u32 v9, s7, v3
	v_mad_u64_u32 v[79:80], null, s6, v3, s[10:11]
	v_add_co_ci_u32_e32 v3, vcc_lo, 0, v47, vcc_lo
	v_add3_u32 v54, v11, v54, v8
	v_add3_u32 v84, v11, v84, v8
	v_add_co_u32 v8, vcc_lo, v46, 14
	v_add3_u32 v52, v10, v52, v6
	v_add3_u32 v82, v10, v82, v6
	v_add_co_ci_u32_e32 v6, vcc_lo, 0, v47, vcc_lo
	v_add3_u32 v50, v9, v50, v4
	v_add3_u32 v80, v9, v80, v4
	v_mul_lo_u32 v7, s7, v5
	v_mul_lo_u32 v9, s6, v3
	v_mad_u64_u32 v[3:4], null, s6, v5, 0
	v_mul_lo_u32 v10, s7, v8
	v_mul_lo_u32 v11, s6, v6
	v_mad_u64_u32 v[5:6], null, s6, v8, 0
	v_mul_lo_u32 v48, s6, v1
	v_mul_lo_u32 v89, s7, v46
	v_mul_lo_u32 v90, s6, v47
	v_mad_u64_u32 v[1:2], null, s6, v46, 0
	v_mad_u64_u32 v[55:56], null, s6, v12, s[8:9]
	v_mul_lo_u32 v13, s6, v13
	v_mul_lo_u32 v16, s7, v12
	v_mad_u64_u32 v[85:86], null, s6, v12, s[10:11]
	v_mad_u64_u32 v[57:58], null, s6, v14, s[8:9]
	v_mul_lo_u32 v15, s6, v15
	v_mul_lo_u32 v18, s7, v14
	v_mad_u64_u32 v[87:88], null, s6, v14, s[10:11]
	v_add_co_u32 v12, vcc_lo, v46, 13
	v_add_co_ci_u32_e32 v8, vcc_lo, 0, v47, vcc_lo
	v_add3_u32 v6, v6, v11, v10
	v_add_co_u32 v11, vcc_lo, v46, 12
	v_mad_u64_u32 v[59:60], null, s6, v17, s[8:9]
	v_mul_lo_u32 v19, s6, v19
	v_mul_lo_u32 v22, s7, v17
	v_add3_u32 v2, v2, v90, v89
	v_mad_u64_u32 v[89:90], null, s6, v17, s[10:11]
	v_mad_u64_u32 v[61:62], null, s6, v20, s[8:9]
	v_mul_lo_u32 v21, s6, v21
	v_mul_lo_u32 v24, s7, v20
	v_mad_u64_u32 v[91:92], null, s6, v20, s[10:11]
	v_add3_u32 v4, v4, v9, v7
	v_add_co_ci_u32_e32 v9, vcc_lo, 0, v47, vcc_lo
	v_add3_u32 v56, v16, v56, v13
	v_add3_u32 v86, v16, v86, v13
	v_add_co_u32 v13, vcc_lo, v46, 11
	v_add3_u32 v58, v18, v58, v15
	v_add3_u32 v88, v18, v88, v15
	v_mul_lo_u32 v17, s7, v12
	v_mul_lo_u32 v18, s6, v8
	v_mad_u64_u32 v[7:8], null, s6, v12, 0
	v_add_co_ci_u32_e32 v12, vcc_lo, 0, v47, vcc_lo
	v_mad_u64_u32 v[63:64], null, s6, v23, s[8:9]
	v_mul_lo_u32 v25, s6, v25
	v_mul_lo_u32 v28, s7, v23
	v_mad_u64_u32 v[93:94], null, s6, v23, s[10:11]
	v_add_co_u32 v15, vcc_lo, v46, 10
	v_add3_u32 v60, v22, v60, v19
	v_add3_u32 v90, v22, v90, v19
	v_mul_lo_u32 v19, s7, v11
	v_mul_lo_u32 v20, s6, v9
	v_mad_u64_u32 v[9:10], null, s6, v11, 0
	v_add3_u32 v62, v24, v62, v21
	v_add3_u32 v92, v24, v92, v21
	v_mul_lo_u32 v21, s7, v13
	v_mul_lo_u32 v22, s6, v12
	v_mad_u64_u32 v[11:12], null, s6, v13, 0
	v_add_co_ci_u32_e32 v13, vcc_lo, 0, v47, vcc_lo
	v_add_co_u32 v24, vcc_lo, v46, 9
	v_add3_u32 v64, v28, v64, v25
	v_add3_u32 v94, v28, v94, v25
	v_mul_lo_u32 v23, s7, v15
	v_mul_lo_u32 v25, s6, v13
	v_mad_u64_u32 v[13:14], null, s6, v15, 0
	v_add_co_ci_u32_e32 v16, vcc_lo, 0, v47, vcc_lo
	v_add3_u32 v10, v10, v20, v19
	v_add_co_u32 v19, vcc_lo, v46, 8
	v_add3_u32 v8, v8, v18, v17
	v_add_co_ci_u32_e32 v17, vcc_lo, 0, v47, vcc_lo
	v_add3_u32 v12, v12, v22, v21
	v_add_co_u32 v21, vcc_lo, v46, 7
	v_mad_u64_u32 v[67:68], null, s6, v30, s[8:9]
	v_mul_lo_u32 v31, s6, v31
	v_mul_lo_u32 v34, s7, v30
	v_mad_u64_u32 v[69:70], null, s6, v32, s[8:9]
	v_mul_lo_u32 v33, s6, v33
	v_mul_lo_u32 v36, s7, v32
	;; [unrolled: 3-line block ×3, first 2 shown]
	v_mad_u64_u32 v[97:98], null, s6, v30, s[10:11]
	v_mad_u64_u32 v[99:100], null, s6, v32, s[10:11]
	;; [unrolled: 1-line block ×3, first 2 shown]
	v_add_co_ci_u32_e32 v20, vcc_lo, 0, v47, vcc_lo
	v_mad_u64_u32 v[65:66], null, s6, v26, s[8:9]
	v_mul_lo_u32 v27, s6, v27
	v_mul_lo_u32 v29, s7, v26
	v_mad_u64_u32 v[95:96], null, s6, v26, s[10:11]
	v_add3_u32 v14, v14, v25, v23
	v_add_co_u32 v23, vcc_lo, v46, 6
	v_add_co_ci_u32_e32 v22, vcc_lo, 0, v47, vcc_lo
	v_add_co_u32 v25, vcc_lo, v46, 5
	v_mad_u64_u32 v[73:74], null, s6, v38, s[8:9]
	v_mul_lo_u32 v39, s6, v39
	v_mul_lo_u32 v41, s7, v38
	v_add3_u32 v68, v34, v68, v31
	v_add3_u32 v70, v36, v70, v33
	;; [unrolled: 1-line block ×3, first 2 shown]
	v_mad_u64_u32 v[103:104], null, s6, v38, s[10:11]
	v_add3_u32 v98, v34, v98, v31
	v_add3_u32 v100, v36, v100, v33
	;; [unrolled: 1-line block ×3, first 2 shown]
	v_mul_lo_u32 v33, s7, v19
	v_mul_lo_u32 v34, s6, v17
	v_mad_u64_u32 v[17:18], null, s6, v19, 0
	v_mul_lo_u32 v35, s7, v21
	v_mul_lo_u32 v36, s6, v20
	v_mad_u64_u32 v[19:20], null, s6, v21, 0
	;; [unrolled: 3-line block ×3, first 2 shown]
	v_add_co_ci_u32_e32 v23, vcc_lo, 0, v47, vcc_lo
	v_add3_u32 v66, v29, v66, v27
	v_mad_u64_u32 v[75:76], null, s6, v42, s[8:9]
	v_mul_lo_u32 v43, s6, v43
	v_mul_lo_u32 v44, s7, v42
	v_add3_u32 v96, v29, v96, v27
	v_mad_u64_u32 v[105:106], null, s6, v42, s[10:11]
	v_mul_lo_u32 v31, s7, v24
	v_mul_lo_u32 v32, s6, v16
	v_mad_u64_u32 v[15:16], null, s6, v24, 0
	v_add_co_u32 v27, vcc_lo, v46, 4
	v_add_co_ci_u32_e32 v26, vcc_lo, 0, v47, vcc_lo
	v_add_co_u32 v29, vcc_lo, v46, 3
	v_add3_u32 v74, v41, v74, v39
	v_add3_u32 v104, v41, v104, v39
	v_mul_lo_u32 v39, s7, v25
	v_mul_lo_u32 v40, s6, v23
	v_mad_u64_u32 v[23:24], null, s6, v25, 0
	v_mul_lo_u32 v41, s7, v27
	v_mul_lo_u32 v42, s6, v26
	v_mad_u64_u32 v[25:26], null, s6, v27, 0
	v_add_co_ci_u32_e32 v27, vcc_lo, 0, v47, vcc_lo
	v_add3_u32 v76, v44, v76, v43
	v_add3_u32 v106, v44, v106, v43
	v_add_co_u32 v43, vcc_lo, v46, 2
	v_add3_u32 v16, v16, v32, v31
	v_lshlrev_b64 v[31:32], 1, v[1:2]
	v_add_co_ci_u32_e32 v30, vcc_lo, 0, v47, vcc_lo
	v_add_co_u32 v1, vcc_lo, v1, s6
	v_add_co_ci_u32_e32 v2, vcc_lo, s7, v2, vcc_lo
	s_delay_alu instid0(VALU_DEP_4) | instskip(SKIP_4) | instid1(VALU_DEP_4)
	v_add_co_u32 v114, vcc_lo, s8, v31
	v_lshlrev_b64 v[3:4], 1, v[3:4]
	v_add_co_ci_u32_e32 v115, vcc_lo, s9, v32, vcc_lo
	v_add_co_u32 v116, vcc_lo, s10, v31
	v_add_co_ci_u32_e32 v117, vcc_lo, s11, v32, vcc_lo
	v_add_co_u32 v118, vcc_lo, s8, v3
	v_lshlrev_b64 v[5:6], 1, v[5:6]
	v_add_co_ci_u32_e32 v119, vcc_lo, s9, v4, vcc_lo
	v_add_co_u32 v120, vcc_lo, s10, v3
	v_add_co_ci_u32_e32 v121, vcc_lo, s11, v4, vcc_lo
	s_delay_alu instid0(VALU_DEP_4) | instskip(SKIP_4) | instid1(VALU_DEP_4)
	v_add_co_u32 v122, vcc_lo, s8, v5
	v_lshlrev_b64 v[3:4], 1, v[7:8]
	v_add_co_ci_u32_e32 v123, vcc_lo, s9, v6, vcc_lo
	v_add_co_u32 v124, vcc_lo, s10, v5
	v_add_co_ci_u32_e32 v125, vcc_lo, s11, v6, vcc_lo
	v_add_co_u32 v126, vcc_lo, s8, v3
	;; [unrolled: 11-line block ×3, first 2 shown]
	v_lshlrev_b64 v[5:6], 1, v[13:14]
	v_add_co_ci_u32_e32 v135, vcc_lo, s9, v4, vcc_lo
	v_add_co_u32 v136, vcc_lo, s10, v3
	v_add_co_ci_u32_e32 v137, vcc_lo, s11, v4, vcc_lo
	s_delay_alu instid0(VALU_DEP_4)
	v_add_co_u32 v138, vcc_lo, s8, v5
	v_lshlrev_b64 v[3:4], 1, v[15:16]
	v_add3_u32 v18, v18, v34, v33
	v_add_co_ci_u32_e32 v139, vcc_lo, s9, v6, vcc_lo
	v_add_co_u32 v140, vcc_lo, s10, v5
	v_add_co_ci_u32_e32 v141, vcc_lo, s11, v6, vcc_lo
	v_add_co_u32 v142, vcc_lo, s8, v3
	v_lshlrev_b64 v[5:6], 1, v[17:18]
	v_add3_u32 v20, v20, v36, v35
	v_add_co_ci_u32_e32 v143, vcc_lo, s9, v4, vcc_lo
	v_add_co_u32 v144, vcc_lo, s10, v3
	v_add_co_ci_u32_e32 v145, vcc_lo, s11, v4, vcc_lo
	;; [unrolled: 6-line block ×3, first 2 shown]
	v_add_co_u32 v150, vcc_lo, s8, v3
	v_lshlrev_b64 v[5:6], 1, v[21:22]
	v_add3_u32 v24, v24, v40, v39
	v_add_co_ci_u32_e32 v151, vcc_lo, s9, v4, vcc_lo
	v_add_co_u32 v152, vcc_lo, s10, v3
	v_mad_u64_u32 v[77:78], null, s6, v45, s[8:9]
	v_mul_lo_u32 v109, s7, v45
	v_mad_u64_u32 v[107:108], null, s6, v45, s[10:11]
	v_mul_lo_u32 v44, s6, v27
	v_mul_lo_u32 v45, s7, v29
	v_mad_u64_u32 v[27:28], null, s6, v29, 0
	v_add_co_ci_u32_e32 v153, vcc_lo, s11, v4, vcc_lo
	v_add_co_u32 v154, vcc_lo, s8, v5
	v_lshlrev_b64 v[3:4], 1, v[23:24]
	v_add3_u32 v26, v26, v42, v41
	v_add_co_ci_u32_e32 v155, vcc_lo, s9, v6, vcc_lo
	v_add_co_u32 v156, vcc_lo, s10, v5
	v_mul_lo_u32 v46, s6, v30
	v_mul_lo_u32 v47, s7, v43
	v_mad_u64_u32 v[29:30], null, s6, v43, 0
	v_add_co_ci_u32_e32 v157, vcc_lo, s11, v6, vcc_lo
	v_add_co_u32 v158, vcc_lo, s8, v3
	v_lshlrev_b64 v[5:6], 1, v[25:26]
	v_add3_u32 v28, v28, v44, v45
	v_add_co_ci_u32_e32 v159, vcc_lo, s9, v4, vcc_lo
	v_add_co_u32 v160, vcc_lo, s10, v3
	v_add_co_ci_u32_e32 v161, vcc_lo, s11, v4, vcc_lo
	v_add_co_u32 v162, vcc_lo, s8, v5
	v_lshlrev_b64 v[3:4], 1, v[27:28]
	v_add3_u32 v30, v30, v46, v47
	v_add_co_ci_u32_e32 v163, vcc_lo, s9, v6, vcc_lo
	v_add_co_u32 v164, vcc_lo, s10, v5
	v_add_co_ci_u32_e32 v165, vcc_lo, s11, v6, vcc_lo
	v_add_co_u32 v166, vcc_lo, s8, v3
	v_lshlrev_b64 v[5:6], 1, v[29:30]
	v_add_co_ci_u32_e32 v167, vcc_lo, s9, v4, vcc_lo
	v_add_co_u32 v168, vcc_lo, s10, v3
	v_add_co_ci_u32_e32 v169, vcc_lo, s11, v4, vcc_lo
	s_delay_alu instid0(VALU_DEP_4)
	v_add_co_u32 v170, vcc_lo, s8, v5
	v_lshlrev_b64 v[3:4], 1, v[1:2]
	v_add_co_ci_u32_e32 v171, vcc_lo, s9, v6, vcc_lo
	v_add_co_u32 v172, vcc_lo, s10, v5
	v_add_co_ci_u32_e32 v173, vcc_lo, s11, v6, vcc_lo
	v_dual_mov_b32 v2, 0 :: v_dual_add_nc_u32 v1, s33, v174
	v_add_co_u32 v175, vcc_lo, s8, v3
	v_add_co_ci_u32_e32 v176, vcc_lo, s9, v4, vcc_lo
	v_add_co_u32 v177, vcc_lo, s10, v3
	v_add3_u32 v78, v109, v78, v48
	v_add3_u32 v108, v109, v108, v48
	s_mul_i32 s8, s7, s15
	s_mul_hi_u32 s9, s6, s15
	v_lshlrev_b64 v[109:110], 1, v[1:2]
	v_add_co_ci_u32_e32 v178, vcc_lo, s11, v4, vcc_lo
	s_add_i32 s9, s9, s8
	s_mul_i32 s8, s6, s15
	s_delay_alu instid0(SALU_CYCLE_1)
	s_lshl_b64 s[8:9], s[8:9], 1
.LBB82_85:                              ; =>This Inner Loop Header: Depth=1
	v_cmp_ge_i64_e64 s10, s[34:35], s[4:5]
	v_add_co_u32 v181, s11, v112, s34
	s_delay_alu instid0(VALU_DEP_1) | instskip(NEXT) | instid1(VALU_DEP_3)
	v_add_co_ci_u32_e64 v182, null, 0, s35, s11
	s_and_b32 vcc_lo, exec_lo, s10
	s_cbranch_vccz .LBB82_123
; %bb.86:                               ;   in Loop: Header=BB82_85 Depth=1
	s_load_b32 s10, s[2:3], 0xc
	v_mov_b32_e32 v113, 0
	v_mov_b32_e32 v183, 0
	s_waitcnt lgkmcnt(0)
	s_and_b32 s10, s10, 0xffff
	s_delay_alu instid0(SALU_CYCLE_1) | instskip(SKIP_1) | instid1(VALU_DEP_1)
	v_mad_u32_u24 v1, v111, s10, v174
	s_mov_b32 s10, exec_lo
	v_and_b32_e32 v1, 31, v1
	s_delay_alu instid0(VALU_DEP_1)
	v_cmpx_gt_u32_e32 16, v1
	s_cbranch_execz .LBB82_90
; %bb.87:                               ;   in Loop: Header=BB82_85 Depth=1
	v_add_co_u32 v1, vcc_lo, v181, v1
	v_add_co_ci_u32_e32 v4, vcc_lo, 0, v182, vcc_lo
	v_mov_b32_e32 v183, 0
	s_delay_alu instid0(VALU_DEP_3) | instskip(NEXT) | instid1(VALU_DEP_3)
	v_add_co_u32 v3, vcc_lo, 0xffffff01, v1
	v_add_co_ci_u32_e32 v4, vcc_lo, -1, v4, vcc_lo
	v_mov_b32_e32 v113, 0
	s_mov_b32 s11, exec_lo
	s_delay_alu instid0(VALU_DEP_2)
	v_cmpx_gt_i64_e64 s[4:5], v[3:4]
	s_cbranch_execz .LBB82_89
; %bb.88:                               ;   in Loop: Header=BB82_85 Depth=1
	v_lshlrev_b64 v[3:4], 2, v[3:4]
	s_delay_alu instid0(VALU_DEP_1) | instskip(NEXT) | instid1(VALU_DEP_2)
	v_add_co_u32 v5, vcc_lo, s36, v3
	v_add_co_ci_u32_e32 v6, vcc_lo, s37, v4, vcc_lo
	v_add_co_u32 v3, vcc_lo, s38, v3
	v_add_co_ci_u32_e32 v4, vcc_lo, s39, v4, vcc_lo
	global_load_b32 v183, v[5:6], off
	global_load_b32 v113, v[3:4], off
.LBB82_89:                              ;   in Loop: Header=BB82_85 Depth=1
	s_or_b32 exec_lo, exec_lo, s11
.LBB82_90:                              ;   in Loop: Header=BB82_85 Depth=1
	s_delay_alu instid0(SALU_CYCLE_1)
	s_or_b32 exec_lo, exec_lo, s10
	s_mov_b32 s31, s16
	s_mov_b32 s17, s16
	;; [unrolled: 1-line block ×15, first 2 shown]
	s_delay_alu instid0(SALU_CYCLE_1)
	v_dual_mov_b32 v32, s31 :: v_dual_mov_b32 v31, s30
	v_dual_mov_b32 v30, s29 :: v_dual_mov_b32 v29, s28
	;; [unrolled: 1-line block ×8, first 2 shown]
	v_add_co_u32 v3, vcc_lo, 0xffffff01, v181
	v_dual_mov_b32 v48, v32 :: v_dual_mov_b32 v47, v31
	v_add_co_ci_u32_e32 v4, vcc_lo, -1, v182, vcc_lo
	v_dual_mov_b32 v46, v30 :: v_dual_mov_b32 v45, v29
	v_dual_mov_b32 v44, v28 :: v_dual_mov_b32 v43, v27
	;; [unrolled: 1-line block ×7, first 2 shown]
	s_mov_b32 s10, exec_lo
	v_cmpx_gt_i64_e64 s[4:5], v[3:4]
	s_cbranch_execz .LBB82_92
; %bb.91:                               ;   in Loop: Header=BB82_85 Depth=1
	v_add_co_u32 v3, vcc_lo, v114, v109
	v_add_co_ci_u32_e32 v4, vcc_lo, v115, v110, vcc_lo
	v_add_co_u32 v5, vcc_lo, v116, v109
	v_add_co_ci_u32_e32 v6, vcc_lo, v117, v110, vcc_lo
	v_mov_b32_e32 v16, v2
	global_load_u16 v1, v[3:4], off
	global_load_u16 v17, v[5:6], off
	v_mov_b32_e32 v3, v2
	v_mov_b32_e32 v4, v2
	;; [unrolled: 1-line block ×17, first 2 shown]
	s_waitcnt vmcnt(1)
	v_cvt_f32_f16_e32 v1, v1
	v_dual_mov_b32 v19, v2 :: v_dual_mov_b32 v48, v16
	v_dual_mov_b32 v18, v2 :: v_dual_mov_b32 v47, v15
	;; [unrolled: 1-line block ×9, first 2 shown]
	s_waitcnt vmcnt(0)
	v_cvt_f32_f16_e32 v17, v17
	v_dual_mov_b32 v28, v2 :: v_dual_mov_b32 v37, v5
	v_dual_mov_b32 v30, v2 :: v_dual_mov_b32 v35, v3
	;; [unrolled: 1-line block ×3, first 2 shown]
	v_mov_b32_e32 v42, v10
	v_mov_b32_e32 v38, v6
	;; [unrolled: 1-line block ×3, first 2 shown]
.LBB82_92:                              ;   in Loop: Header=BB82_85 Depth=1
	s_or_b32 exec_lo, exec_lo, s10
	v_add_co_u32 v3, vcc_lo, 0xffffff02, v181
	v_add_co_ci_u32_e32 v4, vcc_lo, -1, v182, vcc_lo
	s_mov_b32 s10, exec_lo
	s_delay_alu instid0(VALU_DEP_1)
	v_cmpx_gt_i64_e64 s[4:5], v[3:4]
	s_cbranch_execz .LBB82_94
; %bb.93:                               ;   in Loop: Header=BB82_85 Depth=1
	v_add_co_u32 v3, vcc_lo, v175, v109
	v_add_co_ci_u32_e32 v4, vcc_lo, v176, v110, vcc_lo
	v_add_co_u32 v5, vcc_lo, v177, v109
	v_add_co_ci_u32_e32 v6, vcc_lo, v178, v110, vcc_lo
	global_load_u16 v1, v[3:4], off
	global_load_u16 v3, v[5:6], off
	s_waitcnt vmcnt(1)
	v_cvt_f32_f16_e32 v34, v1
	s_waitcnt vmcnt(0)
	v_cvt_f32_f16_e32 v18, v3
.LBB82_94:                              ;   in Loop: Header=BB82_85 Depth=1
	s_or_b32 exec_lo, exec_lo, s10
	v_add_co_u32 v3, vcc_lo, 0xffffff03, v181
	v_add_co_ci_u32_e32 v4, vcc_lo, -1, v182, vcc_lo
	s_mov_b32 s10, exec_lo
	s_delay_alu instid0(VALU_DEP_1)
	v_cmpx_gt_i64_e64 s[4:5], v[3:4]
	s_cbranch_execz .LBB82_96
; %bb.95:                               ;   in Loop: Header=BB82_85 Depth=1
	v_add_co_u32 v3, vcc_lo, v170, v109
	v_add_co_ci_u32_e32 v4, vcc_lo, v171, v110, vcc_lo
	v_add_co_u32 v5, vcc_lo, v172, v109
	v_add_co_ci_u32_e32 v6, vcc_lo, v173, v110, vcc_lo
	global_load_u16 v1, v[3:4], off
	global_load_u16 v3, v[5:6], off
	s_waitcnt vmcnt(1)
	v_cvt_f32_f16_e32 v35, v1
	s_waitcnt vmcnt(0)
	v_cvt_f32_f16_e32 v19, v3
.LBB82_96:                              ;   in Loop: Header=BB82_85 Depth=1
	;; [unrolled: 19-line block ×3, first 2 shown]
	s_or_b32 exec_lo, exec_lo, s10
	v_add_co_u32 v3, vcc_lo, 0xffffff05, v181
	v_add_co_ci_u32_e32 v4, vcc_lo, -1, v182, vcc_lo
	s_mov_b32 s10, exec_lo
	s_delay_alu instid0(VALU_DEP_1)
	v_cmpx_gt_i64_e64 s[4:5], v[3:4]
	s_cbranch_execz .LBB82_100
; %bb.99:                               ;   in Loop: Header=BB82_85 Depth=1
	v_add_co_u32 v3, vcc_lo, v162, v109
	v_add_co_ci_u32_e32 v4, vcc_lo, v163, v110, vcc_lo
	v_add_co_u32 v5, vcc_lo, v164, v109
	v_add_co_ci_u32_e32 v6, vcc_lo, v165, v110, vcc_lo
	global_load_u16 v1, v[3:4], off
	global_load_u16 v3, v[5:6], off
	s_waitcnt vmcnt(1)
	v_cvt_f32_f16_e32 v37, v1
	s_waitcnt vmcnt(0)
	v_cvt_f32_f16_e32 v21, v3
.LBB82_100:                             ;   in Loop: Header=BB82_85 Depth=1
	s_or_b32 exec_lo, exec_lo, s10
	v_add_co_u32 v3, vcc_lo, 0xffffff06, v181
	v_add_co_ci_u32_e32 v4, vcc_lo, -1, v182, vcc_lo
	s_mov_b32 s10, exec_lo
	s_delay_alu instid0(VALU_DEP_1)
	v_cmpx_gt_i64_e64 s[4:5], v[3:4]
	s_cbranch_execz .LBB82_102
; %bb.101:                              ;   in Loop: Header=BB82_85 Depth=1
	v_add_co_u32 v3, vcc_lo, v158, v109
	v_add_co_ci_u32_e32 v4, vcc_lo, v159, v110, vcc_lo
	v_add_co_u32 v5, vcc_lo, v160, v109
	v_add_co_ci_u32_e32 v6, vcc_lo, v161, v110, vcc_lo
	global_load_u16 v1, v[3:4], off
	global_load_u16 v3, v[5:6], off
	s_waitcnt vmcnt(1)
	v_cvt_f32_f16_e32 v38, v1
	s_waitcnt vmcnt(0)
	v_cvt_f32_f16_e32 v22, v3
.LBB82_102:                             ;   in Loop: Header=BB82_85 Depth=1
	s_or_b32 exec_lo, exec_lo, s10
	v_add_co_u32 v3, vcc_lo, 0xffffff07, v181
	v_add_co_ci_u32_e32 v4, vcc_lo, -1, v182, vcc_lo
	s_mov_b32 s10, exec_lo
	s_delay_alu instid0(VALU_DEP_1)
	v_cmpx_gt_i64_e64 s[4:5], v[3:4]
	s_cbranch_execz .LBB82_104
; %bb.103:                              ;   in Loop: Header=BB82_85 Depth=1
	v_add_co_u32 v3, vcc_lo, v154, v109
	v_add_co_ci_u32_e32 v4, vcc_lo, v155, v110, vcc_lo
	v_add_co_u32 v5, vcc_lo, v156, v109
	v_add_co_ci_u32_e32 v6, vcc_lo, v157, v110, vcc_lo
	global_load_u16 v1, v[3:4], off
	global_load_u16 v3, v[5:6], off
	s_waitcnt vmcnt(1)
	v_cvt_f32_f16_e32 v39, v1
	s_waitcnt vmcnt(0)
	v_cvt_f32_f16_e32 v23, v3
.LBB82_104:                             ;   in Loop: Header=BB82_85 Depth=1
	s_or_b32 exec_lo, exec_lo, s10
	v_add_co_u32 v3, vcc_lo, 0xffffff08, v181
	v_add_co_ci_u32_e32 v4, vcc_lo, -1, v182, vcc_lo
	s_mov_b32 s10, exec_lo
	s_delay_alu instid0(VALU_DEP_1)
	v_cmpx_gt_i64_e64 s[4:5], v[3:4]
	s_cbranch_execz .LBB82_106
; %bb.105:                              ;   in Loop: Header=BB82_85 Depth=1
	v_add_co_u32 v3, vcc_lo, v150, v109
	v_add_co_ci_u32_e32 v4, vcc_lo, v151, v110, vcc_lo
	v_add_co_u32 v5, vcc_lo, v152, v109
	v_add_co_ci_u32_e32 v6, vcc_lo, v153, v110, vcc_lo
	global_load_u16 v1, v[3:4], off
	global_load_u16 v3, v[5:6], off
	s_waitcnt vmcnt(1)
	v_cvt_f32_f16_e32 v40, v1
	s_waitcnt vmcnt(0)
	v_cvt_f32_f16_e32 v24, v3
.LBB82_106:                             ;   in Loop: Header=BB82_85 Depth=1
	s_or_b32 exec_lo, exec_lo, s10
	v_add_co_u32 v3, vcc_lo, 0xffffff09, v181
	v_add_co_ci_u32_e32 v4, vcc_lo, -1, v182, vcc_lo
	s_mov_b32 s10, exec_lo
	s_delay_alu instid0(VALU_DEP_1)
	v_cmpx_gt_i64_e64 s[4:5], v[3:4]
	s_cbranch_execz .LBB82_108
; %bb.107:                              ;   in Loop: Header=BB82_85 Depth=1
	v_add_co_u32 v3, vcc_lo, v146, v109
	v_add_co_ci_u32_e32 v4, vcc_lo, v147, v110, vcc_lo
	v_add_co_u32 v5, vcc_lo, v148, v109
	v_add_co_ci_u32_e32 v6, vcc_lo, v149, v110, vcc_lo
	global_load_u16 v1, v[3:4], off
	global_load_u16 v3, v[5:6], off
	s_waitcnt vmcnt(1)
	v_cvt_f32_f16_e32 v41, v1
	s_waitcnt vmcnt(0)
	v_cvt_f32_f16_e32 v25, v3
.LBB82_108:                             ;   in Loop: Header=BB82_85 Depth=1
	s_or_b32 exec_lo, exec_lo, s10
	v_add_co_u32 v3, vcc_lo, 0xffffff0a, v181
	v_add_co_ci_u32_e32 v4, vcc_lo, -1, v182, vcc_lo
	s_mov_b32 s10, exec_lo
	s_delay_alu instid0(VALU_DEP_1)
	v_cmpx_gt_i64_e64 s[4:5], v[3:4]
	s_cbranch_execz .LBB82_110
; %bb.109:                              ;   in Loop: Header=BB82_85 Depth=1
	v_add_co_u32 v3, vcc_lo, v142, v109
	v_add_co_ci_u32_e32 v4, vcc_lo, v143, v110, vcc_lo
	v_add_co_u32 v5, vcc_lo, v144, v109
	v_add_co_ci_u32_e32 v6, vcc_lo, v145, v110, vcc_lo
	global_load_u16 v1, v[3:4], off
	global_load_u16 v3, v[5:6], off
	s_waitcnt vmcnt(1)
	v_cvt_f32_f16_e32 v42, v1
	s_waitcnt vmcnt(0)
	v_cvt_f32_f16_e32 v26, v3
.LBB82_110:                             ;   in Loop: Header=BB82_85 Depth=1
	s_or_b32 exec_lo, exec_lo, s10
	v_add_co_u32 v3, vcc_lo, 0xffffff0b, v181
	v_add_co_ci_u32_e32 v4, vcc_lo, -1, v182, vcc_lo
	s_mov_b32 s10, exec_lo
	s_delay_alu instid0(VALU_DEP_1)
	v_cmpx_gt_i64_e64 s[4:5], v[3:4]
	s_cbranch_execz .LBB82_112
; %bb.111:                              ;   in Loop: Header=BB82_85 Depth=1
	v_add_co_u32 v3, vcc_lo, v138, v109
	v_add_co_ci_u32_e32 v4, vcc_lo, v139, v110, vcc_lo
	v_add_co_u32 v5, vcc_lo, v140, v109
	v_add_co_ci_u32_e32 v6, vcc_lo, v141, v110, vcc_lo
	global_load_u16 v1, v[3:4], off
	global_load_u16 v3, v[5:6], off
	s_waitcnt vmcnt(1)
	v_cvt_f32_f16_e32 v43, v1
	s_waitcnt vmcnt(0)
	v_cvt_f32_f16_e32 v27, v3
.LBB82_112:                             ;   in Loop: Header=BB82_85 Depth=1
	s_or_b32 exec_lo, exec_lo, s10
	v_add_co_u32 v3, vcc_lo, 0xffffff0c, v181
	v_add_co_ci_u32_e32 v4, vcc_lo, -1, v182, vcc_lo
	s_mov_b32 s10, exec_lo
	s_delay_alu instid0(VALU_DEP_1)
	v_cmpx_gt_i64_e64 s[4:5], v[3:4]
	s_cbranch_execz .LBB82_114
; %bb.113:                              ;   in Loop: Header=BB82_85 Depth=1
	v_add_co_u32 v3, vcc_lo, v134, v109
	v_add_co_ci_u32_e32 v4, vcc_lo, v135, v110, vcc_lo
	v_add_co_u32 v5, vcc_lo, v136, v109
	v_add_co_ci_u32_e32 v6, vcc_lo, v137, v110, vcc_lo
	global_load_u16 v1, v[3:4], off
	global_load_u16 v3, v[5:6], off
	s_waitcnt vmcnt(1)
	v_cvt_f32_f16_e32 v44, v1
	s_waitcnt vmcnt(0)
	v_cvt_f32_f16_e32 v28, v3
.LBB82_114:                             ;   in Loop: Header=BB82_85 Depth=1
	s_or_b32 exec_lo, exec_lo, s10
	v_add_co_u32 v3, vcc_lo, 0xffffff0d, v181
	v_add_co_ci_u32_e32 v4, vcc_lo, -1, v182, vcc_lo
	s_mov_b32 s10, exec_lo
	s_delay_alu instid0(VALU_DEP_1)
	v_cmpx_gt_i64_e64 s[4:5], v[3:4]
	s_cbranch_execz .LBB82_116
; %bb.115:                              ;   in Loop: Header=BB82_85 Depth=1
	v_add_co_u32 v3, vcc_lo, v130, v109
	v_add_co_ci_u32_e32 v4, vcc_lo, v131, v110, vcc_lo
	v_add_co_u32 v5, vcc_lo, v132, v109
	v_add_co_ci_u32_e32 v6, vcc_lo, v133, v110, vcc_lo
	global_load_u16 v1, v[3:4], off
	global_load_u16 v3, v[5:6], off
	s_waitcnt vmcnt(1)
	v_cvt_f32_f16_e32 v45, v1
	s_waitcnt vmcnt(0)
	v_cvt_f32_f16_e32 v29, v3
.LBB82_116:                             ;   in Loop: Header=BB82_85 Depth=1
	s_or_b32 exec_lo, exec_lo, s10
	v_add_co_u32 v3, vcc_lo, 0xffffff0e, v181
	v_add_co_ci_u32_e32 v4, vcc_lo, -1, v182, vcc_lo
	s_mov_b32 s10, exec_lo
	s_delay_alu instid0(VALU_DEP_1)
	v_cmpx_gt_i64_e64 s[4:5], v[3:4]
	s_cbranch_execz .LBB82_118
; %bb.117:                              ;   in Loop: Header=BB82_85 Depth=1
	v_add_co_u32 v3, vcc_lo, v126, v109
	v_add_co_ci_u32_e32 v4, vcc_lo, v127, v110, vcc_lo
	v_add_co_u32 v5, vcc_lo, v128, v109
	v_add_co_ci_u32_e32 v6, vcc_lo, v129, v110, vcc_lo
	global_load_u16 v1, v[3:4], off
	global_load_u16 v3, v[5:6], off
	s_waitcnt vmcnt(1)
	v_cvt_f32_f16_e32 v46, v1
	s_waitcnt vmcnt(0)
	v_cvt_f32_f16_e32 v30, v3
.LBB82_118:                             ;   in Loop: Header=BB82_85 Depth=1
	s_or_b32 exec_lo, exec_lo, s10
	v_add_co_u32 v3, vcc_lo, 0xffffff0f, v181
	v_add_co_ci_u32_e32 v4, vcc_lo, -1, v182, vcc_lo
	s_mov_b32 s10, exec_lo
	s_delay_alu instid0(VALU_DEP_1)
	v_cmpx_gt_i64_e64 s[4:5], v[3:4]
	s_cbranch_execz .LBB82_120
; %bb.119:                              ;   in Loop: Header=BB82_85 Depth=1
	v_add_co_u32 v3, vcc_lo, v122, v109
	v_add_co_ci_u32_e32 v4, vcc_lo, v123, v110, vcc_lo
	v_add_co_u32 v5, vcc_lo, v124, v109
	v_add_co_ci_u32_e32 v6, vcc_lo, v125, v110, vcc_lo
	global_load_u16 v1, v[3:4], off
	global_load_u16 v3, v[5:6], off
	s_waitcnt vmcnt(1)
	v_cvt_f32_f16_e32 v47, v1
	s_waitcnt vmcnt(0)
	v_cvt_f32_f16_e32 v31, v3
.LBB82_120:                             ;   in Loop: Header=BB82_85 Depth=1
	s_or_b32 exec_lo, exec_lo, s10
	v_add_co_u32 v3, vcc_lo, 0xffffff10, v181
	v_add_co_ci_u32_e32 v4, vcc_lo, -1, v182, vcc_lo
	s_mov_b32 s10, exec_lo
	s_delay_alu instid0(VALU_DEP_1)
	v_cmpx_gt_i64_e64 s[4:5], v[3:4]
	s_cbranch_execz .LBB82_122
; %bb.121:                              ;   in Loop: Header=BB82_85 Depth=1
	v_add_co_u32 v3, vcc_lo, v118, v109
	v_add_co_ci_u32_e32 v4, vcc_lo, v119, v110, vcc_lo
	v_add_co_u32 v5, vcc_lo, v120, v109
	v_add_co_ci_u32_e32 v6, vcc_lo, v121, v110, vcc_lo
	global_load_u16 v1, v[3:4], off
	global_load_u16 v3, v[5:6], off
	s_waitcnt vmcnt(1)
	v_cvt_f32_f16_e32 v48, v1
	s_waitcnt vmcnt(0)
	v_cvt_f32_f16_e32 v32, v3
.LBB82_122:                             ;   in Loop: Header=BB82_85 Depth=1
	s_or_b32 exec_lo, exec_lo, s10
	s_waitcnt vmcnt(1)
	ds_bpermute_b32 v1, v2, v183
	ds_bpermute_b32 v3, v2, v183 offset:4
	ds_bpermute_b32 v6, v2, v183 offset:8
	;; [unrolled: 1-line block ×3, first 2 shown]
	s_waitcnt vmcnt(0)
	ds_bpermute_b32 v4, v2, v113
	ds_bpermute_b32 v7, v2, v113 offset:4
	ds_bpermute_b32 v8, v2, v113 offset:8
	v_add_f32_e32 v5, v180, v33
	ds_bpermute_b32 v12, v2, v183 offset:16
	ds_bpermute_b32 v16, v2, v183 offset:24
	;; [unrolled: 1-line block ×10, first 2 shown]
	s_waitcnt lgkmcnt(16)
	v_sub_f32_e32 v1, v17, v1
	ds_bpermute_b32 v17, v2, v183 offset:28
	s_waitcnt lgkmcnt(15)
	v_sub_f32_e32 v6, v19, v6
	s_waitcnt lgkmcnt(14)
	v_dual_sub_f32 v10, v20, v10 :: v_dual_sub_f32 v3, v18, v3
	v_mul_f32_e32 v1, v33, v1
	ds_bpermute_b32 v19, v2, v183 offset:40
	v_mul_f32_e32 v6, v35, v6
	v_dual_mul_f32 v10, v36, v10 :: v_dual_mul_f32 v3, v34, v3
	s_waitcnt lgkmcnt(14)
	v_fma_f32 v1, v1, v4, v179
	ds_bpermute_b32 v33, v2, v183 offset:36
	ds_bpermute_b32 v18, v2, v113 offset:36
	;; [unrolled: 1-line block ×3, first 2 shown]
	s_waitcnt lgkmcnt(16)
	v_fmac_f32_e32 v1, v3, v7
	s_waitcnt lgkmcnt(14)
	v_sub_f32_e32 v7, v21, v12
	s_waitcnt lgkmcnt(10)
	s_delay_alu instid0(VALU_DEP_2)
	v_dual_sub_f32 v12, v25, v186 :: v_dual_fmac_f32 v1, v6, v8
	ds_bpermute_b32 v6, v2, v183 offset:44
	v_sub_f32_e32 v8, v22, v14
	v_dual_mul_f32 v12, v41, v12 :: v_dual_fmac_f32 v1, v10, v9
	v_dual_sub_f32 v10, v23, v16 :: v_dual_add_f32 v3, v34, v5
	s_waitcnt lgkmcnt(4)
	v_sub_f32_e32 v14, v27, v19
	v_dual_mul_f32 v7, v37, v7 :: v_dual_mul_f32 v8, v38, v8
	s_delay_alu instid0(VALU_DEP_3)
	v_mul_f32_e32 v10, v39, v10
	v_add_f32_e32 v3, v35, v3
	ds_bpermute_b32 v5, v2, v113 offset:44
	ds_bpermute_b32 v9, v2, v113 offset:48
	v_dual_mul_f32 v14, v43, v14 :: v_dual_add_f32 v3, v36, v3
	s_waitcnt lgkmcnt(2)
	v_dual_sub_f32 v6, v28, v6 :: v_dual_fmac_f32 v1, v7, v11
	ds_bpermute_b32 v7, v2, v183 offset:48
	v_mul_f32_e32 v6, v44, v6
	v_fmac_f32_e32 v1, v8, v13
	v_sub_f32_e32 v13, v26, v33
	ds_bpermute_b32 v8, v2, v113 offset:52
	v_fmac_f32_e32 v1, v10, v15
	ds_bpermute_b32 v10, v2, v183 offset:52
	v_add_f32_e32 v3, v37, v3
	v_mul_f32_e32 v13, v42, v13
	s_waitcnt lgkmcnt(2)
	v_sub_f32_e32 v7, v29, v7
	s_waitcnt lgkmcnt(0)
	s_delay_alu instid0(VALU_DEP_1) | instskip(SKIP_2) | instid1(VALU_DEP_2)
	v_dual_mul_f32 v7, v45, v7 :: v_dual_sub_f32 v10, v30, v10
	v_sub_f32_e32 v11, v24, v17
	v_add_f32_e32 v3, v38, v3
	v_mul_f32_e32 v11, v40, v11
	s_delay_alu instid0(VALU_DEP_2) | instskip(NEXT) | instid1(VALU_DEP_2)
	v_add_f32_e32 v3, v39, v3
	v_fmac_f32_e32 v1, v11, v184
	s_delay_alu instid0(VALU_DEP_2)
	v_add_f32_e32 v3, v40, v3
	ds_bpermute_b32 v11, v2, v183 offset:56
	v_fmac_f32_e32 v1, v12, v185
	v_add_f32_e32 v3, v41, v3
	ds_bpermute_b32 v12, v2, v183 offset:60
	v_fmac_f32_e32 v1, v13, v18
	;; [unrolled: 3-line block ×4, first 2 shown]
	v_dual_mul_f32 v6, v46, v10 :: v_dual_add_f32 v3, v44, v3
	s_waitcnt lgkmcnt(3)
	v_sub_f32_e32 v5, v31, v11
	s_delay_alu instid0(VALU_DEP_3) | instskip(NEXT) | instid1(VALU_DEP_3)
	v_fmac_f32_e32 v1, v7, v9
	v_add_f32_e32 v3, v45, v3
	s_waitcnt lgkmcnt(2)
	v_sub_f32_e32 v7, v32, v12
	v_mul_f32_e32 v5, v47, v5
	v_fmac_f32_e32 v1, v6, v8
	v_add_f32_e32 v3, v46, v3
	s_waitcnt lgkmcnt(1)
	s_delay_alu instid0(VALU_DEP_2) | instskip(NEXT) | instid1(VALU_DEP_2)
	v_dual_mul_f32 v6, v48, v7 :: v_dual_fmac_f32 v1, v5, v13
	v_add_f32_e32 v3, v47, v3
	s_waitcnt lgkmcnt(0)
	s_delay_alu instid0(VALU_DEP_2) | instskip(NEXT) | instid1(VALU_DEP_2)
	v_fmac_f32_e32 v1, v6, v4
	v_add_f32_e32 v113, v48, v3
	s_branch .LBB82_129
.LBB82_123:                             ;   in Loop: Header=BB82_85 Depth=1
                                        ; implicit-def: $vgpr113
                                        ; implicit-def: $vgpr1
	s_cbranch_execz .LBB82_129
; %bb.124:                              ;   in Loop: Header=BB82_85 Depth=1
	s_load_b32 s10, s[2:3], 0x0
	v_mov_b32_e32 v5, 0
	s_waitcnt lgkmcnt(0)
	s_cmp_lt_u32 s14, s10
	s_cselect_b32 s10, 12, 18
	s_delay_alu instid0(SALU_CYCLE_1)
	s_add_u32 s10, s2, s10
	s_addc_u32 s11, s3, 0
	global_load_u16 v1, v2, s[10:11]
	s_mov_b32 s10, exec_lo
	s_waitcnt vmcnt(0)
	v_mad_u32_u24 v1, v111, v1, v174
	s_delay_alu instid0(VALU_DEP_1) | instskip(SKIP_1) | instid1(VALU_DEP_2)
	v_and_b32_e32 v3, 31, v1
	v_mov_b32_e32 v1, 0
	v_cmpx_gt_u32_e32 16, v3
	s_cbranch_execz .LBB82_128
; %bb.125:                              ;   in Loop: Header=BB82_85 Depth=1
	v_add_co_u32 v1, vcc_lo, v181, v3
	v_add_co_ci_u32_e32 v4, vcc_lo, 0, v182, vcc_lo
	v_mov_b32_e32 v5, 0
	s_delay_alu instid0(VALU_DEP_3) | instskip(NEXT) | instid1(VALU_DEP_3)
	v_add_co_u32 v3, vcc_lo, 0xffffff01, v1
	v_add_co_ci_u32_e32 v4, vcc_lo, -1, v4, vcc_lo
	v_mov_b32_e32 v1, 0
	s_mov_b32 s11, exec_lo
	s_delay_alu instid0(VALU_DEP_2)
	v_cmpx_gt_i64_e64 s[4:5], v[3:4]
	s_cbranch_execz .LBB82_127
; %bb.126:                              ;   in Loop: Header=BB82_85 Depth=1
	v_lshlrev_b64 v[3:4], 2, v[3:4]
	s_delay_alu instid0(VALU_DEP_1) | instskip(NEXT) | instid1(VALU_DEP_2)
	v_add_co_u32 v5, vcc_lo, s36, v3
	v_add_co_ci_u32_e32 v6, vcc_lo, s37, v4, vcc_lo
	v_add_co_u32 v3, vcc_lo, s38, v3
	v_add_co_ci_u32_e32 v4, vcc_lo, s39, v4, vcc_lo
	global_load_b32 v5, v[5:6], off
	global_load_b32 v1, v[3:4], off
.LBB82_127:                             ;   in Loop: Header=BB82_85 Depth=1
	s_or_b32 exec_lo, exec_lo, s11
.LBB82_128:                             ;   in Loop: Header=BB82_85 Depth=1
	s_delay_alu instid0(SALU_CYCLE_1)
	s_or_b32 exec_lo, exec_lo, s10
	v_add_co_u32 v3, vcc_lo, v116, v109
	v_add_co_ci_u32_e32 v4, vcc_lo, v117, v110, vcc_lo
	global_load_u16 v6, v[3:4], off
	v_add_co_u32 v3, vcc_lo, v114, v109
	v_add_co_ci_u32_e32 v4, vcc_lo, v115, v110, vcc_lo
	global_load_u16 v3, v[3:4], off
	s_waitcnt vmcnt(1)
	v_cvt_f32_f16_e32 v4, v6
	ds_bpermute_b32 v6, v2, v5
	s_waitcnt lgkmcnt(0)
	v_sub_f32_e32 v4, v4, v6
	s_waitcnt vmcnt(0)
	v_cvt_f32_f16_e32 v6, v3
	s_delay_alu instid0(VALU_DEP_1)
	v_mul_f32_e32 v3, v4, v6
	ds_bpermute_b32 v4, v2, v1
	s_waitcnt lgkmcnt(0)
	v_fmac_f32_e32 v179, v3, v4
	v_add_co_u32 v3, vcc_lo, v79, v109
	v_add_co_ci_u32_e32 v4, vcc_lo, v80, v110, vcc_lo
	global_load_u16 v7, v[3:4], off
	v_add_co_u32 v3, vcc_lo, v49, v109
	v_add_co_ci_u32_e32 v4, vcc_lo, v50, v110, vcc_lo
	global_load_u16 v3, v[3:4], off
	s_waitcnt vmcnt(1)
	v_cvt_f32_f16_e32 v4, v7
	ds_bpermute_b32 v7, v2, v5 offset:4
	s_waitcnt lgkmcnt(0)
	v_sub_f32_e32 v4, v4, v7
	s_waitcnt vmcnt(0)
	v_cvt_f32_f16_e32 v7, v3
	s_delay_alu instid0(VALU_DEP_1)
	v_mul_f32_e32 v3, v4, v7
	ds_bpermute_b32 v4, v2, v1 offset:4
	s_waitcnt lgkmcnt(0)
	v_fmac_f32_e32 v179, v3, v4
	v_add_co_u32 v3, vcc_lo, v81, v109
	v_add_co_ci_u32_e32 v4, vcc_lo, v82, v110, vcc_lo
	global_load_u16 v8, v[3:4], off
	v_add_co_u32 v3, vcc_lo, v51, v109
	v_add_co_ci_u32_e32 v4, vcc_lo, v52, v110, vcc_lo
	global_load_u16 v3, v[3:4], off
	s_waitcnt vmcnt(1)
	v_cvt_f32_f16_e32 v4, v8
	ds_bpermute_b32 v8, v2, v5 offset:8
	s_waitcnt lgkmcnt(0)
	v_sub_f32_e32 v4, v4, v8
	s_waitcnt vmcnt(0)
	v_cvt_f32_f16_e32 v8, v3
	s_delay_alu instid0(VALU_DEP_1)
	v_mul_f32_e32 v3, v4, v8
	ds_bpermute_b32 v4, v2, v1 offset:8
	;; [unrolled: 18-line block ×14, first 2 shown]
	ds_bpermute_b32 v1, v2, v1 offset:60
	s_waitcnt lgkmcnt(1)
	v_fmac_f32_e32 v179, v3, v4
	v_add_co_u32 v3, vcc_lo, v107, v109
	v_add_co_ci_u32_e32 v4, vcc_lo, v108, v110, vcc_lo
	global_load_u16 v21, v[3:4], off
	v_add_co_u32 v3, vcc_lo, v77, v109
	v_add_co_ci_u32_e32 v4, vcc_lo, v78, v110, vcc_lo
	global_load_u16 v3, v[3:4], off
	ds_bpermute_b32 v4, v2, v5 offset:60
	s_waitcnt vmcnt(1)
	v_cvt_f32_f16_e32 v5, v21
	s_waitcnt lgkmcnt(0)
	s_delay_alu instid0(VALU_DEP_1) | instskip(SKIP_2) | instid1(VALU_DEP_1)
	v_sub_f32_e32 v4, v5, v4
	s_waitcnt vmcnt(0)
	v_cvt_f32_f16_e32 v3, v3
	v_mul_f32_e32 v4, v4, v3
	s_delay_alu instid0(VALU_DEP_1) | instskip(SKIP_1) | instid1(VALU_DEP_1)
	v_fmac_f32_e32 v179, v4, v1
	v_add_f32_e32 v1, v180, v6
	v_add_f32_e32 v1, v1, v7
	s_delay_alu instid0(VALU_DEP_1) | instskip(NEXT) | instid1(VALU_DEP_1)
	v_add_f32_e32 v1, v1, v8
	v_add_f32_e32 v1, v1, v9
	s_delay_alu instid0(VALU_DEP_1) | instskip(NEXT) | instid1(VALU_DEP_1)
	v_add_f32_e32 v1, v1, v10
	v_add_f32_e32 v1, v1, v11
	s_delay_alu instid0(VALU_DEP_1) | instskip(NEXT) | instid1(VALU_DEP_1)
	v_add_f32_e32 v1, v1, v12
	v_add_f32_e32 v1, v1, v13
	s_delay_alu instid0(VALU_DEP_1) | instskip(NEXT) | instid1(VALU_DEP_1)
	v_add_f32_e32 v1, v1, v14
	v_add_f32_e32 v1, v1, v15
	s_delay_alu instid0(VALU_DEP_1) | instskip(NEXT) | instid1(VALU_DEP_1)
	v_add_f32_e32 v1, v1, v16
	v_add_f32_e32 v1, v1, v17
	s_delay_alu instid0(VALU_DEP_1) | instskip(NEXT) | instid1(VALU_DEP_1)
	v_add_f32_e32 v1, v1, v18
	v_add_f32_e32 v1, v1, v19
	s_delay_alu instid0(VALU_DEP_1) | instskip(NEXT) | instid1(VALU_DEP_1)
	v_add_f32_e32 v1, v1, v20
	v_add_f32_e32 v113, v1, v3
	v_mov_b32_e32 v1, v179
.LBB82_129:                             ;   in Loop: Header=BB82_85 Depth=1
	v_add_co_u32 v49, vcc_lo, v49, s8
	v_add_co_ci_u32_e32 v50, vcc_lo, s9, v50, vcc_lo
	v_add_co_u32 v51, vcc_lo, v51, s8
	v_add_co_ci_u32_e32 v52, vcc_lo, s9, v52, vcc_lo
	;; [unrolled: 2-line block ×59, first 2 shown]
	v_add_co_u32 v172, vcc_lo, v172, s8
	s_add_u32 s12, s12, s15
	v_add_co_ci_u32_e32 v173, vcc_lo, s9, v173, vcc_lo
	s_addc_u32 s13, s13, 0
	v_add_co_u32 v175, vcc_lo, v175, s8
	v_cmp_ge_i64_e64 s10, s[12:13], s[4:5]
	v_add_co_ci_u32_e32 v176, vcc_lo, s9, v176, vcc_lo
	v_add_co_u32 v177, vcc_lo, v177, s8
	v_add_co_ci_u32_e32 v178, vcc_lo, s9, v178, vcc_lo
	s_add_u32 s34, s34, s15
	s_addc_u32 s35, s35, 0
	s_and_b32 vcc_lo, exec_lo, s10
	s_cbranch_vccnz .LBB82_131
; %bb.130:                              ;   in Loop: Header=BB82_85 Depth=1
	v_mov_b32_e32 v180, v113
	v_mov_b32_e32 v179, v1
	s_branch .LBB82_85
.LBB82_131:
	v_and_b32_e32 v2, 0x3ff, v0
	v_bfe_u32 v0, v0, 10, 10
	s_mov_b32 s15, 0
	s_mov_b32 s2, exec_lo
	s_delay_alu instid0(VALU_DEP_1) | instskip(NEXT) | instid1(VALU_DEP_1)
	v_mad_u32_u24 v3, 0x41, v0, v2
	v_sub_nc_u32_e32 v0, v3, v0
	v_lshl_add_u32 v3, v3, 2, 0
	ds_store_b32 v3, v1
	ds_store_b32 v3, v113 offset:4160
	s_waitcnt lgkmcnt(0)
	s_barrier
	buffer_gl0_inv
	v_cmpx_gt_u32_e32 0x800, v0
	s_cbranch_execz .LBB82_141
; %bb.132:
	v_mbcnt_lo_u32_b32 v1, -1, 0
	v_lshrrev_b32_e32 v4, 5, v0
	s_load_b128 s[8:11], s[0:1], 0x30
	v_cmp_eq_u32_e64 s0, 0, v2
	s_lshl_b64 s[4:5], s[14:15], 6
	v_xor_b32_e32 v0, 8, v1
	v_xor_b32_e32 v5, 2, v1
	;; [unrolled: 1-line block ×3, first 2 shown]
                                        ; implicit-def: $vgpr12
	v_mov_b32_e32 v9, 0
	s_delay_alu instid0(VALU_DEP_4) | instskip(SKIP_3) | instid1(VALU_DEP_3)
	v_cmp_gt_i32_e32 vcc_lo, 32, v0
	v_and_b32_e32 v3, 31, v2
	v_xor_b32_e32 v2, 4, v1
	v_cndmask_b32_e32 v0, v1, v0, vcc_lo
	v_mad_u32_u24 v11, 0x41, v3, v4
	s_delay_alu instid0(VALU_DEP_3)
	v_cmp_gt_i32_e32 vcc_lo, 32, v2
	v_cmp_gt_u32_e64 s1, 16, v3
	v_cndmask_b32_e32 v2, v1, v2, vcc_lo
	v_cmp_gt_i32_e32 vcc_lo, 32, v5
	s_waitcnt lgkmcnt(0)
	s_cmp_lg_u64 s[8:9], 0
	s_cselect_b32 s3, -1, 0
	s_cmp_lg_u64 s[10:11], 0
	v_cndmask_b32_e32 v7, v1, v5, vcc_lo
	v_cmp_gt_i32_e32 vcc_lo, 32, v6
	v_lshlrev_b32_e32 v5, 2, v0
	v_lshlrev_b32_e32 v0, 1, v4
	s_cselect_b32 s12, -1, 0
	s_lshl_b64 s[16:17], s[14:15], 7
	v_cndmask_b32_e32 v1, v1, v6, vcc_lo
	v_lshlrev_b32_e32 v6, 2, v2
	v_add_co_u32 v2, s2, s16, v0
	s_delay_alu instid0(VALU_DEP_1) | instskip(NEXT) | instid1(VALU_DEP_4)
	v_add_co_ci_u32_e64 v10, null, s17, 0, s2
	v_lshlrev_b32_e32 v8, 2, v1
	s_delay_alu instid0(VALU_DEP_3) | instskip(NEXT) | instid1(VALU_DEP_3)
	v_add_co_u32 v0, vcc_lo, s10, v2
	v_add_co_ci_u32_e32 v1, vcc_lo, s11, v10, vcc_lo
	v_add_co_u32 v2, vcc_lo, s8, v2
	v_lshlrev_b32_e32 v7, 2, v7
	v_add_co_ci_u32_e32 v3, vcc_lo, s9, v10, vcc_lo
	v_lshl_add_u32 v10, v11, 2, 0
                                        ; implicit-def: $vgpr11
	s_branch .LBB82_134
.LBB82_133:                             ;   in Loop: Header=BB82_134 Depth=1
	s_or_b32 exec_lo, exec_lo, s2
	v_add_co_u32 v4, vcc_lo, v4, 32
	v_add_co_ci_u32_e32 v9, vcc_lo, 0, v9, vcc_lo
	v_add_co_u32 v0, vcc_lo, v0, 64
	s_delay_alu instid0(VALU_DEP_3) | instskip(SKIP_2) | instid1(VALU_DEP_3)
	v_subrev_nc_u32_e32 v13, 32, v4
	v_add_co_ci_u32_e32 v1, vcc_lo, 0, v1, vcc_lo
	v_add_co_u32 v2, s2, v2, 64
	v_cmp_lt_u32_e32 vcc_lo, 31, v13
	v_add_co_ci_u32_e64 v3, s2, 0, v3, s2
	v_add_nc_u32_e32 v10, 0x80, v10
	s_or_b32 s15, vcc_lo, s15
	s_delay_alu instid0(SALU_CYCLE_1)
	s_and_not1_b32 exec_lo, exec_lo, s15
	s_cbranch_execz .LBB82_141
.LBB82_134:                             ; =>This Inner Loop Header: Depth=1
	s_and_saveexec_b32 s2, s1
	s_cbranch_execz .LBB82_136
; %bb.135:                              ;   in Loop: Header=BB82_134 Depth=1
	ds_load_b32 v11, v10
	ds_load_b32 v12, v10 offset:4160
.LBB82_136:                             ;   in Loop: Header=BB82_134 Depth=1
	s_or_b32 exec_lo, exec_lo, s2
	s_waitcnt lgkmcnt(1)
	ds_bpermute_b32 v13, v5, v11
	s_waitcnt lgkmcnt(1)
	ds_bpermute_b32 v14, v5, v12
	s_waitcnt lgkmcnt(0)
	v_dual_add_f32 v11, v11, v13 :: v_dual_add_f32 v12, v12, v14
	ds_bpermute_b32 v13, v6, v11
	ds_bpermute_b32 v14, v6, v12
	s_waitcnt lgkmcnt(0)
	v_dual_add_f32 v11, v11, v13 :: v_dual_add_f32 v12, v12, v14
	ds_bpermute_b32 v13, v7, v11
	ds_bpermute_b32 v14, v7, v12
	s_waitcnt lgkmcnt(0)
	v_dual_add_f32 v13, v11, v13 :: v_dual_add_f32 v14, v12, v14
	v_add_co_u32 v11, vcc_lo, s4, v4
	v_add_co_ci_u32_e32 v12, vcc_lo, s5, v9, vcc_lo
	ds_bpermute_b32 v15, v8, v13
	ds_bpermute_b32 v16, v8, v14
	v_cmp_gt_i64_e32 vcc_lo, s[6:7], v[11:12]
	s_and_b32 s8, s0, vcc_lo
	s_waitcnt lgkmcnt(0)
	v_dual_add_f32 v11, v13, v15 :: v_dual_add_f32 v12, v14, v16
	s_and_saveexec_b32 s2, s8
	s_cbranch_execz .LBB82_133
; %bb.137:                              ;   in Loop: Header=BB82_134 Depth=1
	s_and_not1_b32 vcc_lo, exec_lo, s3
	s_cbranch_vccnz .LBB82_139
; %bb.138:                              ;   in Loop: Header=BB82_134 Depth=1
	v_cvt_f16_f32_e32 v13, v11
	global_store_b16 v[2:3], v13, off
.LBB82_139:                             ;   in Loop: Header=BB82_134 Depth=1
	s_and_not1_b32 vcc_lo, exec_lo, s12
	s_cbranch_vccnz .LBB82_133
; %bb.140:                              ;   in Loop: Header=BB82_134 Depth=1
	v_cvt_f16_f32_e32 v13, v12
	global_store_b16 v[0:1], v13, off
	s_branch .LBB82_133
.LBB82_141:
	s_nop 0
	s_sendmsg sendmsg(MSG_DEALLOC_VGPRS)
	s_endpgm
	.section	.rodata,"a",@progbits
	.p2align	6, 0x0
	.amdhsa_kernel _ZN2at6native12_GLOBAL__N_135GammaBetaBackwardCUDAKernelTemplateIN3c104HalfEfLj64ELj16ELj256ELb0ELb0ELb0EEEvllPKT_S7_PKT0_SA_PS5_SB_
		.amdhsa_group_segment_fixed_size 0
		.amdhsa_private_segment_fixed_size 0
		.amdhsa_kernarg_size 320
		.amdhsa_user_sgpr_count 14
		.amdhsa_user_sgpr_dispatch_ptr 0
		.amdhsa_user_sgpr_queue_ptr 0
		.amdhsa_user_sgpr_kernarg_segment_ptr 1
		.amdhsa_user_sgpr_dispatch_id 0
		.amdhsa_user_sgpr_private_segment_size 0
		.amdhsa_wavefront_size32 1
		.amdhsa_uses_dynamic_stack 0
		.amdhsa_enable_private_segment 0
		.amdhsa_system_sgpr_workgroup_id_x 1
		.amdhsa_system_sgpr_workgroup_id_y 1
		.amdhsa_system_sgpr_workgroup_id_z 0
		.amdhsa_system_sgpr_workgroup_info 0
		.amdhsa_system_vgpr_workitem_id 1
		.amdhsa_next_free_vgpr 187
		.amdhsa_next_free_sgpr 48
		.amdhsa_reserve_vcc 1
		.amdhsa_float_round_mode_32 0
		.amdhsa_float_round_mode_16_64 0
		.amdhsa_float_denorm_mode_32 3
		.amdhsa_float_denorm_mode_16_64 3
		.amdhsa_dx10_clamp 1
		.amdhsa_ieee_mode 1
		.amdhsa_fp16_overflow 0
		.amdhsa_workgroup_processor_mode 1
		.amdhsa_memory_ordered 1
		.amdhsa_forward_progress 0
		.amdhsa_shared_vgpr_count 0
		.amdhsa_exception_fp_ieee_invalid_op 0
		.amdhsa_exception_fp_denorm_src 0
		.amdhsa_exception_fp_ieee_div_zero 0
		.amdhsa_exception_fp_ieee_overflow 0
		.amdhsa_exception_fp_ieee_underflow 0
		.amdhsa_exception_fp_ieee_inexact 0
		.amdhsa_exception_int_div_zero 0
	.end_amdhsa_kernel
	.section	.text._ZN2at6native12_GLOBAL__N_135GammaBetaBackwardCUDAKernelTemplateIN3c104HalfEfLj64ELj16ELj256ELb0ELb0ELb0EEEvllPKT_S7_PKT0_SA_PS5_SB_,"axG",@progbits,_ZN2at6native12_GLOBAL__N_135GammaBetaBackwardCUDAKernelTemplateIN3c104HalfEfLj64ELj16ELj256ELb0ELb0ELb0EEEvllPKT_S7_PKT0_SA_PS5_SB_,comdat
.Lfunc_end82:
	.size	_ZN2at6native12_GLOBAL__N_135GammaBetaBackwardCUDAKernelTemplateIN3c104HalfEfLj64ELj16ELj256ELb0ELb0ELb0EEEvllPKT_S7_PKT0_SA_PS5_SB_, .Lfunc_end82-_ZN2at6native12_GLOBAL__N_135GammaBetaBackwardCUDAKernelTemplateIN3c104HalfEfLj64ELj16ELj256ELb0ELb0ELb0EEEvllPKT_S7_PKT0_SA_PS5_SB_
                                        ; -- End function
	.section	.AMDGPU.csdata,"",@progbits
; Kernel info:
; codeLenInByte = 15404
; NumSgprs: 50
; NumVgprs: 187
; ScratchSize: 0
; MemoryBound: 0
; FloatMode: 240
; IeeeMode: 1
; LDSByteSize: 0 bytes/workgroup (compile time only)
; SGPRBlocks: 6
; VGPRBlocks: 23
; NumSGPRsForWavesPerEU: 50
; NumVGPRsForWavesPerEU: 187
; Occupancy: 8
; WaveLimiterHint : 0
; COMPUTE_PGM_RSRC2:SCRATCH_EN: 0
; COMPUTE_PGM_RSRC2:USER_SGPR: 14
; COMPUTE_PGM_RSRC2:TRAP_HANDLER: 0
; COMPUTE_PGM_RSRC2:TGID_X_EN: 1
; COMPUTE_PGM_RSRC2:TGID_Y_EN: 1
; COMPUTE_PGM_RSRC2:TGID_Z_EN: 0
; COMPUTE_PGM_RSRC2:TIDIG_COMP_CNT: 1
	.section	.text._ZN2at6native12_GLOBAL__N_135GammaBetaBackwardCUDAKernelTemplateIN3c104HalfEfLj32ELj1ELj32ELb1ELb1ELb0EEEvllPKT_S7_PKT0_SA_PS5_SB_,"axG",@progbits,_ZN2at6native12_GLOBAL__N_135GammaBetaBackwardCUDAKernelTemplateIN3c104HalfEfLj32ELj1ELj32ELb1ELb1ELb0EEEvllPKT_S7_PKT0_SA_PS5_SB_,comdat
	.globl	_ZN2at6native12_GLOBAL__N_135GammaBetaBackwardCUDAKernelTemplateIN3c104HalfEfLj32ELj1ELj32ELb1ELb1ELb0EEEvllPKT_S7_PKT0_SA_PS5_SB_ ; -- Begin function _ZN2at6native12_GLOBAL__N_135GammaBetaBackwardCUDAKernelTemplateIN3c104HalfEfLj32ELj1ELj32ELb1ELb1ELb0EEEvllPKT_S7_PKT0_SA_PS5_SB_
	.p2align	8
	.type	_ZN2at6native12_GLOBAL__N_135GammaBetaBackwardCUDAKernelTemplateIN3c104HalfEfLj32ELj1ELj32ELb1ELb1ELb0EEEvllPKT_S7_PKT0_SA_PS5_SB_,@function
_ZN2at6native12_GLOBAL__N_135GammaBetaBackwardCUDAKernelTemplateIN3c104HalfEfLj32ELj1ELj32ELb1ELb1ELb0EEEvllPKT_S7_PKT0_SA_PS5_SB_: ; @_ZN2at6native12_GLOBAL__N_135GammaBetaBackwardCUDAKernelTemplateIN3c104HalfEfLj32ELj1ELj32ELb1ELb1ELb0EEEvllPKT_S7_PKT0_SA_PS5_SB_
; %bb.0:
	s_load_b128 s[16:19], s[0:1], 0x0
	s_mov_b32 s13, 0
	s_lshl_b32 s12, s15, 5
	v_bfe_u32 v6, v0, 10, 10
	s_mov_b32 s2, s15
	s_waitcnt lgkmcnt(0)
	v_cmp_lt_i64_e64 s3, s[12:13], s[16:17]
	s_delay_alu instid0(VALU_DEP_1)
	s_and_b32 vcc_lo, exec_lo, s3
	s_cbranch_vccnz .LBB83_2
; %bb.1:
	v_bfe_u32 v1, v0, 10, 10
	s_add_u32 s24, s0, 64
	s_addc_u32 s25, s1, 0
	s_mov_b32 s4, 0
	s_mov_b32 s3, s13
	s_branch .LBB83_3
.LBB83_2:
	s_mov_b32 s3, -1
                                        ; implicit-def: $sgpr4
                                        ; implicit-def: $sgpr24_sgpr25
                                        ; implicit-def: $vgpr1
.LBB83_3:
	s_load_b128 s[20:23], s[0:1], 0x30
	v_dual_mov_b32 v8, s4 :: v_dual_and_b32 v7, 0x3ff, v0
	v_mov_b32_e32 v5, s4
	s_and_not1_b32 vcc_lo, exec_lo, s3
	s_cbranch_vccnz .LBB83_9
; %bb.4:
	s_clause 0x2
	s_load_b32 s3, s[0:1], 0x4c
	s_load_b32 s15, s[0:1], 0x44
	s_load_b256 s[4:11], s[0:1], 0x10
	v_dual_mov_b32 v1, 0 :: v_dual_lshlrev_b32 v2, 5, v6
	s_add_u32 s24, s0, 64
	s_addc_u32 s25, s1, 0
	v_lshl_add_u32 v0, s14, 5, v7
	v_dual_mov_b32 v8, 4 :: v_dual_mov_b32 v9, 8
	v_dual_mov_b32 v10, 12 :: v_dual_mov_b32 v11, 16
	s_delay_alu instid0(VALU_DEP_3)
	v_lshlrev_b64 v[39:40], 1, v[0:1]
	v_dual_mov_b32 v12, 20 :: v_dual_mov_b32 v13, 24
	v_dual_mov_b32 v14, 28 :: v_dual_mov_b32 v15, 32
	;; [unrolled: 1-line block ×4, first 2 shown]
	s_waitcnt lgkmcnt(0)
	s_and_b32 s0, s3, 0xffff
	s_lshl_b32 s26, s15, 5
	v_mad_u32_u24 v3, v6, s0, v7
	v_add_co_u32 v42, s0, v2, s12
	s_delay_alu instid0(VALU_DEP_1) | instskip(NEXT) | instid1(VALU_DEP_3)
	v_add_co_ci_u32_e64 v43, null, 0, 0, s0
	v_dual_mov_b32 v24, 0x44 :: v_dual_and_b32 v41, 31, v3
	s_delay_alu instid0(VALU_DEP_3) | instskip(NEXT) | instid1(VALU_DEP_3)
	v_mul_lo_u32 v4, s19, v42
	v_mul_lo_u32 v5, s18, v43
	v_mad_u64_u32 v[2:3], null, s18, v42, 0
	s_mul_i32 s0, s19, s26
	s_mul_hi_u32 s1, s18, s26
	v_dual_mov_b32 v20, 52 :: v_dual_mov_b32 v21, 56
	v_dual_mov_b32 v22, 60 :: v_dual_mov_b32 v23, 64
	s_delay_alu instid0(VALU_DEP_3)
	v_add3_u32 v3, v3, v5, v4
	v_mov_b32_e32 v25, 0x48
	v_mov_b32_e32 v26, 0x4c
	;; [unrolled: 1-line block ×4, first 2 shown]
	v_lshlrev_b64 v[4:5], 1, v[2:3]
	v_add_co_u32 v2, vcc_lo, v42, v41
	v_add_co_ci_u32_e32 v3, vcc_lo, 0, v43, vcc_lo
	v_mov_b32_e32 v43, 0
	s_delay_alu instid0(VALU_DEP_4) | instskip(SKIP_1) | instid1(VALU_DEP_4)
	v_add_co_u32 v0, vcc_lo, v4, v39
	v_add_co_ci_u32_e32 v39, vcc_lo, v5, v40, vcc_lo
	v_lshlrev_b64 v[4:5], 2, v[2:3]
	v_mov_b32_e32 v29, 0x58
	v_mov_b32_e32 v30, 0x5c
	;; [unrolled: 1-line block ×11, first 2 shown]
	s_mov_b32 s27, 0
	s_add_i32 s1, s1, s0
	s_mul_i32 s0, s18, s26
	s_lshl_b64 s[28:29], s[26:27], 2
	s_lshl_b64 s[0:1], s[0:1], 1
	;; [unrolled: 1-line block ×3, first 2 shown]
	s_branch .LBB83_6
.LBB83_5:                               ;   in Loop: Header=BB83_6 Depth=1
	s_or_b32 exec_lo, exec_lo, s3
	v_add_co_u32 v45, vcc_lo, s6, v0
	v_add_co_ci_u32_e32 v46, vcc_lo, s7, v39, vcc_lo
	v_add_co_u32 v47, vcc_lo, s4, v0
	v_add_co_ci_u32_e32 v48, vcc_lo, s5, v39, vcc_lo
	global_load_u16 v44, v[45:46], off
	v_add_co_u32 v45, vcc_lo, v45, s30
	v_add_co_ci_u32_e32 v46, vcc_lo, s31, v46, vcc_lo
	v_add_co_u32 v50, vcc_lo, v47, s30
	v_add_co_ci_u32_e32 v51, vcc_lo, s31, v48, vcc_lo
	s_delay_alu instid0(VALU_DEP_4) | instskip(NEXT) | instid1(VALU_DEP_4)
	v_add_co_u32 v52, vcc_lo, v45, s30
	v_add_co_ci_u32_e32 v53, vcc_lo, s31, v46, vcc_lo
	s_delay_alu instid0(VALU_DEP_4) | instskip(NEXT) | instid1(VALU_DEP_4)
	v_add_co_u32 v54, vcc_lo, v50, s30
	v_add_co_ci_u32_e32 v55, vcc_lo, s31, v51, vcc_lo
	global_load_u16 v49, v[47:48], off
	global_load_u16 v48, v[45:46], off
	;; [unrolled: 1-line block ×5, first 2 shown]
	v_add_co_u32 v51, vcc_lo, v52, s30
	v_add_co_ci_u32_e32 v52, vcc_lo, s31, v53, vcc_lo
	v_add_co_u32 v53, vcc_lo, v54, s30
	v_add_co_ci_u32_e32 v54, vcc_lo, s31, v55, vcc_lo
	global_load_u16 v50, v[51:52], off
	v_add_co_u32 v55, vcc_lo, v53, s30
	v_add_co_ci_u32_e32 v56, vcc_lo, s31, v54, vcc_lo
	v_add_co_u32 v57, vcc_lo, v51, s30
	v_add_co_ci_u32_e32 v58, vcc_lo, s31, v52, vcc_lo
	s_delay_alu instid0(VALU_DEP_4) | instskip(NEXT) | instid1(VALU_DEP_4)
	v_add_co_u32 v59, vcc_lo, v55, s30
	v_add_co_ci_u32_e32 v60, vcc_lo, s31, v56, vcc_lo
	s_delay_alu instid0(VALU_DEP_4) | instskip(NEXT) | instid1(VALU_DEP_4)
	v_add_co_u32 v61, vcc_lo, v57, s30
	v_add_co_ci_u32_e32 v62, vcc_lo, s31, v58, vcc_lo
	s_clause 0x1
	global_load_u16 v52, v[53:54], off
	global_load_u16 v51, v[55:56], off
	global_load_u16 v53, v[57:58], off
	global_load_u16 v54, v[59:60], off
	global_load_u16 v55, v[61:62], off
	v_add_co_u32 v57, vcc_lo, v59, s30
	v_add_co_ci_u32_e32 v58, vcc_lo, s31, v60, vcc_lo
	v_add_co_u32 v59, vcc_lo, v61, s30
	v_add_co_ci_u32_e32 v60, vcc_lo, s31, v62, vcc_lo
	global_load_u16 v56, v[57:58], off
	v_add_co_u32 v57, vcc_lo, v57, s30
	v_add_co_ci_u32_e32 v58, vcc_lo, s31, v58, vcc_lo
	v_add_co_u32 v61, vcc_lo, v59, s30
	v_add_co_ci_u32_e32 v62, vcc_lo, s31, v60, vcc_lo
	s_delay_alu instid0(VALU_DEP_4) | instskip(NEXT) | instid1(VALU_DEP_4)
	v_add_co_u32 v63, vcc_lo, v57, s30
	v_add_co_ci_u32_e32 v64, vcc_lo, s31, v58, vcc_lo
	s_delay_alu instid0(VALU_DEP_4) | instskip(NEXT) | instid1(VALU_DEP_4)
	v_add_co_u32 v65, vcc_lo, v61, s30
	v_add_co_ci_u32_e32 v66, vcc_lo, s31, v62, vcc_lo
	global_load_u16 v60, v[59:60], off
	global_load_u16 v57, v[57:58], off
	global_load_u16 v58, v[61:62], off
	global_load_u16 v59, v[63:64], off
	global_load_u16 v61, v[65:66], off
	v_add_co_u32 v63, vcc_lo, v63, s30
	v_add_co_ci_u32_e32 v64, vcc_lo, s31, v64, vcc_lo
	v_add_co_u32 v65, vcc_lo, v65, s30
	v_add_co_ci_u32_e32 v66, vcc_lo, s31, v66, vcc_lo
	global_load_u16 v62, v[63:64], off
	v_add_co_u32 v63, vcc_lo, v63, s30
	v_add_co_ci_u32_e32 v64, vcc_lo, s31, v64, vcc_lo
	v_add_co_u32 v67, vcc_lo, v65, s30
	v_add_co_ci_u32_e32 v68, vcc_lo, s31, v66, vcc_lo
	s_delay_alu instid0(VALU_DEP_4) | instskip(NEXT) | instid1(VALU_DEP_4)
	v_add_co_u32 v69, vcc_lo, v63, s30
	v_add_co_ci_u32_e32 v70, vcc_lo, s31, v64, vcc_lo
	s_delay_alu instid0(VALU_DEP_4) | instskip(NEXT) | instid1(VALU_DEP_4)
	v_add_co_u32 v71, vcc_lo, v67, s30
	v_add_co_ci_u32_e32 v72, vcc_lo, s31, v68, vcc_lo
	;; [unrolled: 20-line block ×3, first 2 shown]
	global_load_u16 v73, v[71:72], off
	global_load_u16 v69, v[69:70], off
	;; [unrolled: 1-line block ×5, first 2 shown]
	v_add_co_u32 v75, vcc_lo, v76, s30
	v_add_co_ci_u32_e32 v76, vcc_lo, s31, v77, vcc_lo
	v_add_co_u32 v77, vcc_lo, v78, s30
	v_add_co_ci_u32_e32 v78, vcc_lo, s31, v79, vcc_lo
	s_delay_alu instid0(VALU_DEP_4) | instskip(NEXT) | instid1(VALU_DEP_4)
	v_add_co_u32 v79, vcc_lo, v75, s30
	v_add_co_ci_u32_e32 v80, vcc_lo, s31, v76, vcc_lo
	s_delay_alu instid0(VALU_DEP_4) | instskip(NEXT) | instid1(VALU_DEP_4)
	;; [unrolled: 3-line block ×4, first 2 shown]
	v_add_co_u32 v85, vcc_lo, v81, s30
	v_add_co_ci_u32_e32 v86, vcc_lo, s31, v82, vcc_lo
	global_load_u16 v74, v[75:76], off
	global_load_u16 v75, v[77:78], off
	;; [unrolled: 1-line block ×4, first 2 shown]
	v_add_co_u32 v80, vcc_lo, v83, s30
	v_add_co_ci_u32_e32 v81, vcc_lo, s31, v84, vcc_lo
	v_add_co_u32 v82, vcc_lo, v85, s30
	global_load_u16 v79, v[83:84], off
	global_load_u16 v78, v[85:86], off
	v_add_co_ci_u32_e32 v83, vcc_lo, s31, v86, vcc_lo
	v_add_co_u32 v84, vcc_lo, v80, s30
	v_add_co_ci_u32_e32 v85, vcc_lo, s31, v81, vcc_lo
	v_add_co_u32 v86, vcc_lo, v82, s30
	s_delay_alu instid0(VALU_DEP_4)
	v_add_co_ci_u32_e32 v87, vcc_lo, s31, v83, vcc_lo
	global_load_u16 v80, v[80:81], off
	v_add_co_u32 v81, vcc_lo, v84, s30
	global_load_u16 v88, v[82:83], off
	v_add_co_ci_u32_e32 v82, vcc_lo, s31, v85, vcc_lo
	global_load_u16 v89, v[84:85], off
	v_add_co_u32 v83, vcc_lo, v86, s30
	v_add_co_ci_u32_e32 v84, vcc_lo, s31, v87, vcc_lo
	v_add_co_u32 v85, vcc_lo, v81, s30
	global_load_u16 v87, v[86:87], off
	v_add_co_ci_u32_e32 v86, vcc_lo, s31, v82, vcc_lo
	global_load_u16 v90, v[81:82], off
	v_add_co_u32 v81, vcc_lo, v83, s30
	v_add_co_ci_u32_e32 v82, vcc_lo, s31, v84, vcc_lo
	global_load_u16 v91, v[83:84], off
	v_add_co_u32 v83, vcc_lo, v85, s30
	;; [unrolled: 3-line block ×4, first 2 shown]
	v_add_co_ci_u32_e32 v82, vcc_lo, s31, v84, vcc_lo
	global_load_u16 v94, v[83:84], off
	global_load_u16 v95, v[85:86], off
	v_add_co_u32 v83, vcc_lo, v85, s30
	v_add_co_ci_u32_e32 v84, vcc_lo, s31, v86, vcc_lo
	v_add_co_u32 v85, vcc_lo, v81, s30
	v_add_co_ci_u32_e32 v86, vcc_lo, s31, v82, vcc_lo
	global_load_u16 v96, v[81:82], off
	global_load_u16 v97, v[83:84], off
	;; [unrolled: 1-line block ×3, first 2 shown]
	v_add_co_u32 v81, vcc_lo, v83, s30
	v_add_co_ci_u32_e32 v82, vcc_lo, s31, v84, vcc_lo
	v_add_co_u32 v83, vcc_lo, v85, s30
	v_add_co_ci_u32_e32 v84, vcc_lo, s31, v86, vcc_lo
	global_load_u16 v99, v[81:82], off
	global_load_u16 v100, v[83:84], off
	v_add_co_u32 v81, vcc_lo, v81, s30
	v_add_co_ci_u32_e32 v82, vcc_lo, s31, v82, vcc_lo
	v_add_co_u32 v83, vcc_lo, v83, s30
	v_add_co_ci_u32_e32 v84, vcc_lo, s31, v84, vcc_lo
	global_load_u16 v101, v[81:82], off
	global_load_u16 v102, v[83:84], off
	;; [unrolled: 6-line block ×4, first 2 shown]
	v_add_co_u32 v81, vcc_lo, v81, s30
	v_add_co_ci_u32_e32 v82, vcc_lo, s31, v82, vcc_lo
	v_add_co_u32 v83, vcc_lo, v83, s30
	v_add_co_ci_u32_e32 v84, vcc_lo, s31, v84, vcc_lo
	global_load_u16 v107, v[81:82], off
	v_add_co_u32 v81, vcc_lo, v81, s30
	v_add_co_ci_u32_e32 v82, vcc_lo, s31, v82, vcc_lo
	global_load_u16 v108, v[83:84], off
	global_load_u16 v109, v[81:82], off
	v_add_co_u32 v83, vcc_lo, v83, s30
	v_add_co_ci_u32_e32 v84, vcc_lo, s31, v84, vcc_lo
	v_add_co_u32 v81, vcc_lo, v81, s30
	v_add_co_ci_u32_e32 v82, vcc_lo, s31, v82, vcc_lo
	global_load_u16 v110, v[83:84], off
	v_add_co_u32 v85, vcc_lo, v81, s30
	v_add_co_ci_u32_e32 v86, vcc_lo, s31, v82, vcc_lo
	global_load_u16 v111, v[81:82], off
	;; [unrolled: 3-line block ×3, first 2 shown]
	global_load_u16 v81, v[81:82], off
	s_waitcnt vmcnt(62)
	ds_bpermute_b32 v82, v1, v42
	ds_bpermute_b32 v84, v8, v42
	ds_bpermute_b32 v85, v1, v41
	ds_bpermute_b32 v86, v9, v42
	ds_bpermute_b32 v112, v8, v41
	ds_bpermute_b32 v113, v10, v42
	ds_bpermute_b32 v114, v11, v42
	v_add_co_u32 v0, vcc_lo, v0, s0
	s_add_u32 s12, s12, s26
	v_add_co_ci_u32_e32 v39, vcc_lo, s1, v39, vcc_lo
	s_addc_u32 s13, s13, 0
	v_add_co_u32 v4, vcc_lo, v4, s28
	v_cmp_lt_i64_e64 s3, s[12:13], s[16:17]
	v_add_co_ci_u32_e32 v5, vcc_lo, s29, v5, vcc_lo
	v_add_co_u32 v2, vcc_lo, v2, s26
	v_add_co_ci_u32_e32 v3, vcc_lo, 0, v3, vcc_lo
	s_delay_alu instid0(VALU_DEP_4) | instskip(SKIP_2) | instid1(VALU_DEP_1)
	s_and_b32 vcc_lo, exec_lo, s3
	v_cvt_f32_f16_e32 v44, v44
	s_waitcnt lgkmcnt(6)
	v_sub_f32_e32 v44, v44, v82
	ds_bpermute_b32 v82, v9, v41
	v_cvt_f32_f16_e32 v49, v49
	s_waitcnt vmcnt(61)
	v_cvt_f32_f16_e32 v48, v48
	s_waitcnt vmcnt(60)
	;; [unrolled: 2-line block ×4, first 2 shown]
	v_cvt_f32_f16_e32 v45, v45
	v_add_f32_e32 v43, v43, v49
	v_mul_f32_e32 v44, v44, v49
	s_waitcnt lgkmcnt(6)
	v_sub_f32_e32 v48, v48, v84
	ds_bpermute_b32 v84, v10, v41
	s_waitcnt lgkmcnt(6)
	v_dual_add_f32 v43, v43, v47 :: v_dual_fmac_f32 v40, v44, v85
	s_waitcnt lgkmcnt(5)
	v_sub_f32_e32 v46, v46, v86
	ds_bpermute_b32 v85, v13, v42
	v_add_f32_e32 v43, v43, v45
	s_waitcnt vmcnt(55)
	v_cvt_f32_f16_e32 v51, v51
	s_waitcnt vmcnt(54)
	v_cvt_f32_f16_e32 v53, v53
	;; [unrolled: 2-line block ×4, first 2 shown]
	v_mul_f32_e32 v44, v48, v47
	v_cvt_f32_f16_e32 v48, v50
	ds_bpermute_b32 v50, v12, v42
	s_waitcnt lgkmcnt(6)
	v_fmac_f32_e32 v40, v44, v112
	v_mul_f32_e32 v44, v46, v45
	s_waitcnt lgkmcnt(5)
	v_sub_f32_e32 v46, v48, v113
	v_cvt_f32_f16_e32 v48, v52
	ds_bpermute_b32 v52, v11, v41
	ds_bpermute_b32 v45, v19, v41
	s_waitcnt lgkmcnt(5)
	v_dual_add_f32 v43, v43, v48 :: v_dual_fmac_f32 v40, v44, v82
	ds_bpermute_b32 v82, v14, v42
	v_dual_add_f32 v43, v43, v51 :: v_dual_mul_f32 v44, v46, v48
	v_sub_f32_e32 v46, v53, v114
	ds_bpermute_b32 v53, v12, v41
	ds_bpermute_b32 v48, v20, v41
	s_waitcnt lgkmcnt(7)
	v_fmac_f32_e32 v40, v44, v84
	v_mul_f32_e32 v44, v46, v51
	s_waitcnt lgkmcnt(5)
	v_sub_f32_e32 v46, v55, v50
	v_cvt_f32_f16_e32 v50, v54
	ds_bpermute_b32 v54, v13, v41
	v_cvt_f32_f16_e32 v55, v60
	ds_bpermute_b32 v60, v15, v42
	s_waitcnt lgkmcnt(6)
	v_fmac_f32_e32 v40, v44, v52
	v_mul_f32_e32 v44, v46, v50
	v_cvt_f32_f16_e32 v52, v56
	v_sub_f32_e32 v46, v55, v85
	ds_bpermute_b32 v55, v14, v41
	v_cvt_f32_f16_e32 v56, v58
	ds_bpermute_b32 v58, v16, v42
	v_add_f32_e32 v43, v43, v50
	s_waitcnt vmcnt(36)
	v_cvt_f32_f16_e32 v51, v70
	s_waitcnt lgkmcnt(5)
	v_fmac_f32_e32 v40, v44, v53
	v_mul_f32_e32 v44, v46, v52
	v_sub_f32_e32 v46, v56, v82
	ds_bpermute_b32 v53, v15, v41
	v_cvt_f32_f16_e32 v56, v57
	v_cvt_f32_f16_e32 v57, v61
	ds_bpermute_b32 v61, v17, v42
	s_waitcnt lgkmcnt(5)
	v_fmac_f32_e32 v40, v44, v54
	ds_bpermute_b32 v54, v16, v41
	v_add_f32_e32 v43, v43, v52
	v_mul_f32_e32 v44, v46, v56
	s_waitcnt lgkmcnt(5)
	v_sub_f32_e32 v46, v57, v60
	v_cvt_f32_f16_e32 v57, v59
	v_cvt_f32_f16_e32 v59, v66
	v_add_f32_e32 v43, v43, v56
	ds_bpermute_b32 v60, v18, v42
	s_waitcnt lgkmcnt(5)
	v_fmac_f32_e32 v40, v44, v55
	v_mul_f32_e32 v44, v46, v57
	s_waitcnt lgkmcnt(4)
	v_sub_f32_e32 v46, v59, v58
	v_cvt_f32_f16_e32 v55, v62
	v_cvt_f32_f16_e32 v58, v65
	v_add_f32_e32 v43, v43, v57
	ds_bpermute_b32 v59, v17, v41
	s_waitcnt vmcnt(29)
	v_cvt_f32_f16_e32 v56, v79
	s_waitcnt lgkmcnt(4)
	v_fmac_f32_e32 v40, v44, v53
	v_mul_f32_e32 v44, v46, v55
	ds_bpermute_b32 v46, v19, v42
	s_waitcnt lgkmcnt(4)
	v_sub_f32_e32 v53, v58, v61
	v_add_f32_e32 v43, v43, v55
	ds_bpermute_b32 v61, v18, v41
	v_cvt_f32_f16_e32 v58, v67
	ds_bpermute_b32 v55, v22, v42
	v_mul_f32_e32 v47, v53, v49
	v_add_f32_e32 v43, v43, v49
	v_cvt_f32_f16_e32 v50, v75
	s_waitcnt lgkmcnt(4)
	v_sub_f32_e32 v53, v58, v60
	v_cvt_f32_f16_e32 v58, v73
	v_cvt_f32_f16_e32 v52, v77
	s_waitcnt vmcnt(25)
	v_cvt_f32_f16_e32 v49, v89
	v_fmac_f32_e32 v40, v44, v54
	ds_bpermute_b32 v44, v20, v42
	v_cvt_f32_f16_e32 v54, v64
	v_cvt_f32_f16_e32 v57, v78
	s_waitcnt vmcnt(24)
	v_cvt_f32_f16_e32 v60, v87
	s_delay_alu instid0(VALU_DEP_3)
	v_add_f32_e32 v43, v43, v54
	s_waitcnt vmcnt(23)
	v_cvt_f32_f16_e32 v62, v90
	s_waitcnt vmcnt(22)
	v_cvt_f32_f16_e32 v63, v91
	;; [unrolled: 2-line block ×3, first 2 shown]
	s_waitcnt lgkmcnt(4)
	v_dual_fmac_f32 v40, v47, v59 :: v_dual_mul_f32 v47, v53, v54
	s_waitcnt lgkmcnt(3)
	v_sub_f32_e32 v46, v58, v46
	v_cvt_f32_f16_e32 v53, v68
	s_waitcnt lgkmcnt(0)
	v_sub_f32_e32 v44, v51, v44
	v_cvt_f32_f16_e32 v51, v76
	v_cvt_f32_f16_e32 v58, v80
	ds_bpermute_b32 v54, v23, v42
	v_mul_f32_e32 v46, v46, v53
	s_waitcnt vmcnt(19)
	v_cvt_f32_f16_e32 v66, v94
	v_fmac_f32_e32 v40, v47, v61
	v_cvt_f32_f16_e32 v47, v69
	v_add_f32_e32 v43, v43, v53
	ds_bpermute_b32 v61, v21, v41
	v_cvt_f32_f16_e32 v59, v88
	ds_bpermute_b32 v53, v24, v42
	v_mul_f32_e32 v44, v44, v47
	s_waitcnt vmcnt(17)
	v_cvt_f32_f16_e32 v68, v96
	v_dual_fmac_f32 v40, v46, v45 :: v_dual_add_f32 v43, v43, v47
	ds_bpermute_b32 v46, v21, v42
	ds_bpermute_b32 v47, v25, v42
	v_cvt_f32_f16_e32 v45, v72
	v_fmac_f32_e32 v40, v44, v48
	v_cvt_f32_f16_e32 v44, v71
	v_cvt_f32_f16_e32 v48, v74
	;; [unrolled: 1-line block ×4, first 2 shown]
	s_waitcnt vmcnt(16)
	v_cvt_f32_f16_e32 v69, v97
	v_add_f32_e32 v43, v43, v44
	s_delay_alu instid0(VALU_DEP_1) | instskip(NEXT) | instid1(VALU_DEP_1)
	v_add_f32_e32 v43, v43, v48
	v_add_f32_e32 v43, v43, v51
	s_waitcnt lgkmcnt(1)
	v_sub_f32_e32 v45, v45, v46
	ds_bpermute_b32 v46, v22, v41
	s_waitcnt lgkmcnt(1)
	v_sub_f32_e32 v47, v59, v47
	v_add_f32_e32 v43, v43, v56
	v_mul_f32_e32 v45, v45, v44
	ds_bpermute_b32 v44, v25, v41
	v_mul_f32_e32 v47, v47, v58
	v_dual_add_f32 v43, v43, v58 :: v_dual_fmac_f32 v40, v45, v61
	ds_bpermute_b32 v45, v24, v41
	s_waitcnt vmcnt(15)
	v_cvt_f32_f16_e32 v61, v98
	v_add_f32_e32 v43, v43, v49
	s_delay_alu instid0(VALU_DEP_1) | instskip(SKIP_2) | instid1(VALU_DEP_2)
	v_add_f32_e32 v43, v43, v62
	s_waitcnt vmcnt(8)
	v_cvt_f32_f16_e32 v58, v105
	v_dual_sub_f32 v52, v52, v54 :: v_dual_add_f32 v43, v43, v64
	ds_bpermute_b32 v54, v26, v42
	v_dual_add_f32 v43, v43, v66 :: v_dual_sub_f32 v50, v50, v55
	ds_bpermute_b32 v55, v23, v41
	v_add_f32_e32 v43, v43, v68
	s_delay_alu instid0(VALU_DEP_1) | instskip(SKIP_1) | instid1(VALU_DEP_1)
	v_dual_mul_f32 v50, v50, v48 :: v_dual_add_f32 v43, v43, v61
	s_waitcnt lgkmcnt(4)
	v_fmac_f32_e32 v40, v50, v46
	v_mul_f32_e32 v46, v52, v51
	ds_bpermute_b32 v52, v27, v42
	v_sub_f32_e32 v50, v57, v53
	ds_bpermute_b32 v51, v29, v42
	v_cvt_f32_f16_e32 v53, v99
	v_cvt_f32_f16_e32 v57, v103
	s_waitcnt vmcnt(4)
	v_cvt_f32_f16_e32 v59, v109
	v_mul_f32_e32 v48, v50, v56
	ds_bpermute_b32 v50, v28, v42
	v_cvt_f32_f16_e32 v56, v102
	s_waitcnt lgkmcnt(3)
	v_fmac_f32_e32 v40, v46, v55
	ds_bpermute_b32 v46, v26, v41
	v_cvt_f32_f16_e32 v55, v100
	v_fmac_f32_e32 v40, v48, v45
	ds_bpermute_b32 v45, v27, v41
	v_sub_f32_e32 v48, v60, v54
	v_cvt_f32_f16_e32 v54, v101
	v_add_f32_e32 v43, v43, v55
	v_fmac_f32_e32 v40, v47, v44
	ds_bpermute_b32 v44, v28, v41
	s_waitcnt lgkmcnt(5)
	v_dual_mul_f32 v47, v48, v49 :: v_dual_sub_f32 v48, v63, v52
	ds_bpermute_b32 v52, v30, v42
	ds_bpermute_b32 v49, v32, v42
	v_add_f32_e32 v43, v43, v56
	s_waitcnt lgkmcnt(4)
	v_fmac_f32_e32 v40, v47, v46
	ds_bpermute_b32 v46, v29, v41
	v_mul_f32_e32 v47, v48, v62
	v_sub_f32_e32 v48, v65, v50
	ds_bpermute_b32 v50, v31, v42
	s_waitcnt lgkmcnt(5)
	v_fmac_f32_e32 v40, v47, v45
	ds_bpermute_b32 v45, v30, v41
	v_dual_mul_f32 v47, v48, v64 :: v_dual_sub_f32 v48, v67, v51
	v_cvt_f32_f16_e32 v51, v104
	s_waitcnt lgkmcnt(5)
	s_delay_alu instid0(VALU_DEP_2)
	v_fmac_f32_e32 v40, v47, v44
	ds_bpermute_b32 v44, v31, v41
	s_waitcnt lgkmcnt(5)
	v_dual_mul_f32 v47, v48, v66 :: v_dual_sub_f32 v48, v69, v52
	ds_bpermute_b32 v52, v33, v42
	v_add_f32_e32 v43, v43, v51
	s_waitcnt lgkmcnt(4)
	v_fmac_f32_e32 v40, v47, v46
	ds_bpermute_b32 v46, v32, v41
	s_waitcnt lgkmcnt(4)
	v_dual_mul_f32 v47, v48, v68 :: v_dual_sub_f32 v48, v53, v50
	ds_bpermute_b32 v53, v34, v42
	v_cvt_f32_f16_e32 v50, v106
	s_waitcnt lgkmcnt(4)
	v_fmac_f32_e32 v40, v47, v45
	v_mul_f32_e32 v45, v48, v61
	ds_bpermute_b32 v47, v33, v41
	v_sub_f32_e32 v48, v54, v49
	ds_bpermute_b32 v54, v35, v42
	v_cvt_f32_f16_e32 v49, v107
	s_waitcnt lgkmcnt(5)
	v_dual_add_f32 v43, v43, v50 :: v_dual_fmac_f32 v40, v45, v44
	v_mul_f32_e32 v44, v48, v55
	ds_bpermute_b32 v45, v34, v41
	s_waitcnt lgkmcnt(5)
	v_sub_f32_e32 v48, v57, v52
	ds_bpermute_b32 v52, v36, v42
	ds_bpermute_b32 v55, v36, v41
	v_cvt_f32_f16_e32 v57, v108
	s_waitcnt lgkmcnt(6)
	v_fmac_f32_e32 v40, v44, v46
	ds_bpermute_b32 v44, v35, v41
	v_mul_f32_e32 v46, v48, v56
	ds_bpermute_b32 v48, v37, v42
	s_waitcnt lgkmcnt(7)
	v_sub_f32_e32 v53, v58, v53
	ds_bpermute_b32 v42, v38, v42
	s_waitcnt lgkmcnt(7)
	v_dual_add_f32 v43, v43, v57 :: v_dual_fmac_f32 v40, v46, v47
	v_mul_f32_e32 v46, v53, v51
	s_waitcnt lgkmcnt(6)
	v_sub_f32_e32 v47, v49, v54
	ds_bpermute_b32 v53, v37, v41
	ds_bpermute_b32 v41, v38, v41
	s_waitcnt vmcnt(3)
	v_cvt_f32_f16_e32 v49, v110
	s_waitcnt lgkmcnt(7)
	v_dual_fmac_f32 v40, v46, v45 :: v_dual_mul_f32 v45, v47, v50
	s_waitcnt lgkmcnt(6)
	v_sub_f32_e32 v46, v59, v52
	v_add_f32_e32 v43, v43, v49
	s_waitcnt vmcnt(2)
	v_cvt_f32_f16_e32 v47, v111
	s_waitcnt lgkmcnt(4)
	v_fmac_f32_e32 v40, v45, v44
	v_mul_f32_e32 v44, v46, v57
	s_waitcnt vmcnt(1)
	v_cvt_f32_f16_e32 v46, v83
	s_waitcnt lgkmcnt(3)
	v_sub_f32_e32 v45, v47, v48
	s_waitcnt vmcnt(0)
	v_cvt_f32_f16_e32 v47, v81
	v_fmac_f32_e32 v40, v44, v55
	s_waitcnt lgkmcnt(2)
	v_sub_f32_e32 v42, v46, v42
	s_delay_alu instid0(VALU_DEP_3) | instskip(NEXT) | instid1(VALU_DEP_2)
	v_dual_mul_f32 v44, v45, v49 :: v_dual_add_f32 v43, v43, v47
	v_mul_f32_e32 v42, v42, v47
	s_waitcnt lgkmcnt(1)
	s_delay_alu instid0(VALU_DEP_2) | instskip(SKIP_1) | instid1(VALU_DEP_1)
	v_fmac_f32_e32 v40, v44, v53
	s_waitcnt lgkmcnt(0)
	v_fmac_f32_e32 v40, v42, v41
	s_cbranch_vccz .LBB83_8
.LBB83_6:                               ; =>This Inner Loop Header: Depth=1
	v_dual_mov_b32 v41, 0 :: v_dual_mov_b32 v42, 0
	s_mov_b32 s3, exec_lo
	v_cmpx_gt_i64_e64 s[16:17], v[2:3]
	s_cbranch_execz .LBB83_5
; %bb.7:                                ;   in Loop: Header=BB83_6 Depth=1
	v_add_co_u32 v41, vcc_lo, s8, v4
	v_add_co_ci_u32_e32 v42, vcc_lo, s9, v5, vcc_lo
	v_add_co_u32 v44, vcc_lo, s10, v4
	v_add_co_ci_u32_e32 v45, vcc_lo, s11, v5, vcc_lo
	global_load_b32 v42, v[41:42], off
	global_load_b32 v41, v[44:45], off
	s_branch .LBB83_5
.LBB83_8:
	s_delay_alu instid0(VALU_DEP_1)
	v_cvt_f16_f32_e32 v8, v40
	v_cvt_f16_f32_e32 v5, v43
	v_mov_b32_e32 v1, v6
.LBB83_9:
	s_load_b32 s0, s[24:25], 0xc
	v_mov_b32_e32 v2, 0
	s_mov_b32 s15, 0
	s_waitcnt lgkmcnt(0)
	s_lshr_b32 s0, s0, 16
	s_delay_alu instid0(VALU_DEP_1) | instid1(SALU_CYCLE_1)
	v_mad_u64_u32 v[3:4], null, s0, s2, v[1:2]
	s_lshl_b64 s[0:1], s[14:15], 5
	s_cmp_eq_u64 s[20:21], 0
	v_add_co_u32 v0, s0, s0, v7
	s_delay_alu instid0(VALU_DEP_1) | instskip(NEXT) | instid1(VALU_DEP_3)
	v_add_co_ci_u32_e64 v1, null, s1, 0, s0
	v_mul_lo_u32 v2, v4, s18
	s_delay_alu instid0(VALU_DEP_4) | instskip(NEXT) | instid1(VALU_DEP_3)
	v_mul_lo_u32 v4, v3, s19
	v_lshlrev_b64 v[0:1], 1, v[0:1]
	s_cbranch_scc1 .LBB83_11
; %bb.10:
	v_mad_u64_u32 v[6:7], null, v3, s18, 0
	s_delay_alu instid0(VALU_DEP_1) | instskip(NEXT) | instid1(VALU_DEP_1)
	v_add3_u32 v7, v7, v4, v2
	v_lshlrev_b64 v[6:7], 1, v[6:7]
	s_delay_alu instid0(VALU_DEP_1) | instskip(NEXT) | instid1(VALU_DEP_2)
	v_add_co_u32 v6, vcc_lo, s20, v6
	v_add_co_ci_u32_e32 v7, vcc_lo, s21, v7, vcc_lo
	s_delay_alu instid0(VALU_DEP_2) | instskip(NEXT) | instid1(VALU_DEP_2)
	v_add_co_u32 v6, vcc_lo, v6, v0
	v_add_co_ci_u32_e32 v7, vcc_lo, v7, v1, vcc_lo
	global_store_b16 v[6:7], v8, off
.LBB83_11:
	s_cmp_eq_u64 s[22:23], 0
	s_cbranch_scc1 .LBB83_13
; %bb.12:
	v_mad_u64_u32 v[6:7], null, v3, s18, 0
	s_delay_alu instid0(VALU_DEP_1) | instskip(NEXT) | instid1(VALU_DEP_1)
	v_add3_u32 v7, v7, v4, v2
	v_lshlrev_b64 v[2:3], 1, v[6:7]
	s_delay_alu instid0(VALU_DEP_1) | instskip(NEXT) | instid1(VALU_DEP_2)
	v_add_co_u32 v2, vcc_lo, s22, v2
	v_add_co_ci_u32_e32 v3, vcc_lo, s23, v3, vcc_lo
	s_delay_alu instid0(VALU_DEP_2) | instskip(NEXT) | instid1(VALU_DEP_2)
	v_add_co_u32 v0, vcc_lo, v2, v0
	v_add_co_ci_u32_e32 v1, vcc_lo, v3, v1, vcc_lo
	global_store_b16 v[0:1], v5, off
.LBB83_13:
	s_nop 0
	s_sendmsg sendmsg(MSG_DEALLOC_VGPRS)
	s_endpgm
	.section	.rodata,"a",@progbits
	.p2align	6, 0x0
	.amdhsa_kernel _ZN2at6native12_GLOBAL__N_135GammaBetaBackwardCUDAKernelTemplateIN3c104HalfEfLj32ELj1ELj32ELb1ELb1ELb0EEEvllPKT_S7_PKT0_SA_PS5_SB_
		.amdhsa_group_segment_fixed_size 0
		.amdhsa_private_segment_fixed_size 0
		.amdhsa_kernarg_size 320
		.amdhsa_user_sgpr_count 14
		.amdhsa_user_sgpr_dispatch_ptr 0
		.amdhsa_user_sgpr_queue_ptr 0
		.amdhsa_user_sgpr_kernarg_segment_ptr 1
		.amdhsa_user_sgpr_dispatch_id 0
		.amdhsa_user_sgpr_private_segment_size 0
		.amdhsa_wavefront_size32 1
		.amdhsa_uses_dynamic_stack 0
		.amdhsa_enable_private_segment 0
		.amdhsa_system_sgpr_workgroup_id_x 1
		.amdhsa_system_sgpr_workgroup_id_y 1
		.amdhsa_system_sgpr_workgroup_id_z 0
		.amdhsa_system_sgpr_workgroup_info 0
		.amdhsa_system_vgpr_workitem_id 1
		.amdhsa_next_free_vgpr 115
		.amdhsa_next_free_sgpr 32
		.amdhsa_reserve_vcc 1
		.amdhsa_float_round_mode_32 0
		.amdhsa_float_round_mode_16_64 0
		.amdhsa_float_denorm_mode_32 3
		.amdhsa_float_denorm_mode_16_64 3
		.amdhsa_dx10_clamp 1
		.amdhsa_ieee_mode 1
		.amdhsa_fp16_overflow 0
		.amdhsa_workgroup_processor_mode 1
		.amdhsa_memory_ordered 1
		.amdhsa_forward_progress 0
		.amdhsa_shared_vgpr_count 0
		.amdhsa_exception_fp_ieee_invalid_op 0
		.amdhsa_exception_fp_denorm_src 0
		.amdhsa_exception_fp_ieee_div_zero 0
		.amdhsa_exception_fp_ieee_overflow 0
		.amdhsa_exception_fp_ieee_underflow 0
		.amdhsa_exception_fp_ieee_inexact 0
		.amdhsa_exception_int_div_zero 0
	.end_amdhsa_kernel
	.section	.text._ZN2at6native12_GLOBAL__N_135GammaBetaBackwardCUDAKernelTemplateIN3c104HalfEfLj32ELj1ELj32ELb1ELb1ELb0EEEvllPKT_S7_PKT0_SA_PS5_SB_,"axG",@progbits,_ZN2at6native12_GLOBAL__N_135GammaBetaBackwardCUDAKernelTemplateIN3c104HalfEfLj32ELj1ELj32ELb1ELb1ELb0EEEvllPKT_S7_PKT0_SA_PS5_SB_,comdat
.Lfunc_end83:
	.size	_ZN2at6native12_GLOBAL__N_135GammaBetaBackwardCUDAKernelTemplateIN3c104HalfEfLj32ELj1ELj32ELb1ELb1ELb0EEEvllPKT_S7_PKT0_SA_PS5_SB_, .Lfunc_end83-_ZN2at6native12_GLOBAL__N_135GammaBetaBackwardCUDAKernelTemplateIN3c104HalfEfLj32ELj1ELj32ELb1ELb1ELb0EEEvllPKT_S7_PKT0_SA_PS5_SB_
                                        ; -- End function
	.section	.AMDGPU.csdata,"",@progbits
; Kernel info:
; codeLenInByte = 3884
; NumSgprs: 34
; NumVgprs: 115
; ScratchSize: 0
; MemoryBound: 0
; FloatMode: 240
; IeeeMode: 1
; LDSByteSize: 0 bytes/workgroup (compile time only)
; SGPRBlocks: 4
; VGPRBlocks: 14
; NumSGPRsForWavesPerEU: 34
; NumVGPRsForWavesPerEU: 115
; Occupancy: 12
; WaveLimiterHint : 0
; COMPUTE_PGM_RSRC2:SCRATCH_EN: 0
; COMPUTE_PGM_RSRC2:USER_SGPR: 14
; COMPUTE_PGM_RSRC2:TRAP_HANDLER: 0
; COMPUTE_PGM_RSRC2:TGID_X_EN: 1
; COMPUTE_PGM_RSRC2:TGID_Y_EN: 1
; COMPUTE_PGM_RSRC2:TGID_Z_EN: 0
; COMPUTE_PGM_RSRC2:TIDIG_COMP_CNT: 1
	.section	.text._ZN2at6native12_GLOBAL__N_135GammaBetaBackwardCUDAKernelTemplateIN3c104HalfEfLj32ELj1ELj32ELb1ELb0ELb0EEEvllPKT_S7_PKT0_SA_PS5_SB_,"axG",@progbits,_ZN2at6native12_GLOBAL__N_135GammaBetaBackwardCUDAKernelTemplateIN3c104HalfEfLj32ELj1ELj32ELb1ELb0ELb0EEEvllPKT_S7_PKT0_SA_PS5_SB_,comdat
	.globl	_ZN2at6native12_GLOBAL__N_135GammaBetaBackwardCUDAKernelTemplateIN3c104HalfEfLj32ELj1ELj32ELb1ELb0ELb0EEEvllPKT_S7_PKT0_SA_PS5_SB_ ; -- Begin function _ZN2at6native12_GLOBAL__N_135GammaBetaBackwardCUDAKernelTemplateIN3c104HalfEfLj32ELj1ELj32ELb1ELb0ELb0EEEvllPKT_S7_PKT0_SA_PS5_SB_
	.p2align	8
	.type	_ZN2at6native12_GLOBAL__N_135GammaBetaBackwardCUDAKernelTemplateIN3c104HalfEfLj32ELj1ELj32ELb1ELb0ELb0EEEvllPKT_S7_PKT0_SA_PS5_SB_,@function
_ZN2at6native12_GLOBAL__N_135GammaBetaBackwardCUDAKernelTemplateIN3c104HalfEfLj32ELj1ELj32ELb1ELb0ELb0EEEvllPKT_S7_PKT0_SA_PS5_SB_: ; @_ZN2at6native12_GLOBAL__N_135GammaBetaBackwardCUDAKernelTemplateIN3c104HalfEfLj32ELj1ELj32ELb1ELb0ELb0EEEvllPKT_S7_PKT0_SA_PS5_SB_
; %bb.0:
	s_clause 0x1
	s_load_b256 s[16:23], s[0:1], 0x0
	s_load_b128 s[8:11], s[0:1], 0x20
	s_mov_b32 s2, s15
	s_mov_b32 s5, 0
	s_lshl_b32 s6, s2, 5
	s_mov_b32 s7, s5
	s_lshl_b32 s15, s14, 5
	v_mov_b32_e32 v227, v0
	s_or_b32 s4, s15, 31
	s_waitcnt lgkmcnt(0)
	v_cmp_lt_i64_e64 s30, s[6:7], s[16:17]
	v_cmp_ge_i64_e64 s3, s[4:5], s[18:19]
	s_delay_alu instid0(VALU_DEP_2) | instskip(NEXT) | instid1(VALU_DEP_2)
	v_cndmask_b32_e64 v0, 0, 1, s30
	s_and_b32 vcc_lo, exec_lo, s3
	s_delay_alu instid0(VALU_DEP_1)
	v_cmp_ne_u32_e64 s3, 1, v0
	s_cbranch_vccz .LBB84_141
; %bb.1:
	v_dual_mov_b32 v144, 0 :: v_dual_mov_b32 v125, 0
	s_delay_alu instid0(VALU_DEP_2)
	s_and_b32 vcc_lo, exec_lo, s3
	s_cbranch_vccnz .LBB84_142
; %bb.2:
	v_bfe_u32 v9, v227, 10, 10
	s_load_b32 s4, s[0:1], 0x44
	v_dual_mov_b32 v2, 0 :: v_dual_and_b32 v11, 0x3ff, v227
	s_add_u32 s12, s0, 64
	s_delay_alu instid0(VALU_DEP_2) | instskip(SKIP_1) | instid1(VALU_DEP_2)
	v_lshlrev_b32_e32 v10, 5, v9
	s_addc_u32 s13, s1, 0
	v_dual_mov_b32 v12, v2 :: v_dual_add_nc_u32 v1, s15, v11
	v_mov_b32_e32 v140, 0
	s_delay_alu instid0(VALU_DEP_3) | instskip(NEXT) | instid1(VALU_DEP_1)
	v_add_co_u32 v5, s3, v10, s6
	v_add_co_ci_u32_e64 v6, null, 0, 0, s3
	s_delay_alu instid0(VALU_DEP_4) | instskip(NEXT) | instid1(VALU_DEP_3)
	v_cmp_gt_i64_e64 s3, s[18:19], v[1:2]
	v_add_co_u32 v0, vcc_lo, v5, 31
	s_delay_alu instid0(VALU_DEP_3) | instskip(SKIP_1) | instid1(VALU_DEP_3)
	v_add_co_ci_u32_e32 v3, vcc_lo, 0, v6, vcc_lo
	v_mad_u64_u32 v[134:135], null, s18, v5, 0
	v_mul_lo_u32 v4, s19, v0
	s_delay_alu instid0(VALU_DEP_3)
	v_mul_lo_u32 v3, s18, v3
	v_mad_u64_u32 v[7:8], null, s18, v0, 0
	v_add_co_u32 v0, vcc_lo, v5, 30
	v_add_co_ci_u32_e32 v13, vcc_lo, 0, v6, vcc_lo
	s_waitcnt lgkmcnt(0)
	s_lshl_b32 s31, s4, 5
	s_delay_alu instid0(VALU_DEP_2) | instskip(NEXT) | instid1(VALU_DEP_4)
	v_mul_lo_u32 v14, s19, v0
	v_add3_u32 v8, v8, v3, v4
	v_mul_lo_u32 v15, s18, v13
	v_mad_u64_u32 v[16:17], null, s18, v0, 0
	v_lshlrev_b64 v[3:4], 1, v[1:2]
	s_delay_alu instid0(VALU_DEP_4) | instskip(SKIP_4) | instid1(VALU_DEP_3)
	v_lshlrev_b64 v[7:8], 1, v[7:8]
	s_mul_i32 s4, s19, s31
	s_mul_hi_u32 s24, s18, s31
	s_mul_i32 s26, s18, s31
	s_add_i32 s27, s24, s4
	v_add3_u32 v17, v17, v15, v14
	v_add_co_u32 v1, vcc_lo, s20, v7
	v_add_co_ci_u32_e32 v13, vcc_lo, s21, v8, vcc_lo
	v_add_co_u32 v0, vcc_lo, v5, 29
	v_add_co_u32 v14, s4, s22, v7
	s_delay_alu instid0(VALU_DEP_1)
	v_add_co_ci_u32_e64 v15, s4, s23, v8, s4
	v_lshlrev_b64 v[7:8], 1, v[16:17]
	v_add_co_ci_u32_e32 v16, vcc_lo, 0, v6, vcc_lo
	v_add_co_u32 v17, vcc_lo, v5, 28
	v_add_co_ci_u32_e32 v19, vcc_lo, 0, v6, vcc_lo
	v_mul_lo_u32 v18, s19, v0
	s_delay_alu instid0(VALU_DEP_4)
	v_mul_lo_u32 v24, s18, v16
	v_mad_u64_u32 v[20:21], null, s18, v0, 0
	v_mul_lo_u32 v0, s19, v17
	v_mul_lo_u32 v25, s18, v19
	v_mad_u64_u32 v[22:23], null, s18, v17, 0
	v_add_co_u32 v16, vcc_lo, s20, v7
	v_add_co_ci_u32_e32 v17, vcc_lo, s21, v8, vcc_lo
	v_add3_u32 v21, v21, v24, v18
	v_add_co_u32 v18, vcc_lo, s22, v7
	v_add_co_ci_u32_e32 v19, vcc_lo, s23, v8, vcc_lo
	v_add3_u32 v23, v23, v25, v0
	v_add_co_u32 v0, vcc_lo, v5, 27
	v_add_co_ci_u32_e32 v24, vcc_lo, 0, v6, vcc_lo
	v_lshlrev_b64 v[7:8], 1, v[20:21]
	s_delay_alu instid0(VALU_DEP_3) | instskip(SKIP_1) | instid1(VALU_DEP_4)
	v_mul_lo_u32 v30, s19, v0
	v_mad_u64_u32 v[28:29], null, s18, v0, 0
	v_mul_lo_u32 v31, s18, v24
	v_lshlrev_b64 v[26:27], 1, v[22:23]
	v_add_co_u32 v20, vcc_lo, s20, v7
	v_add_co_ci_u32_e32 v21, vcc_lo, s21, v8, vcc_lo
	v_add_co_u32 v22, vcc_lo, s22, v7
	v_add_co_ci_u32_e32 v23, vcc_lo, s23, v8, vcc_lo
	v_add_co_u32 v24, vcc_lo, s20, v26
	v_add3_u32 v29, v29, v31, v30
	v_add_co_ci_u32_e32 v25, vcc_lo, s21, v27, vcc_lo
	v_add_co_u32 v0, vcc_lo, v5, 26
	s_delay_alu instid0(VALU_DEP_3) | instskip(SKIP_4) | instid1(VALU_DEP_4)
	v_lshlrev_b64 v[7:8], 1, v[28:29]
	v_add_co_ci_u32_e32 v28, vcc_lo, 0, v6, vcc_lo
	v_add_co_u32 v29, vcc_lo, v5, 25
	v_add_co_ci_u32_e32 v31, vcc_lo, 0, v6, vcc_lo
	v_mul_lo_u32 v30, s19, v0
	v_mul_lo_u32 v36, s18, v28
	v_mad_u64_u32 v[32:33], null, s18, v0, 0
	v_mul_lo_u32 v0, s19, v29
	v_mul_lo_u32 v37, s18, v31
	v_mad_u64_u32 v[34:35], null, s18, v29, 0
	v_add_co_u32 v28, vcc_lo, s20, v7
	v_add_co_ci_u32_e32 v29, vcc_lo, s21, v8, vcc_lo
	v_add3_u32 v33, v33, v36, v30
	v_add_co_u32 v30, vcc_lo, s22, v7
	v_add_co_ci_u32_e32 v31, vcc_lo, s23, v8, vcc_lo
	v_add3_u32 v35, v35, v37, v0
	v_add_co_u32 v0, vcc_lo, v5, 24
	v_add_co_ci_u32_e32 v36, vcc_lo, 0, v6, vcc_lo
	v_lshlrev_b64 v[7:8], 1, v[32:33]
	s_delay_alu instid0(VALU_DEP_3) | instskip(SKIP_1) | instid1(VALU_DEP_4)
	v_mul_lo_u32 v42, s19, v0
	v_mad_u64_u32 v[40:41], null, s18, v0, 0
	v_mul_lo_u32 v43, s18, v36
	v_lshlrev_b64 v[38:39], 1, v[34:35]
	v_add_co_u32 v32, vcc_lo, s20, v7
	v_add_co_ci_u32_e32 v33, vcc_lo, s21, v8, vcc_lo
	v_add_co_u32 v34, vcc_lo, s22, v7
	v_add_co_ci_u32_e32 v35, vcc_lo, s23, v8, vcc_lo
	v_add_co_u32 v36, vcc_lo, s20, v38
	v_add3_u32 v41, v41, v43, v42
	v_add_co_ci_u32_e32 v37, vcc_lo, s21, v39, vcc_lo
	v_add_co_u32 v0, vcc_lo, v5, 23
	s_delay_alu instid0(VALU_DEP_3) | instskip(SKIP_4) | instid1(VALU_DEP_4)
	v_lshlrev_b64 v[7:8], 1, v[40:41]
	v_add_co_ci_u32_e32 v40, vcc_lo, 0, v6, vcc_lo
	v_add_co_u32 v41, vcc_lo, v5, 22
	v_add_co_ci_u32_e32 v43, vcc_lo, 0, v6, vcc_lo
	v_mul_lo_u32 v42, s19, v0
	;; [unrolled: 33-line block ×3, first 2 shown]
	v_mul_lo_u32 v59, s18, v51
	v_mad_u64_u32 v[55:56], null, s18, v53, 0
	v_mul_lo_u32 v60, s19, v52
	v_mul_lo_u32 v61, s18, v57
	v_mad_u64_u32 v[57:58], null, s18, v52, 0
	v_add_co_u32 v51, vcc_lo, s20, v7
	v_add_co_ci_u32_e32 v52, vcc_lo, s21, v8, vcc_lo
	v_add_co_u32 v53, vcc_lo, s22, v7
	v_add3_u32 v56, v56, v59, v54
	v_add_co_ci_u32_e32 v54, vcc_lo, s23, v8, vcc_lo
	v_add_co_u32 v59, vcc_lo, v5, 18
	v_add3_u32 v58, v58, v61, v60
	v_add_co_ci_u32_e32 v60, vcc_lo, 0, v6, vcc_lo
	v_lshlrev_b64 v[7:8], 1, v[55:56]
	s_delay_alu instid0(VALU_DEP_4) | instskip(SKIP_1) | instid1(VALU_DEP_4)
	v_mul_lo_u32 v65, s19, v59
	v_mad_u64_u32 v[63:64], null, s18, v59, 0
	v_mul_lo_u32 v66, s18, v60
	v_lshlrev_b64 v[61:62], 1, v[57:58]
	v_add_co_u32 v55, vcc_lo, s20, v7
	v_add_co_ci_u32_e32 v56, vcc_lo, s21, v8, vcc_lo
	v_add_co_u32 v57, vcc_lo, s22, v7
	v_add_co_ci_u32_e32 v58, vcc_lo, s23, v8, vcc_lo
	v_add_co_u32 v59, vcc_lo, s20, v61
	v_add3_u32 v64, v64, v66, v65
	v_add_co_ci_u32_e32 v60, vcc_lo, s21, v62, vcc_lo
	v_add_co_u32 v65, vcc_lo, v5, 17
	s_delay_alu instid0(VALU_DEP_3) | instskip(SKIP_4) | instid1(VALU_DEP_4)
	v_lshlrev_b64 v[7:8], 1, v[63:64]
	v_add_co_ci_u32_e32 v63, vcc_lo, 0, v6, vcc_lo
	v_add_co_u32 v64, vcc_lo, v5, 16
	v_add_co_ci_u32_e32 v69, vcc_lo, 0, v6, vcc_lo
	v_mul_lo_u32 v66, s19, v65
	v_mul_lo_u32 v71, s18, v63
	v_mad_u64_u32 v[67:68], null, s18, v65, 0
	v_mul_lo_u32 v72, s19, v64
	v_mul_lo_u32 v73, s18, v69
	v_mad_u64_u32 v[69:70], null, s18, v64, 0
	v_add_co_u32 v63, vcc_lo, s20, v7
	v_add_co_ci_u32_e32 v64, vcc_lo, s21, v8, vcc_lo
	v_add_co_u32 v65, vcc_lo, s22, v7
	v_add3_u32 v68, v68, v71, v66
	v_add_co_ci_u32_e32 v66, vcc_lo, s23, v8, vcc_lo
	v_add_co_u32 v71, vcc_lo, v5, 15
	v_add3_u32 v70, v70, v73, v72
	v_add_co_ci_u32_e32 v72, vcc_lo, 0, v6, vcc_lo
	v_lshlrev_b64 v[7:8], 1, v[67:68]
	s_delay_alu instid0(VALU_DEP_4) | instskip(SKIP_1) | instid1(VALU_DEP_4)
	v_mul_lo_u32 v77, s19, v71
	v_mad_u64_u32 v[75:76], null, s18, v71, 0
	v_mul_lo_u32 v78, s18, v72
	v_lshlrev_b64 v[73:74], 1, v[69:70]
	v_add_co_u32 v67, vcc_lo, s20, v7
	v_add_co_ci_u32_e32 v68, vcc_lo, s21, v8, vcc_lo
	v_add_co_u32 v69, vcc_lo, s22, v7
	v_add_co_ci_u32_e32 v70, vcc_lo, s23, v8, vcc_lo
	v_add_co_u32 v71, vcc_lo, s20, v73
	v_add3_u32 v76, v76, v78, v77
	v_add_co_ci_u32_e32 v72, vcc_lo, s21, v74, vcc_lo
	v_add_co_u32 v77, vcc_lo, v5, 14
	s_delay_alu instid0(VALU_DEP_3) | instskip(SKIP_4) | instid1(VALU_DEP_4)
	v_lshlrev_b64 v[7:8], 1, v[75:76]
	v_add_co_ci_u32_e32 v75, vcc_lo, 0, v6, vcc_lo
	v_add_co_u32 v76, vcc_lo, v5, 13
	v_add_co_ci_u32_e32 v81, vcc_lo, 0, v6, vcc_lo
	v_mul_lo_u32 v78, s19, v77
	;; [unrolled: 33-line block ×4, first 2 shown]
	v_mul_lo_u32 v107, s18, v99
	v_mad_u64_u32 v[103:104], null, s18, v101, 0
	v_mul_lo_u32 v108, s19, v100
	v_mul_lo_u32 v109, s18, v105
	v_mad_u64_u32 v[105:106], null, s18, v100, 0
	v_add_co_u32 v99, vcc_lo, s20, v7
	v_add_co_ci_u32_e32 v100, vcc_lo, s21, v8, vcc_lo
	v_add_co_u32 v101, vcc_lo, s22, v7
	v_add3_u32 v104, v104, v107, v102
	v_add_co_ci_u32_e32 v102, vcc_lo, s23, v8, vcc_lo
	v_add_co_u32 v107, vcc_lo, v5, 6
	v_add3_u32 v106, v106, v109, v108
	v_add_co_ci_u32_e32 v108, vcc_lo, 0, v6, vcc_lo
	v_lshlrev_b64 v[7:8], 1, v[103:104]
	s_delay_alu instid0(VALU_DEP_4) | instskip(SKIP_1) | instid1(VALU_DEP_4)
	v_mul_lo_u32 v113, s19, v107
	v_mad_u64_u32 v[111:112], null, s18, v107, 0
	v_mul_lo_u32 v114, s18, v108
	v_lshlrev_b64 v[109:110], 1, v[105:106]
	v_add_co_u32 v103, vcc_lo, s20, v7
	v_add_co_ci_u32_e32 v104, vcc_lo, s21, v8, vcc_lo
	v_add_co_u32 v105, vcc_lo, s22, v7
	v_add_co_ci_u32_e32 v106, vcc_lo, s23, v8, vcc_lo
	v_add_co_u32 v107, vcc_lo, s20, v109
	v_add3_u32 v112, v112, v114, v113
	v_add_co_ci_u32_e32 v108, vcc_lo, s21, v110, vcc_lo
	v_add_co_u32 v113, vcc_lo, v5, 5
	s_delay_alu instid0(VALU_DEP_3) | instskip(SKIP_2) | instid1(VALU_DEP_4)
	v_lshlrev_b64 v[7:8], 1, v[111:112]
	v_add_co_ci_u32_e32 v111, vcc_lo, 0, v6, vcc_lo
	v_add_co_u32 v112, vcc_lo, v5, 4
	v_mul_lo_u32 v114, s19, v113
	s_delay_alu instid0(VALU_DEP_3) | instskip(SKIP_4) | instid1(VALU_DEP_3)
	v_mul_lo_u32 v119, s18, v111
	v_mad_u64_u32 v[115:116], null, s18, v113, 0
	v_add_co_ci_u32_e32 v117, vcc_lo, 0, v6, vcc_lo
	v_mul_lo_u32 v120, s19, v112
	v_add_co_u32 v111, vcc_lo, s20, v7
	v_mul_lo_u32 v121, s18, v117
	v_mad_u64_u32 v[117:118], null, s18, v112, 0
	v_add3_u32 v116, v116, v119, v114
	v_add_co_ci_u32_e32 v112, vcc_lo, s21, v8, vcc_lo
	v_add_co_u32 v113, vcc_lo, s22, v7
	v_add_co_ci_u32_e32 v114, vcc_lo, s23, v8, vcc_lo
	s_delay_alu instid0(VALU_DEP_4) | instskip(SKIP_3) | instid1(VALU_DEP_4)
	v_lshlrev_b64 v[7:8], 1, v[115:116]
	v_add_co_u32 v119, vcc_lo, v5, 3
	v_add3_u32 v118, v118, v121, v120
	v_add_co_ci_u32_e32 v120, vcc_lo, 0, v6, vcc_lo
	v_add_co_u32 v115, vcc_lo, s20, v7
	s_delay_alu instid0(VALU_DEP_3) | instskip(SKIP_1) | instid1(VALU_DEP_4)
	v_lshlrev_b64 v[121:122], 1, v[117:118]
	v_mul_lo_u32 v125, s19, v119
	v_mul_lo_u32 v126, s18, v120
	v_mad_u64_u32 v[123:124], null, s18, v119, 0
	v_add_co_ci_u32_e32 v116, vcc_lo, s21, v8, vcc_lo
	v_add_co_u32 v117, vcc_lo, s22, v7
	v_add_co_ci_u32_e32 v118, vcc_lo, s23, v8, vcc_lo
	v_add_co_u32 v119, vcc_lo, s20, v121
	v_add_co_ci_u32_e32 v120, vcc_lo, s21, v122, vcc_lo
	v_add3_u32 v124, v124, v126, v125
	v_add_co_u32 v125, vcc_lo, v5, 2
	v_add_co_ci_u32_e32 v126, vcc_lo, 0, v6, vcc_lo
	s_delay_alu instid0(VALU_DEP_3) | instskip(NEXT) | instid1(VALU_DEP_3)
	v_lshlrev_b64 v[7:8], 1, v[123:124]
	v_mul_lo_u32 v127, s19, v125
	v_mad_u64_u32 v[128:129], null, s18, v125, 0
	s_delay_alu instid0(VALU_DEP_4)
	v_mul_lo_u32 v126, s18, v126
	v_mul_lo_u32 v125, s19, v5
	;; [unrolled: 1-line block ×3, first 2 shown]
	v_add_co_u32 v121, vcc_lo, s22, v121
	v_add_co_ci_u32_e32 v122, vcc_lo, s23, v122, vcc_lo
	v_add_co_u32 v123, vcc_lo, s20, v7
	v_add_co_ci_u32_e32 v124, vcc_lo, s21, v8, vcc_lo
	v_add3_u32 v129, v129, v126, v127
	v_add_co_u32 v126, vcc_lo, s22, v7
	v_add3_u32 v135, v135, v6, v125
	v_add_co_ci_u32_e32 v127, vcc_lo, s23, v8, vcc_lo
	v_add_co_u32 v7, vcc_lo, v134, s18
	v_add_co_u32 v26, s4, s22, v26
	v_lshlrev_b64 v[5:6], 1, v[128:129]
	v_add_co_ci_u32_e32 v8, vcc_lo, s19, v135, vcc_lo
	v_add_co_ci_u32_e64 v27, s4, s23, v27, s4
	v_add_co_u32 v38, s4, s22, v38
	s_delay_alu instid0(VALU_DEP_1)
	v_add_co_ci_u32_e64 v39, s4, s23, v39, s4
	v_add_co_u32 v49, s4, s22, v49
	v_add_co_u32 v128, vcc_lo, s20, v5
	v_lshlrev_b64 v[7:8], 1, v[7:8]
	v_add_co_ci_u32_e64 v50, s4, s23, v50, s4
	v_add_co_ci_u32_e32 v129, vcc_lo, s21, v6, vcc_lo
	v_add_co_u32 v61, s4, s22, v61
	v_add_co_u32 v130, vcc_lo, s22, v5
	v_add_co_ci_u32_e64 v62, s4, s23, v62, s4
	v_add_co_ci_u32_e32 v131, vcc_lo, s23, v6, vcc_lo
	v_add_co_u32 v73, s4, s22, v73
	v_add_co_u32 v132, vcc_lo, s20, v7
	v_lshlrev_b64 v[5:6], 1, v[134:135]
	v_add_co_ci_u32_e64 v74, s4, s23, v74, s4
	v_add_co_ci_u32_e32 v133, vcc_lo, s21, v8, vcc_lo
	v_add_co_u32 v85, s4, s22, v85
	v_add_co_u32 v134, vcc_lo, s22, v7
	v_add_co_ci_u32_e64 v86, s4, s23, v86, s4
	v_add_co_ci_u32_e32 v135, vcc_lo, s23, v8, vcc_lo
	v_add_co_u32 v97, s4, s22, v97
	v_add_co_u32 v136, vcc_lo, s20, v5
	;; [unrolled: 4-line block ×3, first 2 shown]
	v_add_co_ci_u32_e64 v110, s4, s23, v110, s4
	v_add_co_ci_u32_e32 v139, vcc_lo, s23, v6, vcc_lo
	v_mov_b32_e32 v125, 0
	s_mov_b64 s[24:25], 31
	s_lshl_b64 s[26:27], s[26:27], 1
	s_mov_b64 s[28:29], s[6:7]
.LBB84_3:                               ; =>This Inner Loop Header: Depth=1
	s_add_u32 s34, s6, s24
	s_addc_u32 s35, 0, s25
	v_add_co_u32 v5, vcc_lo, s6, v10
	v_cmp_ge_i64_e64 s4, s[34:35], s[16:17]
	v_add_co_ci_u32_e32 v6, vcc_lo, 0, v12, vcc_lo
	s_delay_alu instid0(VALU_DEP_2)
	s_and_b32 vcc_lo, exec_lo, s4
	s_cbranch_vccz .LBB84_71
; %bb.4:                                ;   in Loop: Header=BB84_3 Depth=1
	s_load_b32 s4, s[12:13], 0xc
	v_mov_b32_e32 v143, 0
	v_dual_mov_b32 v141, 0 :: v_dual_mov_b32 v142, 0
	s_waitcnt lgkmcnt(0)
	s_and_b32 s4, s4, 0xffff
	s_delay_alu instid0(SALU_CYCLE_1) | instskip(SKIP_1) | instid1(VALU_DEP_1)
	v_mad_u32_u24 v7, v9, s4, v11
	s_mov_b32 s4, exec_lo
	v_and_b32_e32 v7, 31, v7
	s_delay_alu instid0(VALU_DEP_1) | instskip(SKIP_1) | instid1(VALU_DEP_1)
	v_add_co_u32 v7, vcc_lo, v5, v7
	v_add_co_ci_u32_e32 v8, vcc_lo, 0, v6, vcc_lo
	v_cmpx_gt_i64_e64 s[16:17], v[7:8]
	s_cbranch_execz .LBB84_6
; %bb.5:                                ;   in Loop: Header=BB84_3 Depth=1
	v_lshlrev_b64 v[7:8], 2, v[7:8]
	s_delay_alu instid0(VALU_DEP_1) | instskip(NEXT) | instid1(VALU_DEP_2)
	v_add_co_u32 v141, vcc_lo, s8, v7
	v_add_co_ci_u32_e32 v142, vcc_lo, s9, v8, vcc_lo
	v_add_co_u32 v7, vcc_lo, s10, v7
	v_add_co_ci_u32_e32 v8, vcc_lo, s11, v8, vcc_lo
	global_load_b32 v141, v[141:142], off
	global_load_b32 v142, v[7:8], off
.LBB84_6:                               ;   in Loop: Header=BB84_3 Depth=1
	s_or_b32 exec_lo, exec_lo, s4
	v_cmp_gt_i64_e32 vcc_lo, s[16:17], v[5:6]
	v_mov_b32_e32 v7, 0
	s_and_b32 s33, s3, vcc_lo
	s_delay_alu instid0(SALU_CYCLE_1)
	s_and_saveexec_b32 s4, s33
	s_cbranch_execz .LBB84_8
; %bb.7:                                ;   in Loop: Header=BB84_3 Depth=1
	v_add_co_u32 v7, vcc_lo, v136, v3
	v_add_co_ci_u32_e32 v8, vcc_lo, v137, v4, vcc_lo
	v_add_co_u32 v143, vcc_lo, v138, v3
	v_add_co_ci_u32_e32 v144, vcc_lo, v139, v4, vcc_lo
	global_load_u16 v7, v[7:8], off
	global_load_u16 v8, v[143:144], off
	s_waitcnt vmcnt(1)
	v_cvt_f32_f16_e64 v143, v7
	s_waitcnt vmcnt(0)
	v_cvt_f32_f16_e32 v7, v8
.LBB84_8:                               ;   in Loop: Header=BB84_3 Depth=1
	s_or_b32 exec_lo, exec_lo, s4
	v_add_co_u32 v144, vcc_lo, v5, 1
	v_add_co_ci_u32_e32 v145, vcc_lo, 0, v6, vcc_lo
	v_mov_b32_e32 v8, 0
	s_delay_alu instid0(VALU_DEP_2) | instskip(SKIP_2) | instid1(SALU_CYCLE_1)
	v_cmp_gt_i64_e32 vcc_lo, s[16:17], v[144:145]
	v_dual_mov_b32 v145, 0 :: v_dual_mov_b32 v144, 0
	s_and_b32 s33, s3, vcc_lo
	s_and_saveexec_b32 s4, s33
	s_cbranch_execz .LBB84_10
; %bb.9:                                ;   in Loop: Header=BB84_3 Depth=1
	v_add_co_u32 v144, vcc_lo, v132, v3
	v_add_co_ci_u32_e32 v145, vcc_lo, v133, v4, vcc_lo
	v_add_co_u32 v146, vcc_lo, v134, v3
	v_add_co_ci_u32_e32 v147, vcc_lo, v135, v4, vcc_lo
	global_load_u16 v144, v[144:145], off
	global_load_u16 v146, v[146:147], off
	s_waitcnt vmcnt(1)
	v_cvt_f32_f16_e64 v145, v144
	s_waitcnt vmcnt(0)
	v_cvt_f32_f16_e64 v144, v146
.LBB84_10:                              ;   in Loop: Header=BB84_3 Depth=1
	s_or_b32 exec_lo, exec_lo, s4
	v_add_co_u32 v146, vcc_lo, v5, 2
	v_add_co_ci_u32_e32 v147, vcc_lo, 0, v6, vcc_lo
	s_delay_alu instid0(VALU_DEP_1) | instskip(SKIP_2) | instid1(SALU_CYCLE_1)
	v_cmp_gt_i64_e32 vcc_lo, s[16:17], v[146:147]
	v_mov_b32_e32 v146, 0
	s_and_b32 s33, s3, vcc_lo
	s_and_saveexec_b32 s4, s33
	s_cbranch_execz .LBB84_12
; %bb.11:                               ;   in Loop: Header=BB84_3 Depth=1
	v_add_co_u32 v146, vcc_lo, v128, v3
	v_add_co_ci_u32_e32 v147, vcc_lo, v129, v4, vcc_lo
	v_add_co_u32 v148, vcc_lo, v130, v3
	v_add_co_ci_u32_e32 v149, vcc_lo, v131, v4, vcc_lo
	global_load_u16 v8, v[146:147], off
	global_load_u16 v146, v[148:149], off
	s_waitcnt vmcnt(1)
	v_cvt_f32_f16_e32 v8, v8
	s_waitcnt vmcnt(0)
	v_cvt_f32_f16_e64 v146, v146
.LBB84_12:                              ;   in Loop: Header=BB84_3 Depth=1
	s_or_b32 exec_lo, exec_lo, s4
	v_add_co_u32 v147, vcc_lo, v5, 3
	v_add_co_ci_u32_e32 v148, vcc_lo, 0, v6, vcc_lo
	v_mov_b32_e32 v149, 0
	s_delay_alu instid0(VALU_DEP_2) | instskip(SKIP_2) | instid1(SALU_CYCLE_1)
	v_cmp_gt_i64_e32 vcc_lo, s[16:17], v[147:148]
	v_dual_mov_b32 v147, 0 :: v_dual_mov_b32 v148, 0
	s_and_b32 s33, s3, vcc_lo
	s_and_saveexec_b32 s4, s33
	s_cbranch_execz .LBB84_14
; %bb.13:                               ;   in Loop: Header=BB84_3 Depth=1
	v_add_co_u32 v148, vcc_lo, v123, v3
	v_add_co_ci_u32_e32 v149, vcc_lo, v124, v4, vcc_lo
	v_add_co_u32 v150, vcc_lo, v126, v3
	v_add_co_ci_u32_e32 v151, vcc_lo, v127, v4, vcc_lo
	global_load_u16 v148, v[148:149], off
	global_load_u16 v149, v[150:151], off
	s_waitcnt vmcnt(1)
	v_cvt_f32_f16_e64 v148, v148
	s_waitcnt vmcnt(0)
	v_cvt_f32_f16_e64 v149, v149
.LBB84_14:                              ;   in Loop: Header=BB84_3 Depth=1
	s_or_b32 exec_lo, exec_lo, s4
	v_add_co_u32 v150, vcc_lo, v5, 4
	v_add_co_ci_u32_e32 v151, vcc_lo, 0, v6, vcc_lo
	s_delay_alu instid0(VALU_DEP_1) | instskip(SKIP_2) | instid1(SALU_CYCLE_1)
	v_cmp_gt_i64_e32 vcc_lo, s[16:17], v[150:151]
	v_mov_b32_e32 v150, 0
	s_and_b32 s33, s3, vcc_lo
	s_and_saveexec_b32 s4, s33
	s_cbranch_execz .LBB84_16
; %bb.15:                               ;   in Loop: Header=BB84_3 Depth=1
	v_add_co_u32 v150, vcc_lo, v119, v3
	v_add_co_ci_u32_e32 v151, vcc_lo, v120, v4, vcc_lo
	v_add_co_u32 v152, vcc_lo, v121, v3
	v_add_co_ci_u32_e32 v153, vcc_lo, v122, v4, vcc_lo
	global_load_u16 v147, v[150:151], off
	global_load_u16 v150, v[152:153], off
	s_waitcnt vmcnt(1)
	v_cvt_f32_f16_e64 v147, v147
	s_waitcnt vmcnt(0)
	v_cvt_f32_f16_e64 v150, v150
.LBB84_16:                              ;   in Loop: Header=BB84_3 Depth=1
	s_or_b32 exec_lo, exec_lo, s4
	v_add_co_u32 v151, vcc_lo, v5, 5
	v_add_co_ci_u32_e32 v152, vcc_lo, 0, v6, vcc_lo
	v_mov_b32_e32 v153, 0
	s_delay_alu instid0(VALU_DEP_2) | instskip(SKIP_2) | instid1(SALU_CYCLE_1)
	v_cmp_gt_i64_e32 vcc_lo, s[16:17], v[151:152]
	v_dual_mov_b32 v151, 0 :: v_dual_mov_b32 v152, 0
	s_and_b32 s33, s3, vcc_lo
	s_and_saveexec_b32 s4, s33
	s_cbranch_execz .LBB84_18
; %bb.17:                               ;   in Loop: Header=BB84_3 Depth=1
	v_add_co_u32 v152, vcc_lo, v115, v3
	v_add_co_ci_u32_e32 v153, vcc_lo, v116, v4, vcc_lo
	v_add_co_u32 v154, vcc_lo, v117, v3
	v_add_co_ci_u32_e32 v155, vcc_lo, v118, v4, vcc_lo
	global_load_u16 v152, v[152:153], off
	global_load_u16 v153, v[154:155], off
	s_waitcnt vmcnt(1)
	v_cvt_f32_f16_e64 v152, v152
	s_waitcnt vmcnt(0)
	v_cvt_f32_f16_e64 v153, v153
.LBB84_18:                              ;   in Loop: Header=BB84_3 Depth=1
	s_or_b32 exec_lo, exec_lo, s4
	v_add_co_u32 v154, vcc_lo, v5, 6
	v_add_co_ci_u32_e32 v155, vcc_lo, 0, v6, vcc_lo
	s_delay_alu instid0(VALU_DEP_1) | instskip(SKIP_2) | instid1(SALU_CYCLE_1)
	v_cmp_gt_i64_e32 vcc_lo, s[16:17], v[154:155]
	v_mov_b32_e32 v154, 0
	s_and_b32 s33, s3, vcc_lo
	s_and_saveexec_b32 s4, s33
	s_cbranch_execz .LBB84_20
; %bb.19:                               ;   in Loop: Header=BB84_3 Depth=1
	v_add_co_u32 v154, vcc_lo, v111, v3
	v_add_co_ci_u32_e32 v155, vcc_lo, v112, v4, vcc_lo
	v_add_co_u32 v156, vcc_lo, v113, v3
	v_add_co_ci_u32_e32 v157, vcc_lo, v114, v4, vcc_lo
	global_load_u16 v151, v[154:155], off
	global_load_u16 v154, v[156:157], off
	s_waitcnt vmcnt(1)
	v_cvt_f32_f16_e64 v151, v151
	s_waitcnt vmcnt(0)
	v_cvt_f32_f16_e64 v154, v154
.LBB84_20:                              ;   in Loop: Header=BB84_3 Depth=1
	s_or_b32 exec_lo, exec_lo, s4
	v_add_co_u32 v155, vcc_lo, v5, 7
	v_add_co_ci_u32_e32 v156, vcc_lo, 0, v6, vcc_lo
	v_mov_b32_e32 v157, 0
	s_delay_alu instid0(VALU_DEP_2) | instskip(SKIP_2) | instid1(SALU_CYCLE_1)
	v_cmp_gt_i64_e32 vcc_lo, s[16:17], v[155:156]
	v_dual_mov_b32 v155, 0 :: v_dual_mov_b32 v156, 0
	s_and_b32 s33, s3, vcc_lo
	s_and_saveexec_b32 s4, s33
	s_cbranch_execz .LBB84_22
; %bb.21:                               ;   in Loop: Header=BB84_3 Depth=1
	v_add_co_u32 v156, vcc_lo, v107, v3
	v_add_co_ci_u32_e32 v157, vcc_lo, v108, v4, vcc_lo
	v_add_co_u32 v158, vcc_lo, v109, v3
	v_add_co_ci_u32_e32 v159, vcc_lo, v110, v4, vcc_lo
	global_load_u16 v156, v[156:157], off
	global_load_u16 v157, v[158:159], off
	s_waitcnt vmcnt(1)
	v_cvt_f32_f16_e64 v156, v156
	s_waitcnt vmcnt(0)
	v_cvt_f32_f16_e64 v157, v157
.LBB84_22:                              ;   in Loop: Header=BB84_3 Depth=1
	s_or_b32 exec_lo, exec_lo, s4
	v_add_co_u32 v158, vcc_lo, v5, 8
	v_add_co_ci_u32_e32 v159, vcc_lo, 0, v6, vcc_lo
	s_delay_alu instid0(VALU_DEP_1) | instskip(SKIP_2) | instid1(SALU_CYCLE_1)
	v_cmp_gt_i64_e32 vcc_lo, s[16:17], v[158:159]
	v_mov_b32_e32 v158, 0
	s_and_b32 s33, s3, vcc_lo
	s_and_saveexec_b32 s4, s33
	s_cbranch_execz .LBB84_24
; %bb.23:                               ;   in Loop: Header=BB84_3 Depth=1
	v_add_co_u32 v158, vcc_lo, v103, v3
	v_add_co_ci_u32_e32 v159, vcc_lo, v104, v4, vcc_lo
	v_add_co_u32 v160, vcc_lo, v105, v3
	v_add_co_ci_u32_e32 v161, vcc_lo, v106, v4, vcc_lo
	global_load_u16 v155, v[158:159], off
	global_load_u16 v158, v[160:161], off
	s_waitcnt vmcnt(1)
	v_cvt_f32_f16_e64 v155, v155
	s_waitcnt vmcnt(0)
	v_cvt_f32_f16_e64 v158, v158
.LBB84_24:                              ;   in Loop: Header=BB84_3 Depth=1
	s_or_b32 exec_lo, exec_lo, s4
	v_add_co_u32 v159, vcc_lo, v5, 9
	v_add_co_ci_u32_e32 v160, vcc_lo, 0, v6, vcc_lo
	v_mov_b32_e32 v161, 0
	s_delay_alu instid0(VALU_DEP_2) | instskip(SKIP_2) | instid1(SALU_CYCLE_1)
	v_cmp_gt_i64_e32 vcc_lo, s[16:17], v[159:160]
	v_dual_mov_b32 v159, 0 :: v_dual_mov_b32 v160, 0
	s_and_b32 s33, s3, vcc_lo
	s_and_saveexec_b32 s4, s33
	s_cbranch_execz .LBB84_26
; %bb.25:                               ;   in Loop: Header=BB84_3 Depth=1
	v_add_co_u32 v160, vcc_lo, v99, v3
	v_add_co_ci_u32_e32 v161, vcc_lo, v100, v4, vcc_lo
	v_add_co_u32 v162, vcc_lo, v101, v3
	v_add_co_ci_u32_e32 v163, vcc_lo, v102, v4, vcc_lo
	global_load_u16 v160, v[160:161], off
	global_load_u16 v161, v[162:163], off
	s_waitcnt vmcnt(1)
	v_cvt_f32_f16_e64 v160, v160
	s_waitcnt vmcnt(0)
	v_cvt_f32_f16_e64 v161, v161
.LBB84_26:                              ;   in Loop: Header=BB84_3 Depth=1
	s_or_b32 exec_lo, exec_lo, s4
	v_add_co_u32 v162, vcc_lo, v5, 10
	v_add_co_ci_u32_e32 v163, vcc_lo, 0, v6, vcc_lo
	s_delay_alu instid0(VALU_DEP_1) | instskip(SKIP_2) | instid1(SALU_CYCLE_1)
	v_cmp_gt_i64_e32 vcc_lo, s[16:17], v[162:163]
	v_mov_b32_e32 v163, 0
	s_and_b32 s33, s3, vcc_lo
	s_and_saveexec_b32 s4, s33
	s_cbranch_execz .LBB84_28
; %bb.27:                               ;   in Loop: Header=BB84_3 Depth=1
	v_add_co_u32 v162, vcc_lo, v95, v3
	v_add_co_ci_u32_e32 v163, vcc_lo, v96, v4, vcc_lo
	v_add_co_u32 v164, vcc_lo, v97, v3
	v_add_co_ci_u32_e32 v165, vcc_lo, v98, v4, vcc_lo
	global_load_u16 v159, v[162:163], off
	global_load_u16 v162, v[164:165], off
	s_waitcnt vmcnt(1)
	v_cvt_f32_f16_e64 v159, v159
	s_waitcnt vmcnt(0)
	v_cvt_f32_f16_e64 v163, v162
.LBB84_28:                              ;   in Loop: Header=BB84_3 Depth=1
	s_or_b32 exec_lo, exec_lo, s4
	v_add_co_u32 v164, vcc_lo, v5, 11
	v_add_co_ci_u32_e32 v165, vcc_lo, 0, v6, vcc_lo
	v_mov_b32_e32 v162, 0
	s_delay_alu instid0(VALU_DEP_2) | instskip(SKIP_2) | instid1(SALU_CYCLE_1)
	v_cmp_gt_i64_e32 vcc_lo, s[16:17], v[164:165]
	v_dual_mov_b32 v165, 0 :: v_dual_mov_b32 v164, 0
	s_and_b32 s33, s3, vcc_lo
	s_and_saveexec_b32 s4, s33
	s_cbranch_execz .LBB84_30
; %bb.29:                               ;   in Loop: Header=BB84_3 Depth=1
	v_add_co_u32 v164, vcc_lo, v91, v3
	v_add_co_ci_u32_e32 v165, vcc_lo, v92, v4, vcc_lo
	v_add_co_u32 v166, vcc_lo, v93, v3
	v_add_co_ci_u32_e32 v167, vcc_lo, v94, v4, vcc_lo
	global_load_u16 v164, v[164:165], off
	global_load_u16 v165, v[166:167], off
	s_waitcnt vmcnt(1)
	v_cvt_f32_f16_e64 v164, v164
	s_waitcnt vmcnt(0)
	v_cvt_f32_f16_e64 v165, v165
.LBB84_30:                              ;   in Loop: Header=BB84_3 Depth=1
	s_or_b32 exec_lo, exec_lo, s4
	v_add_co_u32 v166, vcc_lo, v5, 12
	v_add_co_ci_u32_e32 v167, vcc_lo, 0, v6, vcc_lo
	s_delay_alu instid0(VALU_DEP_1) | instskip(SKIP_2) | instid1(SALU_CYCLE_1)
	v_cmp_gt_i64_e32 vcc_lo, s[16:17], v[166:167]
	v_mov_b32_e32 v167, 0
	s_and_b32 s33, s3, vcc_lo
	s_and_saveexec_b32 s4, s33
	s_cbranch_execz .LBB84_32
; %bb.31:                               ;   in Loop: Header=BB84_3 Depth=1
	v_add_co_u32 v166, vcc_lo, v87, v3
	v_add_co_ci_u32_e32 v167, vcc_lo, v88, v4, vcc_lo
	v_add_co_u32 v168, vcc_lo, v89, v3
	v_add_co_ci_u32_e32 v169, vcc_lo, v90, v4, vcc_lo
	global_load_u16 v162, v[166:167], off
	global_load_u16 v166, v[168:169], off
	s_waitcnt vmcnt(1)
	v_cvt_f32_f16_e64 v162, v162
	s_waitcnt vmcnt(0)
	v_cvt_f32_f16_e64 v167, v166
.LBB84_32:                              ;   in Loop: Header=BB84_3 Depth=1
	s_or_b32 exec_lo, exec_lo, s4
	v_add_co_u32 v168, vcc_lo, v5, 13
	v_add_co_ci_u32_e32 v169, vcc_lo, 0, v6, vcc_lo
	v_mov_b32_e32 v166, 0
	s_delay_alu instid0(VALU_DEP_2) | instskip(SKIP_2) | instid1(SALU_CYCLE_1)
	v_cmp_gt_i64_e32 vcc_lo, s[16:17], v[168:169]
	v_dual_mov_b32 v169, 0 :: v_dual_mov_b32 v168, 0
	s_and_b32 s33, s3, vcc_lo
	s_and_saveexec_b32 s4, s33
	s_cbranch_execz .LBB84_34
; %bb.33:                               ;   in Loop: Header=BB84_3 Depth=1
	v_add_co_u32 v168, vcc_lo, v83, v3
	v_add_co_ci_u32_e32 v169, vcc_lo, v84, v4, vcc_lo
	v_add_co_u32 v170, vcc_lo, v85, v3
	v_add_co_ci_u32_e32 v171, vcc_lo, v86, v4, vcc_lo
	global_load_u16 v168, v[168:169], off
	global_load_u16 v169, v[170:171], off
	s_waitcnt vmcnt(1)
	v_cvt_f32_f16_e64 v168, v168
	s_waitcnt vmcnt(0)
	v_cvt_f32_f16_e64 v169, v169
.LBB84_34:                              ;   in Loop: Header=BB84_3 Depth=1
	s_or_b32 exec_lo, exec_lo, s4
	v_add_co_u32 v170, vcc_lo, v5, 14
	v_add_co_ci_u32_e32 v171, vcc_lo, 0, v6, vcc_lo
	v_mov_b32_e32 v172, 0
	s_delay_alu instid0(VALU_DEP_2) | instskip(SKIP_1) | instid1(SALU_CYCLE_1)
	v_cmp_gt_i64_e32 vcc_lo, s[16:17], v[170:171]
	s_and_b32 s33, s3, vcc_lo
	s_and_saveexec_b32 s4, s33
	s_cbranch_execz .LBB84_36
; %bb.35:                               ;   in Loop: Header=BB84_3 Depth=1
	v_add_co_u32 v170, vcc_lo, v79, v3
	v_add_co_ci_u32_e32 v171, vcc_lo, v80, v4, vcc_lo
	v_add_co_u32 v172, vcc_lo, v81, v3
	v_add_co_ci_u32_e32 v173, vcc_lo, v82, v4, vcc_lo
	global_load_u16 v166, v[170:171], off
	global_load_u16 v170, v[172:173], off
	s_waitcnt vmcnt(1)
	v_cvt_f32_f16_e64 v166, v166
	s_waitcnt vmcnt(0)
	v_cvt_f32_f16_e64 v172, v170
.LBB84_36:                              ;   in Loop: Header=BB84_3 Depth=1
	s_or_b32 exec_lo, exec_lo, s4
	v_add_co_u32 v170, vcc_lo, v5, 15
	v_add_co_ci_u32_e32 v171, vcc_lo, 0, v6, vcc_lo
	v_mov_b32_e32 v175, 0
	v_mov_b32_e32 v173, 0
	s_delay_alu instid0(VALU_DEP_3) | instskip(SKIP_2) | instid1(SALU_CYCLE_1)
	v_cmp_gt_i64_e32 vcc_lo, s[16:17], v[170:171]
	v_mov_b32_e32 v170, 0
	s_and_b32 s33, s3, vcc_lo
	s_and_saveexec_b32 s4, s33
	s_cbranch_execz .LBB84_38
; %bb.37:                               ;   in Loop: Header=BB84_3 Depth=1
	v_add_co_u32 v173, vcc_lo, v75, v3
	v_add_co_ci_u32_e32 v174, vcc_lo, v76, v4, vcc_lo
	v_add_co_u32 v175, vcc_lo, v77, v3
	v_add_co_ci_u32_e32 v176, vcc_lo, v78, v4, vcc_lo
	global_load_u16 v171, v[173:174], off
	global_load_u16 v174, v[175:176], off
	s_waitcnt vmcnt(1)
	v_cvt_f32_f16_e64 v173, v171
	s_waitcnt vmcnt(0)
	v_cvt_f32_f16_e64 v175, v174
.LBB84_38:                              ;   in Loop: Header=BB84_3 Depth=1
	s_or_b32 exec_lo, exec_lo, s4
	v_add_co_u32 v176, vcc_lo, v5, 16
	v_add_co_ci_u32_e32 v177, vcc_lo, 0, v6, vcc_lo
	v_mov_b32_e32 v178, 0
	s_delay_alu instid0(VALU_DEP_2) | instskip(SKIP_1) | instid1(SALU_CYCLE_1)
	v_cmp_gt_i64_e32 vcc_lo, s[16:17], v[176:177]
	s_and_b32 s33, s3, vcc_lo
	s_and_saveexec_b32 s4, s33
	s_cbranch_execz .LBB84_40
; %bb.39:                               ;   in Loop: Header=BB84_3 Depth=1
	v_add_co_u32 v170, vcc_lo, v71, v3
	v_add_co_ci_u32_e32 v171, vcc_lo, v72, v4, vcc_lo
	v_add_co_u32 v176, vcc_lo, v73, v3
	v_add_co_ci_u32_e32 v177, vcc_lo, v74, v4, vcc_lo
	global_load_u16 v170, v[170:171], off
	global_load_u16 v171, v[176:177], off
	s_waitcnt vmcnt(1)
	v_cvt_f32_f16_e64 v170, v170
	s_waitcnt vmcnt(0)
	v_cvt_f32_f16_e64 v178, v171
.LBB84_40:                              ;   in Loop: Header=BB84_3 Depth=1
	s_or_b32 exec_lo, exec_lo, s4
	v_add_co_u32 v176, vcc_lo, v5, 17
	v_add_co_ci_u32_e32 v177, vcc_lo, 0, v6, vcc_lo
	v_mov_b32_e32 v179, 0
	s_delay_alu instid0(VALU_DEP_2) | instskip(SKIP_2) | instid1(SALU_CYCLE_1)
	v_cmp_gt_i64_e32 vcc_lo, s[16:17], v[176:177]
	v_dual_mov_b32 v176, 0 :: v_dual_mov_b32 v177, 0
	s_and_b32 s33, s3, vcc_lo
	s_and_saveexec_b32 s4, s33
	s_cbranch_execz .LBB84_42
; %bb.41:                               ;   in Loop: Header=BB84_3 Depth=1
	v_add_co_u32 v179, vcc_lo, v67, v3
	v_add_co_ci_u32_e32 v180, vcc_lo, v68, v4, vcc_lo
	v_add_co_u32 v181, vcc_lo, v69, v3
	v_add_co_ci_u32_e32 v182, vcc_lo, v70, v4, vcc_lo
	global_load_u16 v171, v[179:180], off
	global_load_u16 v174, v[181:182], off
	s_waitcnt vmcnt(1)
	v_cvt_f32_f16_e64 v177, v171
	s_waitcnt vmcnt(0)
	v_cvt_f32_f16_e64 v179, v174
.LBB84_42:                              ;   in Loop: Header=BB84_3 Depth=1
	s_or_b32 exec_lo, exec_lo, s4
	v_add_co_u32 v180, vcc_lo, v5, 18
	v_add_co_ci_u32_e32 v181, vcc_lo, 0, v6, vcc_lo
	v_mov_b32_e32 v182, 0
	s_delay_alu instid0(VALU_DEP_2) | instskip(SKIP_1) | instid1(SALU_CYCLE_1)
	v_cmp_gt_i64_e32 vcc_lo, s[16:17], v[180:181]
	s_and_b32 s33, s3, vcc_lo
	s_and_saveexec_b32 s4, s33
	s_cbranch_execz .LBB84_44
; %bb.43:                               ;   in Loop: Header=BB84_3 Depth=1
	v_add_co_u32 v180, vcc_lo, v63, v3
	v_add_co_ci_u32_e32 v181, vcc_lo, v64, v4, vcc_lo
	v_add_co_u32 v182, vcc_lo, v65, v3
	v_add_co_ci_u32_e32 v183, vcc_lo, v66, v4, vcc_lo
	global_load_u16 v171, v[180:181], off
	global_load_u16 v174, v[182:183], off
	s_waitcnt vmcnt(1)
	v_cvt_f32_f16_e64 v176, v171
	s_waitcnt vmcnt(0)
	v_cvt_f32_f16_e64 v182, v174
.LBB84_44:                              ;   in Loop: Header=BB84_3 Depth=1
	s_or_b32 exec_lo, exec_lo, s4
	v_add_co_u32 v180, vcc_lo, v5, 19
	v_add_co_ci_u32_e32 v181, vcc_lo, 0, v6, vcc_lo
	v_mov_b32_e32 v183, 0
	s_delay_alu instid0(VALU_DEP_2) | instskip(SKIP_2) | instid1(SALU_CYCLE_1)
	v_cmp_gt_i64_e32 vcc_lo, s[16:17], v[180:181]
	v_dual_mov_b32 v180, 0 :: v_dual_mov_b32 v181, 0
	;; [unrolled: 43-line block ×5, first 2 shown]
	s_and_b32 s33, s3, vcc_lo
	s_and_saveexec_b32 s4, s33
	s_cbranch_execz .LBB84_58
; %bb.57:                               ;   in Loop: Header=BB84_3 Depth=1
	v_add_co_u32 v195, vcc_lo, v36, v3
	v_add_co_ci_u32_e32 v196, vcc_lo, v37, v4, vcc_lo
	v_add_co_u32 v197, vcc_lo, v38, v3
	v_add_co_ci_u32_e32 v198, vcc_lo, v39, v4, vcc_lo
	global_load_u16 v171, v[195:196], off
	global_load_u16 v174, v[197:198], off
	s_waitcnt vmcnt(1)
	v_cvt_f32_f16_e64 v193, v171
	s_waitcnt vmcnt(0)
	v_cvt_f32_f16_e64 v195, v174
.LBB84_58:                              ;   in Loop: Header=BB84_3 Depth=1
	s_or_b32 exec_lo, exec_lo, s4
	v_add_co_u32 v196, vcc_lo, v5, 26
	v_add_co_ci_u32_e32 v197, vcc_lo, 0, v6, vcc_lo
	s_delay_alu instid0(VALU_DEP_1) | instskip(SKIP_2) | instid1(SALU_CYCLE_1)
	v_cmp_gt_i64_e32 vcc_lo, s[16:17], v[196:197]
	v_mov_b32_e32 v197, 0
	s_and_b32 s33, s3, vcc_lo
	s_and_saveexec_b32 s4, s33
	s_cbranch_execz .LBB84_60
; %bb.59:                               ;   in Loop: Header=BB84_3 Depth=1
	v_add_co_u32 v196, vcc_lo, v32, v3
	v_add_co_ci_u32_e32 v197, vcc_lo, v33, v4, vcc_lo
	v_add_co_u32 v198, vcc_lo, v34, v3
	v_add_co_ci_u32_e32 v199, vcc_lo, v35, v4, vcc_lo
	global_load_u16 v171, v[196:197], off
	global_load_u16 v174, v[198:199], off
	s_waitcnt vmcnt(1)
	v_cvt_f32_f16_e64 v192, v171
	s_waitcnt vmcnt(0)
	v_cvt_f32_f16_e64 v197, v174
.LBB84_60:                              ;   in Loop: Header=BB84_3 Depth=1
	s_or_b32 exec_lo, exec_lo, s4
	v_add_co_u32 v198, vcc_lo, v5, 27
	v_add_co_ci_u32_e32 v199, vcc_lo, 0, v6, vcc_lo
	v_mov_b32_e32 v196, 0
	s_delay_alu instid0(VALU_DEP_2) | instskip(SKIP_2) | instid1(SALU_CYCLE_1)
	v_cmp_gt_i64_e32 vcc_lo, s[16:17], v[198:199]
	v_dual_mov_b32 v199, 0 :: v_dual_mov_b32 v198, 0
	s_and_b32 s33, s3, vcc_lo
	s_and_saveexec_b32 s4, s33
	s_cbranch_execz .LBB84_62
; %bb.61:                               ;   in Loop: Header=BB84_3 Depth=1
	v_add_co_u32 v198, vcc_lo, v28, v3
	v_add_co_ci_u32_e32 v199, vcc_lo, v29, v4, vcc_lo
	v_add_co_u32 v200, vcc_lo, v30, v3
	v_add_co_ci_u32_e32 v201, vcc_lo, v31, v4, vcc_lo
	global_load_u16 v171, v[198:199], off
	global_load_u16 v174, v[200:201], off
	s_waitcnt vmcnt(1)
	v_cvt_f32_f16_e64 v198, v171
	s_waitcnt vmcnt(0)
	v_cvt_f32_f16_e64 v199, v174
.LBB84_62:                              ;   in Loop: Header=BB84_3 Depth=1
	s_or_b32 exec_lo, exec_lo, s4
	v_add_co_u32 v200, vcc_lo, v5, 28
	v_add_co_ci_u32_e32 v201, vcc_lo, 0, v6, vcc_lo
	s_delay_alu instid0(VALU_DEP_1) | instskip(SKIP_2) | instid1(SALU_CYCLE_1)
	v_cmp_gt_i64_e32 vcc_lo, s[16:17], v[200:201]
	v_mov_b32_e32 v200, 0
	s_and_b32 s33, s3, vcc_lo
	s_and_saveexec_b32 s4, s33
	s_cbranch_execz .LBB84_64
; %bb.63:                               ;   in Loop: Header=BB84_3 Depth=1
	v_add_co_u32 v200, vcc_lo, v24, v3
	v_add_co_ci_u32_e32 v201, vcc_lo, v25, v4, vcc_lo
	v_add_co_u32 v202, vcc_lo, v26, v3
	v_add_co_ci_u32_e32 v203, vcc_lo, v27, v4, vcc_lo
	global_load_u16 v171, v[200:201], off
	global_load_u16 v174, v[202:203], off
	s_waitcnt vmcnt(1)
	v_cvt_f32_f16_e64 v196, v171
	s_waitcnt vmcnt(0)
	v_cvt_f32_f16_e64 v200, v174
.LBB84_64:                              ;   in Loop: Header=BB84_3 Depth=1
	s_or_b32 exec_lo, exec_lo, s4
	v_add_co_u32 v201, vcc_lo, v5, 29
	v_add_co_ci_u32_e32 v202, vcc_lo, 0, v6, vcc_lo
	v_mov_b32_e32 v203, 0
	s_delay_alu instid0(VALU_DEP_2) | instskip(SKIP_2) | instid1(SALU_CYCLE_1)
	v_cmp_gt_i64_e32 vcc_lo, s[16:17], v[201:202]
	v_dual_mov_b32 v201, 0 :: v_dual_mov_b32 v202, 0
	s_and_b32 s33, s3, vcc_lo
	s_and_saveexec_b32 s4, s33
	s_cbranch_execz .LBB84_66
; %bb.65:                               ;   in Loop: Header=BB84_3 Depth=1
	v_add_co_u32 v202, vcc_lo, v20, v3
	v_add_co_ci_u32_e32 v203, vcc_lo, v21, v4, vcc_lo
	v_add_co_u32 v204, vcc_lo, v22, v3
	v_add_co_ci_u32_e32 v205, vcc_lo, v23, v4, vcc_lo
	global_load_u16 v171, v[202:203], off
	global_load_u16 v174, v[204:205], off
	s_waitcnt vmcnt(1)
	v_cvt_f32_f16_e64 v202, v171
	s_waitcnt vmcnt(0)
	v_cvt_f32_f16_e64 v203, v174
.LBB84_66:                              ;   in Loop: Header=BB84_3 Depth=1
	s_or_b32 exec_lo, exec_lo, s4
	v_add_co_u32 v204, vcc_lo, v5, 30
	v_add_co_ci_u32_e32 v205, vcc_lo, 0, v6, vcc_lo
	s_delay_alu instid0(VALU_DEP_1) | instskip(SKIP_2) | instid1(SALU_CYCLE_1)
	v_cmp_gt_i64_e32 vcc_lo, s[16:17], v[204:205]
	v_mov_b32_e32 v204, 0
	s_and_b32 s33, s3, vcc_lo
	s_and_saveexec_b32 s4, s33
	s_cbranch_execz .LBB84_68
; %bb.67:                               ;   in Loop: Header=BB84_3 Depth=1
	v_add_co_u32 v204, vcc_lo, v16, v3
	v_add_co_ci_u32_e32 v205, vcc_lo, v17, v4, vcc_lo
	v_add_co_u32 v206, vcc_lo, v18, v3
	v_add_co_ci_u32_e32 v207, vcc_lo, v19, v4, vcc_lo
	global_load_u16 v171, v[204:205], off
	global_load_u16 v174, v[206:207], off
	s_waitcnt vmcnt(1)
	v_cvt_f32_f16_e64 v201, v171
	s_waitcnt vmcnt(0)
	v_cvt_f32_f16_e64 v204, v174
.LBB84_68:                              ;   in Loop: Header=BB84_3 Depth=1
	s_or_b32 exec_lo, exec_lo, s4
	v_add_co_u32 v205, vcc_lo, v5, 31
	v_add_co_ci_u32_e32 v206, vcc_lo, 0, v6, vcc_lo
	v_dual_mov_b32 v171, 0 :: v_dual_mov_b32 v174, 0
	s_mov_b32 s4, 0
	s_delay_alu instid0(VALU_DEP_2) | instskip(SKIP_1) | instid1(SALU_CYCLE_1)
	v_cmp_gt_i64_e32 vcc_lo, s[16:17], v[205:206]
	s_and_b32 s34, s3, vcc_lo
	s_and_saveexec_b32 s33, s34
	s_cbranch_execz .LBB84_70
; %bb.69:                               ;   in Loop: Header=BB84_3 Depth=1
	v_add_co_u32 v205, vcc_lo, v1, v3
	v_add_co_ci_u32_e32 v206, vcc_lo, v13, v4, vcc_lo
	v_add_co_u32 v207, vcc_lo, v14, v3
	v_add_co_ci_u32_e32 v208, vcc_lo, v15, v4, vcc_lo
	global_load_u16 v171, v[205:206], off
	global_load_u16 v174, v[207:208], off
	s_waitcnt vmcnt(1)
	v_cvt_f32_f16_e64 v171, v171
	s_waitcnt vmcnt(0)
	v_cvt_f32_f16_e64 v174, v174
.LBB84_70:                              ;   in Loop: Header=BB84_3 Depth=1
	s_or_b32 exec_lo, exec_lo, s33
	s_waitcnt vmcnt(1)
	ds_bpermute_b32 v205, v2, v141
	ds_bpermute_b32 v209, v2, v141 offset:4
	ds_bpermute_b32 v211, v2, v141 offset:8
	s_waitcnt vmcnt(0)
	ds_bpermute_b32 v206, v2, v142
	ds_bpermute_b32 v208, v2, v142 offset:4
	ds_bpermute_b32 v213, v2, v141 offset:12
	;; [unrolled: 1-line block ×4, first 2 shown]
	v_add_f32_e32 v207, v125, v143
	ds_bpermute_b32 v212, v2, v142 offset:12
	ds_bpermute_b32 v217, v2, v141 offset:20
	;; [unrolled: 1-line block ×11, first 2 shown]
	s_waitcnt lgkmcnt(18)
	v_sub_f32_e32 v7, v7, v205
	s_waitcnt lgkmcnt(17)
	v_sub_f32_e32 v144, v144, v209
	;; [unrolled: 2-line block ×3, first 2 shown]
	ds_bpermute_b32 v205, v2, v141 offset:36
	ds_bpermute_b32 v224, v2, v142 offset:36
	v_mul_f32_e32 v7, v143, v7
	ds_bpermute_b32 v209, v2, v141 offset:44
	v_dual_mul_f32 v146, v8, v146 :: v_dual_mul_f32 v211, v145, v144
	v_add_f32_e32 v145, v207, v145
	s_waitcnt lgkmcnt(18)
	v_fma_f32 v144, v7, v206, v140
	s_waitcnt lgkmcnt(16)
	v_sub_f32_e32 v149, v149, v213
	ds_bpermute_b32 v206, v2, v141 offset:48
	ds_bpermute_b32 v225, v2, v142 offset:40
	s_waitcnt lgkmcnt(17)
	v_dual_add_f32 v8, v145, v8 :: v_dual_sub_f32 v145, v150, v215
	v_fmac_f32_e32 v144, v211, v208
	s_waitcnt lgkmcnt(13)
	v_sub_f32_e32 v150, v157, v221
	ds_bpermute_b32 v143, v2, v142 offset:44
	v_add_f32_e32 v8, v8, v148
	ds_bpermute_b32 v7, v2, v142 offset:48
	v_dual_fmac_f32 v144, v146, v210 :: v_dual_mul_f32 v145, v147, v145
	v_mul_f32_e32 v149, v148, v149
	v_add_f32_e32 v8, v8, v147
	s_waitcnt lgkmcnt(12)
	v_dual_sub_f32 v148, v153, v217 :: v_dual_sub_f32 v147, v154, v219
	s_delay_alu instid0(VALU_DEP_3) | instskip(SKIP_4) | instid1(VALU_DEP_3)
	v_dual_sub_f32 v153, v163, v226 :: v_dual_fmac_f32 v144, v149, v212
	ds_bpermute_b32 v149, v2, v141 offset:52
	v_add_f32_e32 v8, v8, v152
	v_dual_mul_f32 v148, v152, v148 :: v_dual_mul_f32 v147, v151, v147
	v_dual_fmac_f32 v144, v145, v214 :: v_dual_mul_f32 v153, v159, v153
	v_add_f32_e32 v8, v8, v151
	s_waitcnt lgkmcnt(7)
	v_dual_sub_f32 v152, v158, v223 :: v_dual_sub_f32 v151, v161, v205
	s_delay_alu instid0(VALU_DEP_3)
	v_fmac_f32_e32 v144, v148, v216
	ds_bpermute_b32 v148, v2, v141 offset:56
	v_add_f32_e32 v8, v8, v156
	ds_bpermute_b32 v146, v2, v142 offset:52
	s_waitcnt lgkmcnt(7)
	v_sub_f32_e32 v154, v165, v209
	ds_bpermute_b32 v145, v2, v142 offset:56
	v_mul_f32_e32 v151, v160, v151
	v_add_f32_e32 v8, v8, v155
	s_waitcnt lgkmcnt(3)
	v_dual_mul_f32 v154, v164, v154 :: v_dual_sub_f32 v149, v169, v149
	v_mul_f32_e32 v152, v155, v152
	v_sub_f32_e32 v155, v167, v206
	v_mul_f32_e32 v150, v156, v150
	s_delay_alu instid0(VALU_DEP_4)
	v_dual_fmac_f32 v144, v147, v218 :: v_dual_mul_f32 v149, v168, v149
	ds_bpermute_b32 v147, v2, v142 offset:60
	v_mul_f32_e32 v155, v162, v155
	v_fmac_f32_e32 v144, v150, v220
	ds_bpermute_b32 v150, v2, v141 offset:60
	s_waitcnt lgkmcnt(4)
	v_sub_f32_e32 v148, v172, v148
	v_fmac_f32_e32 v144, v152, v222
	ds_bpermute_b32 v152, v2, v142 offset:64
	v_mul_f32_e32 v148, v166, v148
	v_fmac_f32_e32 v144, v151, v224
	ds_bpermute_b32 v151, v2, v141 offset:64
	v_fmac_f32_e32 v144, v153, v225
	ds_bpermute_b32 v153, v2, v141 offset:68
	;; [unrolled: 2-line block ×3, first 2 shown]
	s_waitcnt lgkmcnt(4)
	v_sub_f32_e32 v150, v175, v150
	v_fmac_f32_e32 v144, v155, v7
	ds_bpermute_b32 v7, v2, v142 offset:68
	v_mul_f32_e32 v150, v173, v150
	v_fmac_f32_e32 v144, v149, v146
	ds_bpermute_b32 v149, v2, v141 offset:76
	ds_bpermute_b32 v146, v2, v142 offset:72
	s_waitcnt lgkmcnt(5)
	v_dual_fmac_f32 v144, v148, v145 :: v_dual_sub_f32 v145, v178, v151
	ds_bpermute_b32 v148, v2, v141 offset:80
	s_waitcnt lgkmcnt(5)
	v_dual_sub_f32 v151, v179, v153 :: v_dual_fmac_f32 v144, v150, v147
	v_mul_f32_e32 v145, v170, v145
	ds_bpermute_b32 v147, v2, v142 offset:76
	v_mul_f32_e32 v150, v177, v151
	s_waitcnt lgkmcnt(5)
	v_sub_f32_e32 v143, v182, v143
	ds_bpermute_b32 v151, v2, v141 offset:84
	v_fmac_f32_e32 v144, v145, v152
	v_add_f32_e32 v8, v8, v160
	ds_bpermute_b32 v145, v2, v142 offset:80
	v_mul_f32_e32 v143, v176, v143
	s_waitcnt lgkmcnt(5)
	v_dual_fmac_f32 v144, v150, v7 :: v_dual_sub_f32 v7, v183, v149
	ds_bpermute_b32 v149, v2, v141 offset:88
	ds_bpermute_b32 v150, v2, v142 offset:84
	s_waitcnt lgkmcnt(6)
	v_dual_fmac_f32 v144, v143, v146 :: v_dual_mul_f32 v7, v181, v7
	ds_bpermute_b32 v143, v2, v141 offset:92
	s_waitcnt lgkmcnt(6)
	v_sub_f32_e32 v146, v186, v148
	ds_bpermute_b32 v148, v2, v141 offset:96
	v_add_f32_e32 v8, v8, v159
	s_waitcnt lgkmcnt(6)
	v_fmac_f32_e32 v144, v7, v147
	ds_bpermute_b32 v7, v2, v142 offset:88
	s_waitcnt lgkmcnt(6)
	v_dual_mul_f32 v146, v180, v146 :: v_dual_sub_f32 v147, v187, v151
	ds_bpermute_b32 v151, v2, v142 offset:116
	s_waitcnt lgkmcnt(6)
	v_fmac_f32_e32 v144, v146, v145
	ds_bpermute_b32 v145, v2, v142 offset:92
	s_waitcnt lgkmcnt(6)
	v_dual_mul_f32 v146, v185, v147 :: v_dual_sub_f32 v147, v190, v149
	ds_bpermute_b32 v149, v2, v141 offset:100
	s_waitcnt lgkmcnt(6)
	v_fmac_f32_e32 v144, v146, v150
	ds_bpermute_b32 v146, v2, v142 offset:96
	v_mul_f32_e32 v147, v184, v147
	ds_bpermute_b32 v150, v2, v141 offset:104
	s_waitcnt lgkmcnt(7)
	v_sub_f32_e32 v143, v191, v143
	s_waitcnt lgkmcnt(5)
	v_dual_fmac_f32 v144, v147, v7 :: v_dual_sub_f32 v147, v194, v148
	v_add_f32_e32 v8, v8, v164
	ds_bpermute_b32 v7, v2, v142 offset:100
	v_mul_f32_e32 v143, v189, v143
	ds_bpermute_b32 v148, v2, v141 offset:108
	s_waitcnt lgkmcnt(5)
	v_dual_fmac_f32 v144, v143, v145 :: v_dual_mul_f32 v143, v188, v147
	ds_bpermute_b32 v145, v2, v142 offset:104
	s_waitcnt lgkmcnt(5)
	v_sub_f32_e32 v147, v195, v149
	ds_bpermute_b32 v149, v2, v141 offset:112
	s_waitcnt lgkmcnt(5)
	v_fmac_f32_e32 v144, v143, v146
	ds_bpermute_b32 v143, v2, v142 offset:108
	v_mul_f32_e32 v146, v193, v147
	s_waitcnt lgkmcnt(5)
	v_sub_f32_e32 v147, v197, v150
	ds_bpermute_b32 v150, v2, v141 offset:116
	s_waitcnt lgkmcnt(5)
	v_fmac_f32_e32 v144, v146, v7
	s_waitcnt lgkmcnt(4)
	v_dual_mul_f32 v7, v192, v147 :: v_dual_sub_f32 v148, v199, v148
	v_add_f32_e32 v8, v8, v162
	ds_bpermute_b32 v147, v2, v141 offset:120
	ds_bpermute_b32 v146, v2, v142 offset:112
	s_waitcnt lgkmcnt(5)
	v_dual_fmac_f32 v144, v7, v145 :: v_dual_mul_f32 v7, v198, v148
	v_add_f32_e32 v8, v8, v168
	s_waitcnt lgkmcnt(4)
	v_sub_f32_e32 v145, v200, v149
	ds_bpermute_b32 v148, v2, v142 offset:120
	s_waitcnt lgkmcnt(4)
	v_fmac_f32_e32 v144, v7, v143
	ds_bpermute_b32 v7, v2, v141 offset:124
	s_waitcnt lgkmcnt(4)
	v_sub_f32_e32 v149, v203, v150
	v_add_f32_e32 v8, v8, v166
	v_mul_f32_e32 v145, v196, v145
	s_delay_alu instid0(VALU_DEP_3) | instskip(NEXT) | instid1(VALU_DEP_3)
	v_mul_f32_e32 v141, v202, v149
	v_add_f32_e32 v8, v8, v173
	s_waitcnt lgkmcnt(2)
	s_delay_alu instid0(VALU_DEP_3) | instskip(NEXT) | instid1(VALU_DEP_2)
	v_fmac_f32_e32 v144, v145, v146
	v_add_f32_e32 v8, v8, v170
	s_delay_alu instid0(VALU_DEP_2) | instskip(NEXT) | instid1(VALU_DEP_2)
	v_fmac_f32_e32 v144, v141, v151
	v_add_f32_e32 v8, v8, v177
	s_delay_alu instid0(VALU_DEP_1) | instskip(NEXT) | instid1(VALU_DEP_1)
	v_add_f32_e32 v8, v8, v176
	v_add_f32_e32 v8, v8, v181
	s_delay_alu instid0(VALU_DEP_1) | instskip(NEXT) | instid1(VALU_DEP_1)
	v_add_f32_e32 v8, v8, v180
	;; [unrolled: 3-line block ×5, first 2 shown]
	v_add_f32_e32 v143, v8, v198
	ds_bpermute_b32 v8, v2, v142 offset:124
	v_dual_sub_f32 v142, v204, v147 :: v_dual_add_f32 v143, v143, v196
	s_delay_alu instid0(VALU_DEP_1) | instskip(NEXT) | instid1(VALU_DEP_2)
	v_mul_f32_e32 v141, v201, v142
	v_add_f32_e32 v142, v143, v202
	s_waitcnt lgkmcnt(2)
	s_delay_alu instid0(VALU_DEP_1)
	v_dual_fmac_f32 v144, v141, v148 :: v_dual_add_f32 v141, v142, v201
	s_and_b32 vcc_lo, exec_lo, s4
	s_cbranch_vccnz .LBB84_72
	s_branch .LBB84_139
.LBB84_71:                              ;   in Loop: Header=BB84_3 Depth=1
                                        ; implicit-def: $vgpr8
                                        ; implicit-def: $vgpr171
                                        ; implicit-def: $vgpr174
                                        ; implicit-def: $vgpr7
                                        ; implicit-def: $vgpr144
                                        ; implicit-def: $vgpr141
	s_cbranch_execz .LBB84_139
.LBB84_72:                              ;   in Loop: Header=BB84_3 Depth=1
	s_load_b32 s4, s[12:13], 0x0
	s_waitcnt lgkmcnt(0)
	v_dual_mov_b32 v141, 0 :: v_dual_mov_b32 v8, 0
	s_cmp_lt_u32 s14, s4
	s_cselect_b32 s4, 12, 18
	s_delay_alu instid0(SALU_CYCLE_1)
	s_add_u32 s34, s12, s4
	s_addc_u32 s35, s13, 0
	s_mov_b32 s4, exec_lo
	global_load_u16 v7, v2, s[34:35]
	s_waitcnt vmcnt(0)
	v_mad_u32_u24 v7, v9, v7, v11
	s_delay_alu instid0(VALU_DEP_1) | instskip(NEXT) | instid1(VALU_DEP_1)
	v_and_b32_e32 v7, 31, v7
	v_add_co_u32 v5, vcc_lo, v5, v7
	v_add_co_ci_u32_e32 v6, vcc_lo, 0, v6, vcc_lo
	v_mov_b32_e32 v7, 0
	s_delay_alu instid0(VALU_DEP_2)
	v_cmpx_gt_i64_e64 s[16:17], v[5:6]
	s_cbranch_execz .LBB84_74
; %bb.73:                               ;   in Loop: Header=BB84_3 Depth=1
	v_lshlrev_b64 v[5:6], 2, v[5:6]
	s_delay_alu instid0(VALU_DEP_1) | instskip(NEXT) | instid1(VALU_DEP_2)
	v_add_co_u32 v7, vcc_lo, s8, v5
	v_add_co_ci_u32_e32 v8, vcc_lo, s9, v6, vcc_lo
	v_add_co_u32 v5, vcc_lo, s10, v5
	v_add_co_ci_u32_e32 v6, vcc_lo, s11, v6, vcc_lo
	global_load_b32 v7, v[7:8], off
	global_load_b32 v8, v[5:6], off
.LBB84_74:                              ;   in Loop: Header=BB84_3 Depth=1
	s_or_b32 exec_lo, exec_lo, s4
	v_mov_b32_e32 v6, 0
	s_and_saveexec_b32 s4, s3
	s_cbranch_execz .LBB84_76
; %bb.75:                               ;   in Loop: Header=BB84_3 Depth=1
	v_add_co_u32 v5, vcc_lo, v136, v3
	v_add_co_ci_u32_e32 v6, vcc_lo, v137, v4, vcc_lo
	v_add_co_u32 v141, vcc_lo, v138, v3
	v_add_co_ci_u32_e32 v142, vcc_lo, v139, v4, vcc_lo
	global_load_u16 v5, v[5:6], off
	global_load_u16 v6, v[141:142], off
	s_waitcnt vmcnt(1)
	v_cvt_f32_f16_e64 v141, v5
	s_waitcnt vmcnt(0)
	v_cvt_f32_f16_e32 v6, v6
.LBB84_76:                              ;   in Loop: Header=BB84_3 Depth=1
	s_or_b32 exec_lo, exec_lo, s4
	v_dual_mov_b32 v5, 0 :: v_dual_mov_b32 v142, 0
	v_mov_b32_e32 v143, 0
	s_and_saveexec_b32 s4, s3
	s_cbranch_execz .LBB84_78
; %bb.77:                               ;   in Loop: Header=BB84_3 Depth=1
	v_add_co_u32 v142, vcc_lo, v132, v3
	v_add_co_ci_u32_e32 v143, vcc_lo, v133, v4, vcc_lo
	v_add_co_u32 v144, vcc_lo, v134, v3
	v_add_co_ci_u32_e32 v145, vcc_lo, v135, v4, vcc_lo
	global_load_u16 v142, v[142:143], off
	global_load_u16 v143, v[144:145], off
	s_waitcnt vmcnt(1)
	v_cvt_f32_f16_e64 v142, v142
	s_waitcnt vmcnt(0)
	v_cvt_f32_f16_e64 v143, v143
.LBB84_78:                              ;   in Loop: Header=BB84_3 Depth=1
	s_or_b32 exec_lo, exec_lo, s4
	v_mov_b32_e32 v145, 0
	s_and_saveexec_b32 s4, s3
	s_cbranch_execz .LBB84_80
; %bb.79:                               ;   in Loop: Header=BB84_3 Depth=1
	v_add_co_u32 v144, vcc_lo, v128, v3
	v_add_co_ci_u32_e32 v145, vcc_lo, v129, v4, vcc_lo
	v_add_co_u32 v146, vcc_lo, v130, v3
	v_add_co_ci_u32_e32 v147, vcc_lo, v131, v4, vcc_lo
	global_load_u16 v5, v[144:145], off
	global_load_u16 v144, v[146:147], off
	s_waitcnt vmcnt(1)
	v_cvt_f32_f16_e32 v5, v5
	s_waitcnt vmcnt(0)
	v_cvt_f32_f16_e64 v145, v144
.LBB84_80:                              ;   in Loop: Header=BB84_3 Depth=1
	s_or_b32 exec_lo, exec_lo, s4
	v_dual_mov_b32 v144, 0 :: v_dual_mov_b32 v147, 0
	v_mov_b32_e32 v146, 0
	s_and_saveexec_b32 s4, s3
	s_cbranch_execz .LBB84_82
; %bb.81:                               ;   in Loop: Header=BB84_3 Depth=1
	v_add_co_u32 v146, vcc_lo, v123, v3
	v_add_co_ci_u32_e32 v147, vcc_lo, v124, v4, vcc_lo
	v_add_co_u32 v148, vcc_lo, v126, v3
	v_add_co_ci_u32_e32 v149, vcc_lo, v127, v4, vcc_lo
	global_load_u16 v146, v[146:147], off
	global_load_u16 v147, v[148:149], off
	s_waitcnt vmcnt(1)
	v_cvt_f32_f16_e64 v146, v146
	s_waitcnt vmcnt(0)
	v_cvt_f32_f16_e64 v147, v147
.LBB84_82:                              ;   in Loop: Header=BB84_3 Depth=1
	s_or_b32 exec_lo, exec_lo, s4
	v_mov_b32_e32 v149, 0
	s_and_saveexec_b32 s4, s3
	s_cbranch_execz .LBB84_84
; %bb.83:                               ;   in Loop: Header=BB84_3 Depth=1
	v_add_co_u32 v148, vcc_lo, v119, v3
	v_add_co_ci_u32_e32 v149, vcc_lo, v120, v4, vcc_lo
	v_add_co_u32 v150, vcc_lo, v121, v3
	v_add_co_ci_u32_e32 v151, vcc_lo, v122, v4, vcc_lo
	global_load_u16 v144, v[148:149], off
	global_load_u16 v148, v[150:151], off
	s_waitcnt vmcnt(1)
	v_cvt_f32_f16_e64 v144, v144
	s_waitcnt vmcnt(0)
	v_cvt_f32_f16_e64 v149, v148
.LBB84_84:                              ;   in Loop: Header=BB84_3 Depth=1
	s_or_b32 exec_lo, exec_lo, s4
	v_dual_mov_b32 v148, 0 :: v_dual_mov_b32 v151, 0
	v_mov_b32_e32 v150, 0
	s_and_saveexec_b32 s4, s3
	s_cbranch_execz .LBB84_86
; %bb.85:                               ;   in Loop: Header=BB84_3 Depth=1
	v_add_co_u32 v150, vcc_lo, v115, v3
	v_add_co_ci_u32_e32 v151, vcc_lo, v116, v4, vcc_lo
	v_add_co_u32 v152, vcc_lo, v117, v3
	v_add_co_ci_u32_e32 v153, vcc_lo, v118, v4, vcc_lo
	global_load_u16 v150, v[150:151], off
	global_load_u16 v151, v[152:153], off
	s_waitcnt vmcnt(1)
	v_cvt_f32_f16_e64 v150, v150
	s_waitcnt vmcnt(0)
	v_cvt_f32_f16_e64 v151, v151
.LBB84_86:                              ;   in Loop: Header=BB84_3 Depth=1
	s_or_b32 exec_lo, exec_lo, s4
	v_mov_b32_e32 v153, 0
	s_and_saveexec_b32 s4, s3
	s_cbranch_execz .LBB84_88
; %bb.87:                               ;   in Loop: Header=BB84_3 Depth=1
	v_add_co_u32 v152, vcc_lo, v111, v3
	v_add_co_ci_u32_e32 v153, vcc_lo, v112, v4, vcc_lo
	v_add_co_u32 v154, vcc_lo, v113, v3
	v_add_co_ci_u32_e32 v155, vcc_lo, v114, v4, vcc_lo
	global_load_u16 v148, v[152:153], off
	global_load_u16 v152, v[154:155], off
	s_waitcnt vmcnt(1)
	v_cvt_f32_f16_e64 v148, v148
	s_waitcnt vmcnt(0)
	v_cvt_f32_f16_e64 v153, v152
.LBB84_88:                              ;   in Loop: Header=BB84_3 Depth=1
	;; [unrolled: 33-line block ×4, first 2 shown]
	s_or_b32 exec_lo, exec_lo, s4
	v_dual_mov_b32 v160, 0 :: v_dual_mov_b32 v161, 0
	v_mov_b32_e32 v163, 0
	s_and_saveexec_b32 s4, s3
	s_cbranch_execz .LBB84_98
; %bb.97:                               ;   in Loop: Header=BB84_3 Depth=1
	v_add_co_u32 v163, vcc_lo, v91, v3
	v_add_co_ci_u32_e32 v164, vcc_lo, v92, v4, vcc_lo
	v_add_co_u32 v165, vcc_lo, v93, v3
	v_add_co_ci_u32_e32 v166, vcc_lo, v94, v4, vcc_lo
	global_load_u16 v161, v[163:164], off
	global_load_u16 v163, v[165:166], off
	s_waitcnt vmcnt(1)
	v_cvt_f32_f16_e64 v161, v161
	s_waitcnt vmcnt(0)
	v_cvt_f32_f16_e64 v163, v163
.LBB84_98:                              ;   in Loop: Header=BB84_3 Depth=1
	s_or_b32 exec_lo, exec_lo, s4
	v_mov_b32_e32 v166, 0
	s_and_saveexec_b32 s4, s3
	s_cbranch_execz .LBB84_100
; %bb.99:                               ;   in Loop: Header=BB84_3 Depth=1
	v_add_co_u32 v164, vcc_lo, v87, v3
	v_add_co_ci_u32_e32 v165, vcc_lo, v88, v4, vcc_lo
	v_add_co_u32 v166, vcc_lo, v89, v3
	v_add_co_ci_u32_e32 v167, vcc_lo, v90, v4, vcc_lo
	global_load_u16 v160, v[164:165], off
	global_load_u16 v164, v[166:167], off
	s_waitcnt vmcnt(1)
	v_cvt_f32_f16_e64 v160, v160
	s_waitcnt vmcnt(0)
	v_cvt_f32_f16_e64 v166, v164
.LBB84_100:                             ;   in Loop: Header=BB84_3 Depth=1
	s_or_b32 exec_lo, exec_lo, s4
	v_dual_mov_b32 v164, 0 :: v_dual_mov_b32 v165, 0
	v_mov_b32_e32 v168, 0
	s_and_saveexec_b32 s4, s3
	s_cbranch_execz .LBB84_102
; %bb.101:                              ;   in Loop: Header=BB84_3 Depth=1
	v_add_co_u32 v167, vcc_lo, v83, v3
	v_add_co_ci_u32_e32 v168, vcc_lo, v84, v4, vcc_lo
	v_add_co_u32 v169, vcc_lo, v85, v3
	v_add_co_ci_u32_e32 v170, vcc_lo, v86, v4, vcc_lo
	global_load_u16 v165, v[167:168], off
	global_load_u16 v167, v[169:170], off
	s_waitcnt vmcnt(1)
	v_cvt_f32_f16_e64 v165, v165
	s_waitcnt vmcnt(0)
	v_cvt_f32_f16_e64 v168, v167
.LBB84_102:                             ;   in Loop: Header=BB84_3 Depth=1
	s_or_b32 exec_lo, exec_lo, s4
	v_mov_b32_e32 v170, 0
	s_and_saveexec_b32 s4, s3
	s_cbranch_execz .LBB84_104
; %bb.103:                              ;   in Loop: Header=BB84_3 Depth=1
	v_add_co_u32 v169, vcc_lo, v79, v3
	v_add_co_ci_u32_e32 v170, vcc_lo, v80, v4, vcc_lo
	v_add_co_u32 v171, vcc_lo, v81, v3
	v_add_co_ci_u32_e32 v172, vcc_lo, v82, v4, vcc_lo
	global_load_u16 v164, v[169:170], off
	global_load_u16 v167, v[171:172], off
	s_waitcnt vmcnt(1)
	v_cvt_f32_f16_e64 v164, v164
	s_waitcnt vmcnt(0)
	v_cvt_f32_f16_e64 v170, v167
.LBB84_104:                             ;   in Loop: Header=BB84_3 Depth=1
	s_or_b32 exec_lo, exec_lo, s4
	v_mov_b32_e32 v167, 0
	v_mov_b32_e32 v169, 0
	;; [unrolled: 1-line block ×3, first 2 shown]
	s_and_saveexec_b32 s4, s3
	s_cbranch_execz .LBB84_106
; %bb.105:                              ;   in Loop: Header=BB84_3 Depth=1
	v_add_co_u32 v171, vcc_lo, v75, v3
	v_add_co_ci_u32_e32 v172, vcc_lo, v76, v4, vcc_lo
	v_add_co_u32 v173, vcc_lo, v77, v3
	v_add_co_ci_u32_e32 v174, vcc_lo, v78, v4, vcc_lo
	global_load_u16 v169, v[171:172], off
	global_load_u16 v171, v[173:174], off
	s_waitcnt vmcnt(1)
	v_cvt_f32_f16_e64 v169, v169
	s_waitcnt vmcnt(0)
	v_cvt_f32_f16_e64 v173, v171
.LBB84_106:                             ;   in Loop: Header=BB84_3 Depth=1
	s_or_b32 exec_lo, exec_lo, s4
	v_mov_b32_e32 v176, 0
	s_and_saveexec_b32 s4, s3
	s_cbranch_execz .LBB84_108
; %bb.107:                              ;   in Loop: Header=BB84_3 Depth=1
	v_add_co_u32 v171, vcc_lo, v71, v3
	v_add_co_ci_u32_e32 v172, vcc_lo, v72, v4, vcc_lo
	v_add_co_u32 v174, vcc_lo, v73, v3
	v_add_co_ci_u32_e32 v175, vcc_lo, v74, v4, vcc_lo
	global_load_u16 v167, v[171:172], off
	global_load_u16 v171, v[174:175], off
	s_waitcnt vmcnt(1)
	v_cvt_f32_f16_e64 v167, v167
	s_waitcnt vmcnt(0)
	v_cvt_f32_f16_e64 v176, v171
.LBB84_108:                             ;   in Loop: Header=BB84_3 Depth=1
	s_or_b32 exec_lo, exec_lo, s4
	v_dual_mov_b32 v172, 0 :: v_dual_mov_b32 v175, 0
	v_mov_b32_e32 v179, 0
	s_and_saveexec_b32 s4, s3
	s_cbranch_execz .LBB84_110
; %bb.109:                              ;   in Loop: Header=BB84_3 Depth=1
	v_add_co_u32 v174, vcc_lo, v67, v3
	v_add_co_ci_u32_e32 v175, vcc_lo, v68, v4, vcc_lo
	v_add_co_u32 v177, vcc_lo, v69, v3
	v_add_co_ci_u32_e32 v178, vcc_lo, v70, v4, vcc_lo
	global_load_u16 v171, v[174:175], off
	global_load_u16 v174, v[177:178], off
	s_waitcnt vmcnt(1)
	v_cvt_f32_f16_e64 v175, v171
	s_waitcnt vmcnt(0)
	v_cvt_f32_f16_e64 v179, v174
.LBB84_110:                             ;   in Loop: Header=BB84_3 Depth=1
	s_or_b32 exec_lo, exec_lo, s4
	v_mov_b32_e32 v180, 0
	s_and_saveexec_b32 s4, s3
	s_cbranch_execz .LBB84_112
; %bb.111:                              ;   in Loop: Header=BB84_3 Depth=1
	v_add_co_u32 v171, vcc_lo, v63, v3
	v_add_co_ci_u32_e32 v172, vcc_lo, v64, v4, vcc_lo
	v_add_co_u32 v177, vcc_lo, v65, v3
	v_add_co_ci_u32_e32 v178, vcc_lo, v66, v4, vcc_lo
	global_load_u16 v171, v[171:172], off
	global_load_u16 v174, v[177:178], off
	s_waitcnt vmcnt(1)
	v_cvt_f32_f16_e64 v172, v171
	s_waitcnt vmcnt(0)
	v_cvt_f32_f16_e64 v180, v174
.LBB84_112:                             ;   in Loop: Header=BB84_3 Depth=1
	s_or_b32 exec_lo, exec_lo, s4
	v_dual_mov_b32 v177, 0 :: v_dual_mov_b32 v178, 0
	v_mov_b32_e32 v182, 0
	;; [unrolled: 33-line block ×3, first 2 shown]
	s_and_saveexec_b32 s4, s3
	s_cbranch_execz .LBB84_118
; %bb.117:                              ;   in Loop: Header=BB84_3 Depth=1
	v_add_co_u32 v185, vcc_lo, v51, v3
	v_add_co_ci_u32_e32 v186, vcc_lo, v52, v4, vcc_lo
	v_add_co_u32 v187, vcc_lo, v53, v3
	v_add_co_ci_u32_e32 v188, vcc_lo, v54, v4, vcc_lo
	global_load_u16 v171, v[185:186], off
	global_load_u16 v174, v[187:188], off
	s_waitcnt vmcnt(1)
	v_cvt_f32_f16_e64 v183, v171
	s_waitcnt vmcnt(0)
	v_cvt_f32_f16_e64 v186, v174
.LBB84_118:                             ;   in Loop: Header=BB84_3 Depth=1
	s_or_b32 exec_lo, exec_lo, s4
	v_mov_b32_e32 v188, 0
	s_and_saveexec_b32 s4, s3
	s_cbranch_execz .LBB84_120
; %bb.119:                              ;   in Loop: Header=BB84_3 Depth=1
	v_add_co_u32 v187, vcc_lo, v47, v3
	v_add_co_ci_u32_e32 v188, vcc_lo, v48, v4, vcc_lo
	v_add_co_u32 v189, vcc_lo, v49, v3
	v_add_co_ci_u32_e32 v190, vcc_lo, v50, v4, vcc_lo
	global_load_u16 v171, v[187:188], off
	global_load_u16 v174, v[189:190], off
	s_waitcnt vmcnt(1)
	v_cvt_f32_f16_e64 v181, v171
	s_waitcnt vmcnt(0)
	v_cvt_f32_f16_e64 v188, v174
.LBB84_120:                             ;   in Loop: Header=BB84_3 Depth=1
	s_or_b32 exec_lo, exec_lo, s4
	v_mov_b32_e32 v185, 0
	v_mov_b32_e32 v187, 0
	;; [unrolled: 1-line block ×3, first 2 shown]
	s_and_saveexec_b32 s4, s3
	s_cbranch_execz .LBB84_122
; %bb.121:                              ;   in Loop: Header=BB84_3 Depth=1
	v_add_co_u32 v189, vcc_lo, v44, v3
	v_add_co_ci_u32_e32 v190, vcc_lo, v45, v4, vcc_lo
	v_add_co_u32 v191, vcc_lo, v46, v3
	v_add_co_ci_u32_e32 v192, vcc_lo, v0, v4, vcc_lo
	global_load_u16 v171, v[189:190], off
	global_load_u16 v174, v[191:192], off
	s_waitcnt vmcnt(1)
	v_cvt_f32_f16_e64 v187, v171
	s_waitcnt vmcnt(0)
	v_cvt_f32_f16_e64 v191, v174
.LBB84_122:                             ;   in Loop: Header=BB84_3 Depth=1
	s_or_b32 exec_lo, exec_lo, s4
	v_mov_b32_e32 v192, 0
	s_and_saveexec_b32 s4, s3
	s_cbranch_execz .LBB84_124
; %bb.123:                              ;   in Loop: Header=BB84_3 Depth=1
	v_add_co_u32 v189, vcc_lo, v40, v3
	v_add_co_ci_u32_e32 v190, vcc_lo, v41, v4, vcc_lo
	v_add_co_u32 v192, vcc_lo, v42, v3
	v_add_co_ci_u32_e32 v193, vcc_lo, v43, v4, vcc_lo
	global_load_u16 v171, v[189:190], off
	global_load_u16 v174, v[192:193], off
	s_waitcnt vmcnt(1)
	v_cvt_f32_f16_e64 v185, v171
	s_waitcnt vmcnt(0)
	v_cvt_f32_f16_e64 v192, v174
.LBB84_124:                             ;   in Loop: Header=BB84_3 Depth=1
	s_or_b32 exec_lo, exec_lo, s4
	v_dual_mov_b32 v189, 0 :: v_dual_mov_b32 v190, 0
	v_mov_b32_e32 v193, 0
	s_and_saveexec_b32 s4, s3
	s_cbranch_execz .LBB84_126
; %bb.125:                              ;   in Loop: Header=BB84_3 Depth=1
	v_add_co_u32 v193, vcc_lo, v36, v3
	v_add_co_ci_u32_e32 v194, vcc_lo, v37, v4, vcc_lo
	v_add_co_u32 v195, vcc_lo, v38, v3
	v_add_co_ci_u32_e32 v196, vcc_lo, v39, v4, vcc_lo
	global_load_u16 v171, v[193:194], off
	global_load_u16 v174, v[195:196], off
	s_waitcnt vmcnt(1)
	v_cvt_f32_f16_e64 v190, v171
	s_waitcnt vmcnt(0)
	v_cvt_f32_f16_e64 v193, v174
.LBB84_126:                             ;   in Loop: Header=BB84_3 Depth=1
	s_or_b32 exec_lo, exec_lo, s4
	v_mov_b32_e32 v196, 0
	s_and_saveexec_b32 s4, s3
	s_cbranch_execz .LBB84_128
; %bb.127:                              ;   in Loop: Header=BB84_3 Depth=1
	v_add_co_u32 v194, vcc_lo, v32, v3
	v_add_co_ci_u32_e32 v195, vcc_lo, v33, v4, vcc_lo
	v_add_co_u32 v196, vcc_lo, v34, v3
	v_add_co_ci_u32_e32 v197, vcc_lo, v35, v4, vcc_lo
	global_load_u16 v171, v[194:195], off
	global_load_u16 v174, v[196:197], off
	s_waitcnt vmcnt(1)
	v_cvt_f32_f16_e64 v189, v171
	s_waitcnt vmcnt(0)
	v_cvt_f32_f16_e64 v196, v174
.LBB84_128:                             ;   in Loop: Header=BB84_3 Depth=1
	s_or_b32 exec_lo, exec_lo, s4
	v_dual_mov_b32 v194, 0 :: v_dual_mov_b32 v195, 0
	v_mov_b32_e32 v197, 0
	;; [unrolled: 33-line block ×3, first 2 shown]
	s_and_saveexec_b32 s4, s3
	s_cbranch_execz .LBB84_134
; %bb.133:                              ;   in Loop: Header=BB84_3 Depth=1
	v_add_co_u32 v200, vcc_lo, v20, v3
	v_add_co_ci_u32_e32 v201, vcc_lo, v21, v4, vcc_lo
	v_add_co_u32 v202, vcc_lo, v22, v3
	v_add_co_ci_u32_e32 v203, vcc_lo, v23, v4, vcc_lo
	global_load_u16 v171, v[200:201], off
	global_load_u16 v174, v[202:203], off
	s_waitcnt vmcnt(1)
	v_cvt_f32_f16_e64 v200, v171
	s_waitcnt vmcnt(0)
	v_cvt_f32_f16_e64 v201, v174
.LBB84_134:                             ;   in Loop: Header=BB84_3 Depth=1
	s_or_b32 exec_lo, exec_lo, s4
	v_mov_b32_e32 v202, 0
	s_and_saveexec_b32 s4, s3
	s_cbranch_execz .LBB84_136
; %bb.135:                              ;   in Loop: Header=BB84_3 Depth=1
	v_add_co_u32 v202, vcc_lo, v16, v3
	v_add_co_ci_u32_e32 v203, vcc_lo, v17, v4, vcc_lo
	v_add_co_u32 v204, vcc_lo, v18, v3
	v_add_co_ci_u32_e32 v205, vcc_lo, v19, v4, vcc_lo
	global_load_u16 v171, v[202:203], off
	global_load_u16 v174, v[204:205], off
	s_waitcnt vmcnt(1)
	v_cvt_f32_f16_e64 v199, v171
	s_waitcnt vmcnt(0)
	v_cvt_f32_f16_e64 v202, v174
.LBB84_136:                             ;   in Loop: Header=BB84_3 Depth=1
	s_or_b32 exec_lo, exec_lo, s4
	v_dual_mov_b32 v171, 0 :: v_dual_mov_b32 v174, 0
	s_and_saveexec_b32 s4, s3
	s_cbranch_execz .LBB84_138
; %bb.137:                              ;   in Loop: Header=BB84_3 Depth=1
	v_add_co_u32 v203, vcc_lo, v1, v3
	v_add_co_ci_u32_e32 v204, vcc_lo, v13, v4, vcc_lo
	v_add_co_u32 v205, vcc_lo, v14, v3
	v_add_co_ci_u32_e32 v206, vcc_lo, v15, v4, vcc_lo
	global_load_u16 v171, v[203:204], off
	global_load_u16 v174, v[205:206], off
	s_waitcnt vmcnt(1)
	v_cvt_f32_f16_e64 v171, v171
	s_waitcnt vmcnt(0)
	v_cvt_f32_f16_e64 v174, v174
.LBB84_138:                             ;   in Loop: Header=BB84_3 Depth=1
	s_or_b32 exec_lo, exec_lo, s4
	s_waitcnt vmcnt(1)
	ds_bpermute_b32 v203, v2, v7
	ds_bpermute_b32 v206, v2, v7 offset:4
	s_waitcnt vmcnt(0)
	ds_bpermute_b32 v204, v2, v8
	ds_bpermute_b32 v208, v2, v7 offset:8
	ds_bpermute_b32 v205, v2, v8 offset:4
	;; [unrolled: 1-line block ×3, first 2 shown]
	v_add_f32_e32 v125, v125, v141
	ds_bpermute_b32 v207, v2, v8 offset:8
	ds_bpermute_b32 v212, v2, v7 offset:16
	;; [unrolled: 1-line block ×13, first 2 shown]
	s_waitcnt lgkmcnt(18)
	v_sub_f32_e32 v6, v6, v203
	ds_bpermute_b32 v203, v2, v7 offset:36
	ds_bpermute_b32 v221, v2, v8 offset:36
	s_waitcnt lgkmcnt(17)
	v_sub_f32_e32 v145, v145, v208
	ds_bpermute_b32 v222, v2, v8 offset:40
	v_mul_f32_e32 v6, v141, v6
	v_sub_f32_e32 v143, v143, v206
	ds_bpermute_b32 v206, v2, v7 offset:44
	ds_bpermute_b32 v141, v2, v8 offset:44
	v_fmac_f32_e32 v140, v6, v204
	v_mul_f32_e32 v143, v142, v143
	v_add_f32_e32 v125, v125, v142
	s_waitcnt lgkmcnt(18)
	v_dual_sub_f32 v142, v147, v210 :: v_dual_mul_f32 v145, v5, v145
	ds_bpermute_b32 v6, v2, v8 offset:48
	v_fmac_f32_e32 v140, v143, v205
	v_dual_add_f32 v5, v125, v5 :: v_dual_mul_f32 v142, v146, v142
	ds_bpermute_b32 v143, v2, v7 offset:48
	s_waitcnt lgkmcnt(13)
	v_dual_sub_f32 v147, v155, v218 :: v_dual_fmac_f32 v140, v145, v207
	v_sub_f32_e32 v125, v149, v212
	v_add_f32_e32 v5, v5, v146
	v_sub_f32_e32 v146, v151, v214
	ds_bpermute_b32 v145, v2, v8 offset:52
	v_fmac_f32_e32 v140, v142, v209
	v_mul_f32_e32 v125, v144, v125
	v_dual_add_f32 v5, v5, v144 :: v_dual_mul_f32 v146, v150, v146
	v_sub_f32_e32 v144, v153, v216
	ds_bpermute_b32 v142, v2, v7 offset:52
	s_waitcnt lgkmcnt(5)
	v_dual_sub_f32 v151, v163, v206 :: v_dual_mul_f32 v144, v148, v144
	v_sub_f32_e32 v149, v157, v220
	v_fmac_f32_e32 v140, v125, v211
	ds_bpermute_b32 v125, v2, v8 offset:56
	s_waitcnt lgkmcnt(3)
	v_sub_f32_e32 v143, v166, v143
	v_mul_f32_e32 v149, v152, v149
	v_dual_add_f32 v5, v5, v150 :: v_dual_fmac_f32 v140, v146, v213
	v_sub_f32_e32 v150, v162, v223
	v_mul_f32_e32 v147, v154, v147
	ds_bpermute_b32 v146, v2, v7 offset:56
	v_dual_add_f32 v5, v5, v148 :: v_dual_sub_f32 v148, v159, v203
	v_fmac_f32_e32 v140, v144, v215
	v_mul_f32_e32 v150, v156, v150
	ds_bpermute_b32 v144, v2, v8 offset:60
	v_dual_add_f32 v5, v5, v154 :: v_dual_mul_f32 v148, v158, v148
	v_fmac_f32_e32 v140, v147, v217
	ds_bpermute_b32 v147, v2, v7 offset:60
	s_waitcnt lgkmcnt(4)
	v_dual_sub_f32 v142, v168, v142 :: v_dual_add_f32 v5, v5, v152
	v_mul_f32_e32 v143, v160, v143
	v_fmac_f32_e32 v140, v149, v219
	ds_bpermute_b32 v149, v2, v8 offset:64
	v_mul_f32_e32 v142, v165, v142
	v_dual_add_f32 v5, v5, v158 :: v_dual_fmac_f32 v140, v148, v221
	ds_bpermute_b32 v148, v2, v7 offset:64
	s_waitcnt lgkmcnt(4)
	v_dual_mul_f32 v151, v161, v151 :: v_dual_sub_f32 v146, v170, v146
	v_dual_fmac_f32 v140, v150, v222 :: v_dual_add_f32 v5, v5, v156
	ds_bpermute_b32 v150, v2, v7 offset:68
	v_mul_f32_e32 v146, v164, v146
	v_fmac_f32_e32 v140, v151, v141
	v_add_f32_e32 v5, v5, v161
	ds_bpermute_b32 v141, v2, v7 offset:72
	v_dual_fmac_f32 v140, v143, v6 :: v_dual_add_f32 v5, v5, v160
	ds_bpermute_b32 v6, v2, v8 offset:68
	s_waitcnt lgkmcnt(5)
	v_sub_f32_e32 v143, v173, v147
	ds_bpermute_b32 v147, v2, v7 offset:80
	v_fmac_f32_e32 v140, v142, v145
	v_add_f32_e32 v5, v5, v165
	ds_bpermute_b32 v142, v2, v8 offset:72
	v_mul_f32_e32 v143, v169, v143
	ds_bpermute_b32 v145, v2, v7 offset:76
	s_waitcnt lgkmcnt(6)
	v_dual_fmac_f32 v140, v146, v125 :: v_dual_sub_f32 v125, v176, v148
	s_waitcnt lgkmcnt(5)
	v_sub_f32_e32 v146, v179, v150
	s_delay_alu instid0(VALU_DEP_2) | instskip(NEXT) | instid1(VALU_DEP_3)
	v_fmac_f32_e32 v140, v143, v144
	v_mul_f32_e32 v125, v167, v125
	s_waitcnt lgkmcnt(4)
	v_sub_f32_e32 v141, v180, v141
	v_mul_f32_e32 v143, v175, v146
	ds_bpermute_b32 v144, v2, v8 offset:76
	ds_bpermute_b32 v146, v2, v7 offset:84
	v_fmac_f32_e32 v140, v125, v149
	v_add_f32_e32 v5, v5, v164
	ds_bpermute_b32 v125, v2, v8 offset:80
	s_waitcnt lgkmcnt(6)
	v_fmac_f32_e32 v140, v143, v6
	ds_bpermute_b32 v6, v2, v7 offset:88
	s_waitcnt lgkmcnt(0)
	v_dual_add_f32 v5, v5, v169 :: v_dual_sub_f32 v6, v188, v6
	s_delay_alu instid0(VALU_DEP_1) | instskip(NEXT) | instid1(VALU_DEP_1)
	v_dual_mul_f32 v141, v172, v141 :: v_dual_mul_f32 v6, v181, v6
	v_dual_sub_f32 v143, v182, v145 :: v_dual_fmac_f32 v140, v141, v142
	ds_bpermute_b32 v142, v2, v7 offset:92
	ds_bpermute_b32 v145, v2, v8 offset:84
	s_waitcnt lgkmcnt(1)
	v_dual_mul_f32 v141, v178, v143 :: v_dual_sub_f32 v142, v191, v142
	s_delay_alu instid0(VALU_DEP_1) | instskip(SKIP_4) | instid1(VALU_DEP_1)
	v_dual_sub_f32 v143, v184, v147 :: v_dual_fmac_f32 v140, v141, v144
	ds_bpermute_b32 v141, v2, v8 offset:88
	v_sub_f32_e32 v144, v186, v146
	ds_bpermute_b32 v146, v2, v7 offset:96
	v_mul_f32_e32 v143, v177, v143
	v_dual_add_f32 v5, v5, v167 :: v_dual_fmac_f32 v140, v143, v125
	ds_bpermute_b32 v125, v2, v8 offset:92
	v_mul_f32_e32 v143, v183, v144
	ds_bpermute_b32 v144, v2, v7 offset:100
	s_waitcnt lgkmcnt(4)
	v_dual_add_f32 v5, v5, v175 :: v_dual_fmac_f32 v140, v143, v145
	ds_bpermute_b32 v143, v2, v8 offset:96
	ds_bpermute_b32 v145, v2, v7 offset:104
	s_waitcnt lgkmcnt(5)
	v_dual_add_f32 v5, v5, v172 :: v_dual_fmac_f32 v140, v6, v141
	ds_bpermute_b32 v6, v2, v8 offset:100
	v_mul_f32_e32 v141, v187, v142
	s_waitcnt lgkmcnt(5)
	v_sub_f32_e32 v142, v192, v146
	ds_bpermute_b32 v146, v2, v7 offset:108
	s_waitcnt lgkmcnt(5)
	v_fmac_f32_e32 v140, v141, v125
	ds_bpermute_b32 v141, v2, v8 offset:104
	v_mul_f32_e32 v125, v185, v142
	s_waitcnt lgkmcnt(5)
	v_sub_f32_e32 v142, v193, v144
	ds_bpermute_b32 v144, v2, v7 offset:112
	s_waitcnt lgkmcnt(5)
	v_dual_fmac_f32 v140, v125, v143 :: v_dual_mul_f32 v125, v190, v142
	ds_bpermute_b32 v142, v2, v8 offset:108
	s_waitcnt lgkmcnt(5)
	v_sub_f32_e32 v143, v196, v145
	ds_bpermute_b32 v145, v2, v7 offset:116
	s_waitcnt lgkmcnt(5)
	v_fmac_f32_e32 v140, v125, v6
	ds_bpermute_b32 v125, v2, v8 offset:112
	v_mul_f32_e32 v6, v189, v143
	v_add_f32_e32 v5, v5, v178
	s_waitcnt lgkmcnt(5)
	v_sub_f32_e32 v143, v197, v146
	ds_bpermute_b32 v146, v2, v7 offset:120
	ds_bpermute_b32 v7, v2, v7 offset:124
	s_waitcnt lgkmcnt(6)
	v_fmac_f32_e32 v140, v6, v141
	v_dual_add_f32 v5, v5, v177 :: v_dual_mul_f32 v6, v195, v143
	s_waitcnt lgkmcnt(5)
	v_sub_f32_e32 v143, v198, v144
	ds_bpermute_b32 v141, v2, v8 offset:116
	s_waitcnt lgkmcnt(5)
	v_dual_add_f32 v5, v5, v183 :: v_dual_fmac_f32 v140, v6, v142
	v_mul_f32_e32 v142, v194, v143
	ds_bpermute_b32 v6, v2, v8 offset:120
	v_add_f32_e32 v5, v5, v181
	s_waitcnt lgkmcnt(5)
	v_sub_f32_e32 v143, v201, v145
	ds_bpermute_b32 v8, v2, v8 offset:124
	s_waitcnt lgkmcnt(5)
	v_dual_fmac_f32 v140, v142, v125 :: v_dual_add_f32 v5, v5, v187
	s_waitcnt lgkmcnt(4)
	v_dual_sub_f32 v142, v202, v146 :: v_dual_mul_f32 v125, v200, v143
	s_delay_alu instid0(VALU_DEP_2) | instskip(SKIP_1) | instid1(VALU_DEP_2)
	v_add_f32_e32 v5, v5, v185
	s_waitcnt lgkmcnt(2)
	v_dual_fmac_f32 v140, v125, v141 :: v_dual_mul_f32 v125, v199, v142
	s_delay_alu instid0(VALU_DEP_2) | instskip(SKIP_1) | instid1(VALU_DEP_2)
	v_add_f32_e32 v5, v5, v190
	s_waitcnt lgkmcnt(1)
	v_fmac_f32_e32 v140, v125, v6
	s_delay_alu instid0(VALU_DEP_1) | instskip(NEXT) | instid1(VALU_DEP_1)
	v_dual_add_f32 v5, v5, v189 :: v_dual_mov_b32 v144, v140
	v_add_f32_e32 v5, v5, v195
	s_delay_alu instid0(VALU_DEP_1) | instskip(NEXT) | instid1(VALU_DEP_1)
	v_add_f32_e32 v5, v5, v194
	v_add_f32_e32 v5, v5, v200
	s_delay_alu instid0(VALU_DEP_1)
	v_add_f32_e32 v141, v5, v199
.LBB84_139:                             ;   in Loop: Header=BB84_3 Depth=1
	v_add_co_u32 v1, vcc_lo, v1, s26
	v_add_co_ci_u32_e32 v13, vcc_lo, s27, v13, vcc_lo
	v_add_co_u32 v14, vcc_lo, v14, s26
	v_add_co_ci_u32_e32 v15, vcc_lo, s27, v15, vcc_lo
	;; [unrolled: 2-line block ×61, first 2 shown]
	v_add_co_u32 v134, vcc_lo, v134, s26
	s_waitcnt lgkmcnt(1)
	v_sub_f32_e32 v5, v174, v7
	v_add_co_ci_u32_e32 v135, vcc_lo, s27, v135, vcc_lo
	v_add_co_u32 v136, vcc_lo, v136, s26
	s_add_u32 s28, s28, s31
	v_add_co_ci_u32_e32 v137, vcc_lo, s27, v137, vcc_lo
	v_mul_f32_e32 v5, v171, v5
	s_addc_u32 s29, s29, 0
	v_add_co_u32 v138, vcc_lo, v138, s26
	v_add_co_ci_u32_e32 v139, vcc_lo, s27, v139, vcc_lo
	v_cmp_lt_i64_e64 s4, s[28:29], s[16:17]
	v_add_co_u32 v10, vcc_lo, v10, s31
	v_add_f32_e32 v125, v141, v171
	s_waitcnt lgkmcnt(0)
	v_fmac_f32_e32 v144, v5, v8
	v_add_co_ci_u32_e32 v12, vcc_lo, 0, v12, vcc_lo
	s_add_u32 s24, s24, s31
	s_addc_u32 s25, s25, 0
	s_and_b32 vcc_lo, exec_lo, s4
	s_cbranch_vccz .LBB84_142
; %bb.140:                              ;   in Loop: Header=BB84_3 Depth=1
	v_mov_b32_e32 v140, v144
	s_branch .LBB84_3
.LBB84_141:
	s_mov_b32 s5, -1
                                        ; implicit-def: $vgpr144
                                        ; implicit-def: $vgpr125
.LBB84_142:
	s_delay_alu instid0(SALU_CYCLE_1)
	s_and_not1_b32 vcc_lo, exec_lo, s5
	s_cbranch_vccnz .LBB84_220
; %bb.143:
	v_dual_mov_b32 v144, 0 :: v_dual_mov_b32 v125, 0
	s_and_not1_b32 vcc_lo, exec_lo, s30
	s_cbranch_vccnz .LBB84_220
; %bb.144:
	v_bfe_u32 v7, v227, 10, 10
	s_add_u32 s4, s0, 64
	s_addc_u32 s5, s1, 0
	s_lshl_b64 s[12:13], s[6:7], 1
	s_delay_alu instid0(VALU_DEP_1) | instskip(SKIP_2) | instid1(VALU_DEP_1)
	v_dual_mov_b32 v177, v227 :: v_dual_lshlrev_b32 v0, 6, v7
	scratch_store_b32 off, v177, off offset:308 ; 4-byte Folded Spill
	v_add_co_u32 v121, s3, v0, s12
	v_add_co_ci_u32_e64 v122, null, 0, s13, s3
	s_delay_alu instid0(VALU_DEP_2) | instskip(NEXT) | instid1(VALU_DEP_2)
	v_add_co_u32 v11, vcc_lo, v121, 2
	v_add_co_ci_u32_e32 v0, vcc_lo, 0, v122, vcc_lo
	v_add_co_u32 v15, vcc_lo, v121, 4
	v_add_co_ci_u32_e32 v5, vcc_lo, 0, v122, vcc_lo
	v_add_co_u32 v19, vcc_lo, v121, 6
	s_delay_alu instid0(VALU_DEP_4) | instskip(SKIP_3) | instid1(VALU_DEP_3)
	v_mul_lo_u32 v18, s18, v0
	v_add_co_ci_u32_e32 v0, vcc_lo, 0, v122, vcc_lo
	v_add_co_u32 v24, vcc_lo, v121, 8
	v_add_co_ci_u32_e32 v9, vcc_lo, 0, v122, vcc_lo
	v_mul_lo_u32 v22, s18, v0
	v_lshlrev_b32_e32 v0, 5, v7
	scratch_store_b32 off, v7, off offset:300 ; 4-byte Folded Spill
	v_add_co_u32 v25, vcc_lo, v121, 10
	v_mad_u64_u32 v[1:2], null, s18, v11, s[20:21]
	scratch_store_b32 off, v0, off          ; 4-byte Folded Spill
	v_add_co_u32 v0, s3, v0, s6
	s_delay_alu instid0(VALU_DEP_1) | instskip(SKIP_1) | instid1(VALU_DEP_3)
	v_add_co_ci_u32_e64 v133, null, 0, 0, s3
	v_mul_lo_u32 v17, s19, v11
	v_mul_lo_u32 v14, s19, v0
	v_mad_u64_u32 v[135:136], null, s18, v0, 0
	s_delay_alu instid0(VALU_DEP_4)
	v_mul_lo_u32 v16, s18, v133
	v_add_co_ci_u32_e32 v13, vcc_lo, 0, v122, vcc_lo
	v_mul_lo_u32 v26, s18, v9
	v_mad_u64_u32 v[9:10], null, s18, v11, s[22:23]
	v_mad_u64_u32 v[3:4], null, s18, v15, s[20:21]
	v_mul_lo_u32 v20, s18, v5
	v_mul_lo_u32 v21, s19, v15
	v_mad_u64_u32 v[5:6], null, s18, v19, s[20:21]
	v_mul_lo_u32 v23, s19, v19
	v_mul_lo_u32 v28, s18, v13
	v_add3_u32 v136, v136, v16, v14
	v_mad_u64_u32 v[13:14], null, s18, v15, s[22:23]
	v_mad_u64_u32 v[15:16], null, s18, v19, s[22:23]
	v_add3_u32 v2, v17, v2, v18
	v_mad_u64_u32 v[7:8], null, s18, v24, s[20:21]
	v_mul_lo_u32 v27, s19, v24
	v_add3_u32 v10, v17, v10, v18
	v_mad_u64_u32 v[17:18], null, s18, v24, s[22:23]
	v_add_co_u32 v30, vcc_lo, v121, 12
	v_add3_u32 v4, v21, v4, v20
	v_add3_u32 v6, v23, v6, v22
	v_mad_u64_u32 v[11:12], null, s18, v25, s[20:21]
	v_mul_lo_u32 v29, s19, v25
	v_add_co_ci_u32_e32 v31, vcc_lo, 0, v122, vcc_lo
	v_add3_u32 v14, v21, v14, v20
	v_add3_u32 v16, v23, v16, v22
	v_mad_u64_u32 v[21:22], null, s18, v25, s[22:23]
	v_mad_u64_u32 v[19:20], null, s18, v30, s[20:21]
	v_mul_lo_u32 v32, s19, v30
	v_mad_u64_u32 v[23:24], null, s18, v30, s[22:23]
	v_add_co_u32 v30, vcc_lo, v121, 14
	v_add3_u32 v8, v27, v8, v26
	v_add3_u32 v18, v27, v18, v26
	v_add_co_ci_u32_e32 v27, vcc_lo, 0, v122, vcc_lo
	v_mul_lo_u32 v31, s18, v31
	v_add3_u32 v12, v29, v12, v28
	v_add3_u32 v22, v29, v22, v28
	v_mad_u64_u32 v[25:26], null, s18, v30, s[20:21]
	v_mul_lo_u32 v29, s18, v27
	v_mul_lo_u32 v33, s19, v30
	v_mad_u64_u32 v[27:28], null, s18, v30, s[22:23]
	v_add_co_u32 v34, vcc_lo, v121, 16
	v_add_co_ci_u32_e32 v30, vcc_lo, 0, v122, vcc_lo
	v_add3_u32 v20, v32, v20, v31
	v_add3_u32 v24, v32, v24, v31
	;; [unrolled: 1-line block ×4, first 2 shown]
	v_mul_lo_u32 v33, s18, v30
	v_mul_lo_u32 v35, s19, v34
	v_mad_u64_u32 v[29:30], null, s18, v34, s[20:21]
	v_mad_u64_u32 v[31:32], null, s18, v34, s[22:23]
	v_add_co_u32 v37, vcc_lo, v121, 18
	v_lshlrev_b64 v[137:138], 1, v[135:136]
	s_load_b32 s3, s[0:1], 0x44
	s_delay_alu instid0(VALU_DEP_4) | instskip(NEXT) | instid1(VALU_DEP_3)
	v_add3_u32 v30, v35, v30, v33
	v_mul_lo_u32 v39, s19, v37
	v_add3_u32 v32, v35, v32, v33
	v_add_co_ci_u32_e32 v33, vcc_lo, 0, v122, vcc_lo
	v_mad_u64_u32 v[35:36], null, s18, v37, s[22:23]
	v_add_co_u32 v41, vcc_lo, v121, 20
	s_delay_alu instid0(VALU_DEP_3) | instskip(SKIP_2) | instid1(VALU_DEP_4)
	v_mul_lo_u32 v38, s18, v33
	v_mad_u64_u32 v[33:34], null, s18, v37, s[20:21]
	v_add_co_ci_u32_e32 v37, vcc_lo, 0, v122, vcc_lo
	v_mul_lo_u32 v43, s19, v41
	v_add_co_u32 v45, vcc_lo, v121, 22
	v_add3_u32 v36, v39, v36, v38
	v_add3_u32 v34, v39, v34, v38
	v_mul_lo_u32 v42, s18, v37
	v_mad_u64_u32 v[37:38], null, s18, v41, s[20:21]
	v_mad_u64_u32 v[39:40], null, s18, v41, s[22:23]
	v_add_co_ci_u32_e32 v41, vcc_lo, 0, v122, vcc_lo
	v_mul_lo_u32 v47, s19, v45
	v_add_co_u32 v49, vcc_lo, v121, 24
	v_add3_u32 v38, v43, v38, v42
	v_add3_u32 v40, v43, v40, v42
	v_mul_lo_u32 v46, s18, v41
	v_mad_u64_u32 v[41:42], null, s18, v45, s[20:21]
	v_mad_u64_u32 v[43:44], null, s18, v45, s[22:23]
	v_add_co_ci_u32_e32 v45, vcc_lo, 0, v122, vcc_lo
	v_mul_lo_u32 v51, s19, v49
	v_add_co_u32 v53, vcc_lo, v121, 26
	v_add3_u32 v42, v47, v42, v46
	v_add3_u32 v44, v47, v44, v46
	v_mul_lo_u32 v50, s18, v45
	v_mad_u64_u32 v[45:46], null, s18, v49, s[20:21]
	v_mad_u64_u32 v[47:48], null, s18, v49, s[22:23]
	v_add_co_ci_u32_e32 v49, vcc_lo, 0, v122, vcc_lo
	v_mul_lo_u32 v55, s19, v53
	v_add_co_u32 v57, vcc_lo, v121, 28
	v_add3_u32 v46, v51, v46, v50
	v_add3_u32 v48, v51, v48, v50
	v_mul_lo_u32 v54, s18, v49
	v_mad_u64_u32 v[49:50], null, s18, v53, s[20:21]
	v_mad_u64_u32 v[51:52], null, s18, v53, s[22:23]
	v_add_co_ci_u32_e32 v53, vcc_lo, 0, v122, vcc_lo
	v_mul_lo_u32 v59, s19, v57
	v_add_co_u32 v61, vcc_lo, v121, 30
	v_add3_u32 v50, v55, v50, v54
	v_add3_u32 v52, v55, v52, v54
	v_mul_lo_u32 v58, s18, v53
	v_mad_u64_u32 v[53:54], null, s18, v57, s[20:21]
	v_mad_u64_u32 v[55:56], null, s18, v57, s[22:23]
	v_add_co_ci_u32_e32 v57, vcc_lo, 0, v122, vcc_lo
	v_mul_lo_u32 v63, s19, v61
	v_add_co_u32 v65, vcc_lo, v121, 32
	v_add3_u32 v54, v59, v54, v58
	v_add3_u32 v56, v59, v56, v58
	v_mul_lo_u32 v62, s18, v57
	v_mad_u64_u32 v[57:58], null, s18, v61, s[20:21]
	v_mad_u64_u32 v[59:60], null, s18, v61, s[22:23]
	v_add_co_ci_u32_e32 v61, vcc_lo, 0, v122, vcc_lo
	v_mul_lo_u32 v67, s19, v65
	v_add_co_u32 v69, vcc_lo, v121, 34
	v_add3_u32 v58, v63, v58, v62
	v_add3_u32 v60, v63, v60, v62
	v_mul_lo_u32 v66, s18, v61
	v_mad_u64_u32 v[61:62], null, s18, v65, s[20:21]
	v_mad_u64_u32 v[63:64], null, s18, v65, s[22:23]
	v_add_co_ci_u32_e32 v65, vcc_lo, 0, v122, vcc_lo
	v_mul_lo_u32 v71, s19, v69
	v_add_co_u32 v73, vcc_lo, v121, 36
	v_add3_u32 v62, v67, v62, v66
	v_add3_u32 v64, v67, v64, v66
	v_mul_lo_u32 v70, s18, v65
	v_mad_u64_u32 v[65:66], null, s18, v69, s[20:21]
	v_mad_u64_u32 v[67:68], null, s18, v69, s[22:23]
	v_add_co_ci_u32_e32 v69, vcc_lo, 0, v122, vcc_lo
	v_mul_lo_u32 v75, s19, v73
	v_add_co_u32 v77, vcc_lo, v121, 38
	v_add3_u32 v66, v71, v66, v70
	v_add3_u32 v68, v71, v68, v70
	v_mul_lo_u32 v74, s18, v69
	v_mad_u64_u32 v[69:70], null, s18, v73, s[20:21]
	v_mad_u64_u32 v[71:72], null, s18, v73, s[22:23]
	v_add_co_ci_u32_e32 v73, vcc_lo, 0, v122, vcc_lo
	v_mul_lo_u32 v79, s19, v77
	v_add_co_u32 v81, vcc_lo, v121, 40
	v_add3_u32 v70, v75, v70, v74
	v_add3_u32 v72, v75, v72, v74
	v_mul_lo_u32 v78, s18, v73
	v_mad_u64_u32 v[73:74], null, s18, v77, s[20:21]
	v_mad_u64_u32 v[75:76], null, s18, v77, s[22:23]
	v_add_co_ci_u32_e32 v77, vcc_lo, 0, v122, vcc_lo
	v_mul_lo_u32 v83, s19, v81
	v_add_co_u32 v85, vcc_lo, v121, 42
	v_add3_u32 v74, v79, v74, v78
	v_add3_u32 v76, v79, v76, v78
	v_mul_lo_u32 v82, s18, v77
	v_mad_u64_u32 v[77:78], null, s18, v81, s[20:21]
	v_mad_u64_u32 v[79:80], null, s18, v81, s[22:23]
	v_add_co_ci_u32_e32 v81, vcc_lo, 0, v122, vcc_lo
	v_mul_lo_u32 v87, s19, v85
	v_add_co_u32 v89, vcc_lo, v121, 44
	v_add3_u32 v78, v83, v78, v82
	v_add3_u32 v80, v83, v80, v82
	v_mul_lo_u32 v86, s18, v81
	v_mad_u64_u32 v[81:82], null, s18, v85, s[20:21]
	v_mad_u64_u32 v[83:84], null, s18, v85, s[22:23]
	v_add_co_ci_u32_e32 v85, vcc_lo, 0, v122, vcc_lo
	v_mul_lo_u32 v91, s19, v89
	v_add_co_u32 v93, vcc_lo, v121, 46
	v_add3_u32 v82, v87, v82, v86
	v_add3_u32 v84, v87, v84, v86
	v_mul_lo_u32 v90, s18, v85
	v_mad_u64_u32 v[85:86], null, s18, v89, s[20:21]
	v_mad_u64_u32 v[87:88], null, s18, v89, s[22:23]
	v_add_co_ci_u32_e32 v89, vcc_lo, 0, v122, vcc_lo
	v_mul_lo_u32 v95, s19, v93
	v_add_co_u32 v97, vcc_lo, v121, 48
	v_add3_u32 v86, v91, v86, v90
	v_add3_u32 v88, v91, v88, v90
	v_mul_lo_u32 v94, s18, v89
	v_mad_u64_u32 v[89:90], null, s18, v93, s[20:21]
	v_mad_u64_u32 v[91:92], null, s18, v93, s[22:23]
	v_add_co_ci_u32_e32 v93, vcc_lo, 0, v122, vcc_lo
	v_mul_lo_u32 v99, s19, v97
	v_add_co_u32 v101, vcc_lo, v121, 50
	v_add3_u32 v90, v95, v90, v94
	v_add3_u32 v92, v95, v92, v94
	v_mul_lo_u32 v98, s18, v93
	v_mad_u64_u32 v[93:94], null, s18, v97, s[20:21]
	v_mad_u64_u32 v[95:96], null, s18, v97, s[22:23]
	v_add_co_ci_u32_e32 v97, vcc_lo, 0, v122, vcc_lo
	v_mul_lo_u32 v103, s19, v101
	v_add_co_u32 v105, vcc_lo, v121, 52
	v_add3_u32 v94, v99, v94, v98
	v_add3_u32 v96, v99, v96, v98
	v_mul_lo_u32 v102, s18, v97
	v_mad_u64_u32 v[97:98], null, s18, v101, s[20:21]
	v_mad_u64_u32 v[99:100], null, s18, v101, s[22:23]
	v_add_co_ci_u32_e32 v101, vcc_lo, 0, v122, vcc_lo
	v_mul_lo_u32 v107, s19, v105
	v_add_co_u32 v109, vcc_lo, v121, 54
	v_add3_u32 v98, v103, v98, v102
	v_add3_u32 v100, v103, v100, v102
	v_mul_lo_u32 v106, s18, v101
	v_mad_u64_u32 v[101:102], null, s18, v105, s[20:21]
	v_mad_u64_u32 v[103:104], null, s18, v105, s[22:23]
	v_add_co_ci_u32_e32 v105, vcc_lo, 0, v122, vcc_lo
	v_mul_lo_u32 v111, s19, v109
	v_add_co_u32 v113, vcc_lo, v121, 56
	v_add3_u32 v102, v107, v102, v106
	v_add3_u32 v104, v107, v104, v106
	v_mul_lo_u32 v110, s18, v105
	v_mad_u64_u32 v[105:106], null, s18, v109, s[20:21]
	v_mad_u64_u32 v[107:108], null, s18, v109, s[22:23]
	v_add_co_ci_u32_e32 v109, vcc_lo, 0, v122, vcc_lo
	v_mul_lo_u32 v115, s19, v113
	v_add_co_u32 v117, vcc_lo, v121, 58
	v_add3_u32 v106, v111, v106, v110
	v_add3_u32 v108, v111, v108, v110
	v_mul_lo_u32 v114, s18, v109
	v_mad_u64_u32 v[109:110], null, s18, v113, s[20:21]
	v_mad_u64_u32 v[111:112], null, s18, v113, s[22:23]
	v_add_co_ci_u32_e32 v113, vcc_lo, 0, v122, vcc_lo
	v_mul_lo_u32 v119, s19, v117
	v_add_co_u32 v123, vcc_lo, v121, 60
	v_add3_u32 v110, v115, v110, v114
	v_add3_u32 v112, v115, v112, v114
	v_mul_lo_u32 v118, s18, v113
	v_mad_u64_u32 v[113:114], null, s18, v117, s[20:21]
	v_mad_u64_u32 v[115:116], null, s18, v117, s[22:23]
	v_add_co_ci_u32_e32 v117, vcc_lo, 0, v122, vcc_lo
	v_mul_lo_u32 v125, s19, v123
	s_waitcnt lgkmcnt(0)
	s_lshl_b32 s3, s3, 5
	s_delay_alu instid0(VALU_DEP_4)
	v_add3_u32 v114, v119, v114, v118
	v_mul_lo_u32 v124, s18, v117
	v_add3_u32 v116, v119, v116, v118
	v_mad_u64_u32 v[117:118], null, s18, v123, s[20:21]
	v_mad_u64_u32 v[119:120], null, s18, v123, s[22:23]
	s_mul_i32 s12, s19, s3
	s_mul_hi_u32 s13, s18, s3
	s_delay_alu instid0(SALU_CYCLE_1) | instskip(NEXT) | instid1(VALU_DEP_2)
	s_add_i32 s13, s13, s12
	v_add3_u32 v118, v125, v118, v124
	s_mul_i32 s12, s18, s3
	s_delay_alu instid0(VALU_DEP_2) | instskip(SKIP_3) | instid1(VALU_DEP_2)
	v_add3_u32 v120, v125, v120, v124
	v_add_co_u32 v125, vcc_lo, v121, 62
	v_add_co_ci_u32_e32 v121, vcc_lo, 0, v122, vcc_lo
	s_lshl_b64 s[12:13], s[12:13], 1
	v_mul_lo_u32 v127, s19, v125
	v_mad_u64_u32 v[123:124], null, s18, v125, s[22:23]
	s_delay_alu instid0(VALU_DEP_3) | instskip(SKIP_2) | instid1(VALU_DEP_3)
	v_mul_lo_u32 v126, s18, v121
	v_mad_u64_u32 v[121:122], null, s18, v125, s[20:21]
	v_add_co_u32 v125, vcc_lo, v0, 31
	v_add3_u32 v124, v127, v124, v126
	s_delay_alu instid0(VALU_DEP_3) | instskip(SKIP_1) | instid1(VALU_DEP_4)
	v_add3_u32 v122, v127, v122, v126
	v_add_co_ci_u32_e32 v126, vcc_lo, 0, v133, vcc_lo
	v_mul_lo_u32 v129, s19, v125
	v_mad_u64_u32 v[127:128], null, s18, v125, 0
	s_delay_alu instid0(VALU_DEP_3) | instskip(SKIP_1) | instid1(VALU_DEP_1)
	v_mul_lo_u32 v126, s18, v126
	v_add_co_u32 v125, vcc_lo, v0, 30
	v_mul_lo_u32 v131, s19, v125
	s_delay_alu instid0(VALU_DEP_3) | instskip(SKIP_3) | instid1(VALU_DEP_3)
	v_add3_u32 v128, v128, v126, v129
	v_add_co_ci_u32_e32 v126, vcc_lo, 0, v133, vcc_lo
	v_mad_u64_u32 v[129:130], null, s18, v125, 0
	v_add_co_u32 v125, vcc_lo, v0, 29
	v_mul_lo_u32 v126, s18, v126
	v_lshlrev_b64 v[127:128], 1, v[127:128]
	s_delay_alu instid0(VALU_DEP_3) | instskip(NEXT) | instid1(VALU_DEP_3)
	v_mul_lo_u32 v134, s19, v125
	v_add3_u32 v130, v130, v126, v131
	v_add_co_ci_u32_e32 v126, vcc_lo, 0, v133, vcc_lo
	v_mad_u64_u32 v[131:132], null, s18, v125, 0
	v_add_co_u32 v125, vcc_lo, v0, 28
	s_delay_alu instid0(VALU_DEP_3) | instskip(NEXT) | instid1(VALU_DEP_2)
	v_mul_lo_u32 v126, s18, v126
	v_mad_u64_u32 v[139:140], null, s18, v125, 0
	s_delay_alu instid0(VALU_DEP_2) | instskip(SKIP_3) | instid1(VALU_DEP_3)
	v_add3_u32 v132, v132, v126, v134
	v_add_co_ci_u32_e32 v126, vcc_lo, 0, v133, vcc_lo
	v_mul_lo_u32 v134, s19, v125
	v_add_co_u32 v125, vcc_lo, v0, 27
	v_mul_lo_u32 v126, s18, v126
	s_delay_alu instid0(VALU_DEP_2) | instskip(NEXT) | instid1(VALU_DEP_2)
	v_mad_u64_u32 v[141:142], null, s18, v125, 0
	v_add3_u32 v140, v140, v126, v134
	v_add_co_ci_u32_e32 v126, vcc_lo, 0, v133, vcc_lo
	v_mul_lo_u32 v134, s19, v125
	v_add_co_u32 v125, vcc_lo, v0, 26
	s_delay_alu instid0(VALU_DEP_3) | instskip(NEXT) | instid1(VALU_DEP_2)
	v_mul_lo_u32 v126, s18, v126
	v_mad_u64_u32 v[143:144], null, s18, v125, 0
	s_delay_alu instid0(VALU_DEP_2) | instskip(SKIP_3) | instid1(VALU_DEP_3)
	v_add3_u32 v142, v142, v126, v134
	v_add_co_ci_u32_e32 v126, vcc_lo, 0, v133, vcc_lo
	v_mul_lo_u32 v134, s19, v125
	v_add_co_u32 v125, vcc_lo, v0, 25
	v_mul_lo_u32 v126, s18, v126
	s_delay_alu instid0(VALU_DEP_2) | instskip(NEXT) | instid1(VALU_DEP_2)
	v_mad_u64_u32 v[145:146], null, s18, v125, 0
	v_add3_u32 v144, v144, v126, v134
	v_add_co_ci_u32_e32 v126, vcc_lo, 0, v133, vcc_lo
	v_mul_lo_u32 v134, s19, v125
	;; [unrolled: 15-line block ×13, first 2 shown]
	v_add_co_u32 v0, vcc_lo, v0, 2
	s_delay_alu instid0(VALU_DEP_3) | instskip(SKIP_1) | instid1(VALU_DEP_1)
	v_mul_lo_u32 v126, s18, v126
	v_add_co_ci_u32_e32 v125, vcc_lo, 0, v133, vcc_lo
	v_mul_lo_u32 v125, s18, v125
	s_delay_alu instid0(VALU_DEP_3) | instskip(SKIP_2) | instid1(VALU_DEP_1)
	v_add3_u32 v252, v252, v126, v134
	v_mul_lo_u32 v126, s19, v0
	v_mad_u64_u32 v[133:134], null, s18, v0, 0
	v_add3_u32 v134, v134, v125, v126
	v_add_co_u32 v125, vcc_lo, v135, s18
	v_add_co_ci_u32_e32 v126, vcc_lo, s19, v136, vcc_lo
	v_add_co_u32 v135, vcc_lo, s20, v137
	v_add_co_ci_u32_e32 v136, vcc_lo, s21, v138, vcc_lo
	;; [unrolled: 2-line block ×3, first 2 shown]
	v_add_co_u32 v0, vcc_lo, s20, v127
	v_lshlrev_b64 v[125:126], 1, v[125:126]
	scratch_store_b32 off, v0, off offset:4 ; 4-byte Folded Spill
	v_add_co_ci_u32_e32 v0, vcc_lo, s21, v128, vcc_lo
	scratch_store_b32 off, v0, off offset:8 ; 4-byte Folded Spill
	v_add_co_u32 v0, vcc_lo, s22, v127
	scratch_store_b32 off, v0, off offset:12 ; 4-byte Folded Spill
	v_add_co_ci_u32_e32 v0, vcc_lo, s23, v128, vcc_lo
	v_lshlrev_b64 v[127:128], 1, v[129:130]
	scratch_store_b32 off, v0, off offset:16 ; 4-byte Folded Spill
	v_add_co_u32 v0, vcc_lo, s20, v127
	scratch_store_b32 off, v0, off offset:20 ; 4-byte Folded Spill
	v_add_co_ci_u32_e32 v0, vcc_lo, s21, v128, vcc_lo
	scratch_store_b32 off, v0, off offset:24 ; 4-byte Folded Spill
	v_add_co_u32 v0, vcc_lo, s22, v127
	scratch_store_b32 off, v0, off offset:28 ; 4-byte Folded Spill
	v_add_co_ci_u32_e32 v0, vcc_lo, s23, v128, vcc_lo
	v_lshlrev_b64 v[127:128], 1, v[131:132]
	v_mov_b32_e32 v131, 0
	scratch_store_b32 off, v0, off offset:32 ; 4-byte Folded Spill
	v_add_co_u32 v0, vcc_lo, s20, v127
	scratch_store_b32 off, v0, off offset:36 ; 4-byte Folded Spill
	v_add_co_ci_u32_e32 v0, vcc_lo, s21, v128, vcc_lo
	scratch_store_b32 off, v0, off offset:40 ; 4-byte Folded Spill
	v_add_co_u32 v0, vcc_lo, s22, v127
	scratch_store_b32 off, v0, off offset:44 ; 4-byte Folded Spill
	v_add_co_ci_u32_e32 v0, vcc_lo, s23, v128, vcc_lo
	v_lshlrev_b64 v[127:128], 1, v[139:140]
	scratch_store_b32 off, v0, off offset:48 ; 4-byte Folded Spill
	v_add_co_u32 v0, vcc_lo, s20, v127
	scratch_store_b32 off, v0, off offset:52 ; 4-byte Folded Spill
	v_add_co_ci_u32_e32 v0, vcc_lo, s21, v128, vcc_lo
	scratch_store_b32 off, v0, off offset:56 ; 4-byte Folded Spill
	v_add_co_u32 v0, vcc_lo, s22, v127
	scratch_store_b32 off, v0, off offset:60 ; 4-byte Folded Spill
	v_add_co_ci_u32_e32 v0, vcc_lo, s23, v128, vcc_lo
	v_lshlrev_b64 v[127:128], 1, v[141:142]
	;; [unrolled: 9-line block ×4, first 2 shown]
	v_mov_b32_e32 v145, 0
	scratch_store_b32 off, v0, off offset:96 ; 4-byte Folded Spill
	v_add_co_u32 v0, vcc_lo, s20, v127
	scratch_store_b32 off, v0, off offset:100 ; 4-byte Folded Spill
	v_add_co_ci_u32_e32 v0, vcc_lo, s21, v128, vcc_lo
	scratch_store_b32 off, v0, off offset:104 ; 4-byte Folded Spill
	v_add_co_u32 v0, vcc_lo, s22, v127
	scratch_store_b32 off, v0, off offset:108 ; 4-byte Folded Spill
	v_add_co_ci_u32_e32 v0, vcc_lo, s23, v128, vcc_lo
	v_lshlrev_b64 v[127:128], 1, v[147:148]
	scratch_store_b32 off, v0, off offset:112 ; 4-byte Folded Spill
	v_add_co_u32 v0, vcc_lo, s20, v127
	scratch_store_b32 off, v0, off offset:116 ; 4-byte Folded Spill
	v_add_co_ci_u32_e32 v0, vcc_lo, s21, v128, vcc_lo
	scratch_store_b32 off, v0, off offset:120 ; 4-byte Folded Spill
	v_add_co_u32 v0, vcc_lo, s22, v127
	scratch_store_b32 off, v0, off offset:124 ; 4-byte Folded Spill
	v_add_co_ci_u32_e32 v0, vcc_lo, s23, v128, vcc_lo
	v_lshlrev_b64 v[127:128], 1, v[149:150]
	scratch_store_b32 off, v0, off offset:128 ; 4-byte Folded Spill
	v_add_co_u32 v0, vcc_lo, s20, v127
	scratch_store_b32 off, v0, off offset:132 ; 4-byte Folded Spill
	v_add_co_ci_u32_e32 v0, vcc_lo, s21, v128, vcc_lo
	scratch_store_b32 off, v0, off offset:136 ; 4-byte Folded Spill
	v_add_co_u32 v0, vcc_lo, s22, v127
	scratch_store_b32 off, v0, off offset:140 ; 4-byte Folded Spill
	v_add_co_ci_u32_e32 v0, vcc_lo, s23, v128, vcc_lo
	v_lshlrev_b64 v[127:128], 1, v[151:152]
	scratch_store_b32 off, v0, off offset:144 ; 4-byte Folded Spill
	v_add_co_u32 v0, vcc_lo, s20, v127
	scratch_store_b32 off, v0, off offset:148 ; 4-byte Folded Spill
	v_add_co_ci_u32_e32 v0, vcc_lo, s21, v128, vcc_lo
	scratch_store_b32 off, v0, off offset:152 ; 4-byte Folded Spill
	v_add_co_u32 v0, vcc_lo, s22, v127
	scratch_store_b32 off, v0, off offset:156 ; 4-byte Folded Spill
	v_add_co_ci_u32_e32 v0, vcc_lo, s23, v128, vcc_lo
	v_lshlrev_b64 v[127:128], 1, v[153:154]
	scratch_store_b32 off, v0, off offset:160 ; 4-byte Folded Spill
	v_add_co_u32 v0, vcc_lo, s20, v127
	scratch_store_b32 off, v0, off offset:164 ; 4-byte Folded Spill
	v_add_co_ci_u32_e32 v0, vcc_lo, s21, v128, vcc_lo
	scratch_store_b32 off, v0, off offset:168 ; 4-byte Folded Spill
	v_add_co_u32 v0, vcc_lo, s22, v127
	scratch_store_b32 off, v0, off offset:172 ; 4-byte Folded Spill
	v_add_co_ci_u32_e32 v0, vcc_lo, s23, v128, vcc_lo
	v_lshlrev_b64 v[127:128], 1, v[155:156]
	scratch_store_b32 off, v0, off offset:176 ; 4-byte Folded Spill
	v_add_co_u32 v0, vcc_lo, s20, v127
	scratch_store_b32 off, v0, off offset:180 ; 4-byte Folded Spill
	v_add_co_ci_u32_e32 v0, vcc_lo, s21, v128, vcc_lo
	scratch_store_b32 off, v0, off offset:184 ; 4-byte Folded Spill
	v_add_co_u32 v0, vcc_lo, s22, v127
	scratch_store_b32 off, v0, off offset:188 ; 4-byte Folded Spill
	v_add_co_ci_u32_e32 v0, vcc_lo, s23, v128, vcc_lo
	v_lshlrev_b64 v[127:128], 1, v[157:158]
	scratch_store_b32 off, v0, off offset:192 ; 4-byte Folded Spill
	v_add_co_u32 v0, vcc_lo, s20, v127
	scratch_store_b32 off, v0, off offset:196 ; 4-byte Folded Spill
	v_add_co_ci_u32_e32 v0, vcc_lo, s21, v128, vcc_lo
	scratch_store_b32 off, v0, off offset:200 ; 4-byte Folded Spill
	v_add_co_u32 v0, vcc_lo, s22, v127
	scratch_store_b32 off, v0, off offset:204 ; 4-byte Folded Spill
	v_add_co_ci_u32_e32 v0, vcc_lo, s23, v128, vcc_lo
	v_lshlrev_b64 v[127:128], 1, v[159:160]
	scratch_store_b32 off, v0, off offset:208 ; 4-byte Folded Spill
	v_add_co_u32 v191, vcc_lo, s20, v127
	v_add_co_ci_u32_e32 v192, vcc_lo, s21, v128, vcc_lo
	v_add_co_u32 v193, vcc_lo, s22, v127
	v_add_co_ci_u32_e32 v194, vcc_lo, s23, v128, vcc_lo
	v_lshlrev_b64 v[127:128], 1, v[161:162]
	s_delay_alu instid0(VALU_DEP_1) | instskip(NEXT) | instid1(VALU_DEP_2)
	v_add_co_u32 v195, vcc_lo, s20, v127
	v_add_co_ci_u32_e32 v196, vcc_lo, s21, v128, vcc_lo
	v_add_co_u32 v197, vcc_lo, s22, v127
	v_add_co_ci_u32_e32 v198, vcc_lo, s23, v128, vcc_lo
	v_lshlrev_b64 v[127:128], 1, v[163:164]
	s_delay_alu instid0(VALU_DEP_1) | instskip(NEXT) | instid1(VALU_DEP_2)
	;; [unrolled: 6-line block ×16, first 2 shown]
	v_add_co_u32 v255, vcc_lo, s20, v127
	v_add_co_ci_u32_e32 v133, vcc_lo, s21, v128, vcc_lo
	v_add_co_u32 v0, vcc_lo, s22, v127
	v_add_co_ci_u32_e32 v134, vcc_lo, s23, v128, vcc_lo
	v_add_co_u32 v139, vcc_lo, s20, v125
	v_add_co_ci_u32_e32 v140, vcc_lo, s21, v126, vcc_lo
	v_add_co_u32 v141, vcc_lo, s22, v125
	v_and_b32_e32 v125, 0x3ff, v177
	v_add_co_ci_u32_e32 v142, vcc_lo, s23, v126, vcc_lo
	v_mov_b32_e32 v126, 0
	s_mov_b64 s[20:21], 31
	scratch_store_b32 off, v125, off offset:304 ; 4-byte Folded Spill
	v_add_nc_u32_e32 v125, s15, v125
	s_mov_b64 s[22:23], s[6:7]
	v_mov_b32_e32 v143, v126
	s_delay_alu instid0(VALU_DEP_2)
	v_lshlrev_b64 v[127:128], 1, v[125:126]
.LBB84_145:                             ; =>This Inner Loop Header: Depth=1
	scratch_load_b32 v125, off, off         ; 4-byte Folded Reload
	s_add_u32 s24, s6, s20
	s_addc_u32 s25, 0, s21
	scratch_store_b32 off, v131, off offset:212 ; 4-byte Folded Spill
	v_cmp_ge_i64_e64 s7, s[24:25], s[16:17]
	s_waitcnt vmcnt(0)
	v_add_co_u32 v129, vcc_lo, s6, v125
	v_add_co_ci_u32_e32 v130, vcc_lo, 0, v143, vcc_lo
	s_delay_alu instid0(VALU_DEP_3)
	s_and_b32 vcc_lo, exec_lo, s7
	s_cbranch_vccz .LBB84_213
; %bb.146:                              ;   in Loop: Header=BB84_145 Depth=1
	s_load_b32 s7, s[4:5], 0xc
	s_clause 0x1
	scratch_load_b32 v125, off, off offset:300
	scratch_load_b32 v131, off, off offset:304
	v_mov_b32_e32 v180, 0
	v_mov_b32_e32 v146, 0
	s_waitcnt lgkmcnt(0)
	s_and_b32 s7, s7, 0xffff
	s_waitcnt vmcnt(0)
	v_mad_u32_u24 v125, v125, s7, v131
	s_mov_b32 s7, exec_lo
	s_delay_alu instid0(VALU_DEP_1) | instskip(NEXT) | instid1(VALU_DEP_1)
	v_and_b32_e32 v125, 31, v125
	v_add_co_u32 v131, vcc_lo, v129, v125
	v_add_co_ci_u32_e32 v132, vcc_lo, 0, v130, vcc_lo
	v_mov_b32_e32 v125, 0
	s_delay_alu instid0(VALU_DEP_2)
	v_cmpx_gt_i64_e64 s[16:17], v[131:132]
	s_cbranch_execz .LBB84_148
; %bb.147:                              ;   in Loop: Header=BB84_145 Depth=1
	v_lshlrev_b64 v[131:132], 2, v[131:132]
	s_delay_alu instid0(VALU_DEP_1) | instskip(NEXT) | instid1(VALU_DEP_2)
	v_add_co_u32 v146, vcc_lo, s8, v131
	v_add_co_ci_u32_e32 v147, vcc_lo, s9, v132, vcc_lo
	v_add_co_u32 v131, vcc_lo, s10, v131
	v_add_co_ci_u32_e32 v132, vcc_lo, s11, v132, vcc_lo
	global_load_b32 v146, v[146:147], off
	global_load_b32 v125, v[131:132], off
.LBB84_148:                             ;   in Loop: Header=BB84_145 Depth=1
	s_or_b32 exec_lo, exec_lo, s7
	v_mov_b32_e32 v188, 0
	s_mov_b32 s7, exec_lo
	v_cmpx_gt_i64_e64 s[16:17], v[129:130]
	s_cbranch_execz .LBB84_150
; %bb.149:                              ;   in Loop: Header=BB84_145 Depth=1
	v_add_co_u32 v131, vcc_lo, v135, v127
	v_add_co_ci_u32_e32 v132, vcc_lo, v136, v128, vcc_lo
	v_add_co_u32 v147, vcc_lo, v137, v127
	v_add_co_ci_u32_e32 v148, vcc_lo, v138, v128, vcc_lo
	global_load_u16 v131, v[131:132], off
	global_load_u16 v132, v[147:148], off
	s_waitcnt vmcnt(1)
	v_cvt_f32_f16_e64 v180, v131
	s_waitcnt vmcnt(0)
	v_cvt_f32_f16_e64 v188, v132
.LBB84_150:                             ;   in Loop: Header=BB84_145 Depth=1
	s_or_b32 exec_lo, exec_lo, s7
	v_add_co_u32 v131, vcc_lo, v129, 1
	v_add_co_ci_u32_e32 v132, vcc_lo, 0, v130, vcc_lo
	v_mov_b32_e32 v144, 0
	v_mov_b32_e32 v182, 0
	;; [unrolled: 1-line block ×3, first 2 shown]
	s_mov_b32 s7, exec_lo
	v_cmpx_gt_i64_e64 s[16:17], v[131:132]
	s_cbranch_execz .LBB84_152
; %bb.151:                              ;   in Loop: Header=BB84_145 Depth=1
	v_add_co_u32 v131, vcc_lo, v139, v127
	v_add_co_ci_u32_e32 v132, vcc_lo, v140, v128, vcc_lo
	v_add_co_u32 v147, vcc_lo, v141, v127
	v_add_co_ci_u32_e32 v148, vcc_lo, v142, v128, vcc_lo
	global_load_u16 v131, v[131:132], off
	global_load_u16 v132, v[147:148], off
	s_waitcnt vmcnt(1)
	v_cvt_f32_f16_e64 v182, v131
	s_waitcnt vmcnt(0)
	v_cvt_f32_f16_e64 v190, v132
.LBB84_152:                             ;   in Loop: Header=BB84_145 Depth=1
	s_or_b32 exec_lo, exec_lo, s7
	v_add_co_u32 v131, vcc_lo, v129, 2
	v_add_co_ci_u32_e32 v132, vcc_lo, 0, v130, vcc_lo
	s_delay_alu instid0(VALU_DEP_1)
	v_cmp_gt_i64_e32 vcc_lo, s[16:17], v[131:132]
	v_mov_b32_e32 v131, 0
	scratch_store_b32 off, v131, off offset:228 ; 4-byte Folded Spill
	s_and_saveexec_b32 s7, vcc_lo
	s_cbranch_execz .LBB84_154
; %bb.153:                              ;   in Loop: Header=BB84_145 Depth=1
	v_add_co_u32 v131, vcc_lo, v255, v127
	v_add_co_ci_u32_e32 v132, vcc_lo, v133, v128, vcc_lo
	v_add_co_u32 v147, vcc_lo, v0, v127
	v_add_co_ci_u32_e32 v148, vcc_lo, v134, v128, vcc_lo
	global_load_u16 v131, v[131:132], off
	global_load_u16 v132, v[147:148], off
	s_waitcnt vmcnt(1)
	v_cvt_f32_f16_e64 v144, v131
	s_waitcnt vmcnt(0)
	v_cvt_f32_f16_e64 v131, v132
	scratch_store_b32 off, v131, off offset:228 ; 4-byte Folded Spill
.LBB84_154:                             ;   in Loop: Header=BB84_145 Depth=1
	s_or_b32 exec_lo, exec_lo, s7
	v_add_co_u32 v131, vcc_lo, v129, 3
	v_add_co_ci_u32_e32 v132, vcc_lo, 0, v130, vcc_lo
	v_mov_b32_e32 v183, 0
	s_delay_alu instid0(VALU_DEP_2)
	v_cmp_gt_i64_e32 vcc_lo, s[16:17], v[131:132]
	v_mov_b32_e32 v131, 0
	scratch_store_b32 off, v131, off offset:216 ; 4-byte Folded Spill
	v_mov_b32_e32 v131, 0
	scratch_store_b32 off, v131, off offset:232 ; 4-byte Folded Spill
	s_and_saveexec_b32 s7, vcc_lo
	s_cbranch_execz .LBB84_156
; %bb.155:                              ;   in Loop: Header=BB84_145 Depth=1
	v_add_co_u32 v131, vcc_lo, v251, v127
	v_add_co_ci_u32_e32 v132, vcc_lo, v252, v128, vcc_lo
	v_add_co_u32 v147, vcc_lo, v253, v127
	v_add_co_ci_u32_e32 v148, vcc_lo, v254, v128, vcc_lo
	global_load_u16 v131, v[131:132], off
	global_load_u16 v132, v[147:148], off
	s_waitcnt vmcnt(1)
	v_cvt_f32_f16_e64 v131, v131
	scratch_store_b32 off, v131, off offset:216 ; 4-byte Folded Spill
	s_waitcnt vmcnt(0)
	v_cvt_f32_f16_e64 v131, v132
	scratch_store_b32 off, v131, off offset:232 ; 4-byte Folded Spill
.LBB84_156:                             ;   in Loop: Header=BB84_145 Depth=1
	s_or_b32 exec_lo, exec_lo, s7
	v_add_co_u32 v131, vcc_lo, v129, 4
	v_add_co_ci_u32_e32 v132, vcc_lo, 0, v130, vcc_lo
	s_delay_alu instid0(VALU_DEP_1)
	v_cmp_gt_i64_e32 vcc_lo, s[16:17], v[131:132]
	v_mov_b32_e32 v131, 0
	scratch_store_b32 off, v131, off offset:236 ; 4-byte Folded Spill
	s_and_saveexec_b32 s7, vcc_lo
	s_cbranch_execz .LBB84_158
; %bb.157:                              ;   in Loop: Header=BB84_145 Depth=1
	v_add_co_u32 v131, vcc_lo, v247, v127
	v_add_co_ci_u32_e32 v132, vcc_lo, v248, v128, vcc_lo
	v_add_co_u32 v147, vcc_lo, v249, v127
	v_add_co_ci_u32_e32 v148, vcc_lo, v250, v128, vcc_lo
	global_load_u16 v131, v[131:132], off
	global_load_u16 v132, v[147:148], off
	s_waitcnt vmcnt(1)
	v_cvt_f32_f16_e64 v183, v131
	s_waitcnt vmcnt(0)
	v_cvt_f32_f16_e64 v131, v132
	scratch_store_b32 off, v131, off offset:236 ; 4-byte Folded Spill
.LBB84_158:                             ;   in Loop: Header=BB84_145 Depth=1
	s_or_b32 exec_lo, exec_lo, s7
	v_add_co_u32 v131, vcc_lo, v129, 5
	v_add_co_ci_u32_e32 v132, vcc_lo, 0, v130, vcc_lo
	v_dual_mov_b32 v185, 0 :: v_dual_mov_b32 v186, 0
	s_delay_alu instid0(VALU_DEP_2)
	v_cmp_gt_i64_e32 vcc_lo, s[16:17], v[131:132]
	v_mov_b32_e32 v131, 0
	scratch_store_b32 off, v131, off offset:240 ; 4-byte Folded Spill
	s_and_saveexec_b32 s7, vcc_lo
	s_cbranch_execz .LBB84_160
; %bb.159:                              ;   in Loop: Header=BB84_145 Depth=1
	v_add_co_u32 v131, vcc_lo, v243, v127
	v_add_co_ci_u32_e32 v132, vcc_lo, v244, v128, vcc_lo
	v_add_co_u32 v147, vcc_lo, v245, v127
	v_add_co_ci_u32_e32 v148, vcc_lo, v246, v128, vcc_lo
	global_load_u16 v131, v[131:132], off
	global_load_u16 v132, v[147:148], off
	s_waitcnt vmcnt(1)
	v_cvt_f32_f16_e64 v186, v131
	s_waitcnt vmcnt(0)
	v_cvt_f32_f16_e64 v131, v132
	scratch_store_b32 off, v131, off offset:240 ; 4-byte Folded Spill
.LBB84_160:                             ;   in Loop: Header=BB84_145 Depth=1
	s_or_b32 exec_lo, exec_lo, s7
	v_add_co_u32 v131, vcc_lo, v129, 6
	v_add_co_ci_u32_e32 v132, vcc_lo, 0, v130, vcc_lo
	s_delay_alu instid0(VALU_DEP_1)
	v_cmp_gt_i64_e32 vcc_lo, s[16:17], v[131:132]
	v_mov_b32_e32 v131, 0
	scratch_store_b32 off, v131, off offset:244 ; 4-byte Folded Spill
	s_and_saveexec_b32 s7, vcc_lo
	s_cbranch_execz .LBB84_162
; %bb.161:                              ;   in Loop: Header=BB84_145 Depth=1
	v_add_co_u32 v131, vcc_lo, v239, v127
	v_add_co_ci_u32_e32 v132, vcc_lo, v240, v128, vcc_lo
	v_add_co_u32 v147, vcc_lo, v241, v127
	v_add_co_ci_u32_e32 v148, vcc_lo, v242, v128, vcc_lo
	global_load_u16 v131, v[131:132], off
	global_load_u16 v132, v[147:148], off
	s_waitcnt vmcnt(1)
	v_cvt_f32_f16_e64 v185, v131
	s_waitcnt vmcnt(0)
	v_cvt_f32_f16_e64 v131, v132
	scratch_store_b32 off, v131, off offset:244 ; 4-byte Folded Spill
.LBB84_162:                             ;   in Loop: Header=BB84_145 Depth=1
	s_or_b32 exec_lo, exec_lo, s7
	v_add_co_u32 v131, vcc_lo, v129, 7
	v_add_co_ci_u32_e32 v132, vcc_lo, 0, v130, vcc_lo
	v_mov_b32_e32 v147, 0
	v_mov_b32_e32 v187, 0
	s_delay_alu instid0(VALU_DEP_3)
	v_cmp_gt_i64_e32 vcc_lo, s[16:17], v[131:132]
	v_mov_b32_e32 v131, 0
	s_clause 0x1
	scratch_store_b32 off, v147, off offset:220
	scratch_store_b32 off, v131, off offset:248
	s_and_saveexec_b32 s7, vcc_lo
	s_cbranch_execz .LBB84_164
; %bb.163:                              ;   in Loop: Header=BB84_145 Depth=1
	v_add_co_u32 v131, vcc_lo, v235, v127
	v_add_co_ci_u32_e32 v132, vcc_lo, v236, v128, vcc_lo
	v_add_co_u32 v147, vcc_lo, v237, v127
	v_add_co_ci_u32_e32 v148, vcc_lo, v238, v128, vcc_lo
	global_load_u16 v131, v[131:132], off
	global_load_u16 v132, v[147:148], off
	s_waitcnt vmcnt(1)
	v_cvt_f32_f16_e64 v187, v131
	s_waitcnt vmcnt(0)
	v_cvt_f32_f16_e64 v131, v132
	scratch_store_b32 off, v131, off offset:248 ; 4-byte Folded Spill
.LBB84_164:                             ;   in Loop: Header=BB84_145 Depth=1
	s_or_b32 exec_lo, exec_lo, s7
	v_add_co_u32 v131, vcc_lo, v129, 8
	v_add_co_ci_u32_e32 v132, vcc_lo, 0, v130, vcc_lo
	s_delay_alu instid0(VALU_DEP_1)
	v_cmp_gt_i64_e32 vcc_lo, s[16:17], v[131:132]
	v_mov_b32_e32 v131, 0
	scratch_store_b32 off, v131, off offset:252 ; 4-byte Folded Spill
	s_and_saveexec_b32 s7, vcc_lo
	s_cbranch_execz .LBB84_166
; %bb.165:                              ;   in Loop: Header=BB84_145 Depth=1
	v_add_co_u32 v131, vcc_lo, v231, v127
	v_add_co_ci_u32_e32 v132, vcc_lo, v232, v128, vcc_lo
	v_add_co_u32 v147, vcc_lo, v233, v127
	v_add_co_ci_u32_e32 v148, vcc_lo, v234, v128, vcc_lo
	global_load_u16 v131, v[131:132], off
	global_load_u16 v132, v[147:148], off
	s_waitcnt vmcnt(1)
	v_cvt_f32_f16_e64 v131, v131
	scratch_store_b32 off, v131, off offset:220 ; 4-byte Folded Spill
	s_waitcnt vmcnt(0)
	v_cvt_f32_f16_e64 v131, v132
	scratch_store_b32 off, v131, off offset:252 ; 4-byte Folded Spill
.LBB84_166:                             ;   in Loop: Header=BB84_145 Depth=1
	s_or_b32 exec_lo, exec_lo, s7
	v_add_co_u32 v131, vcc_lo, v129, 9
	v_add_co_ci_u32_e32 v132, vcc_lo, 0, v130, vcc_lo
	v_mov_b32_e32 v147, 0
	v_mov_b32_e32 v189, 0
	s_delay_alu instid0(VALU_DEP_3)
	v_cmp_gt_i64_e32 vcc_lo, s[16:17], v[131:132]
	v_mov_b32_e32 v131, 0
	s_clause 0x1
	scratch_store_b32 off, v147, off offset:224
	scratch_store_b32 off, v131, off offset:256
	s_and_saveexec_b32 s7, vcc_lo
	s_cbranch_execz .LBB84_168
; %bb.167:                              ;   in Loop: Header=BB84_145 Depth=1
	v_add_co_u32 v131, vcc_lo, v227, v127
	v_add_co_ci_u32_e32 v132, vcc_lo, v228, v128, vcc_lo
	v_add_co_u32 v147, vcc_lo, v229, v127
	v_add_co_ci_u32_e32 v148, vcc_lo, v230, v128, vcc_lo
	global_load_u16 v131, v[131:132], off
	global_load_u16 v132, v[147:148], off
	s_waitcnt vmcnt(1)
	v_cvt_f32_f16_e64 v189, v131
	s_waitcnt vmcnt(0)
	v_cvt_f32_f16_e64 v131, v132
	scratch_store_b32 off, v131, off offset:256 ; 4-byte Folded Spill
.LBB84_168:                             ;   in Loop: Header=BB84_145 Depth=1
	s_or_b32 exec_lo, exec_lo, s7
	v_add_co_u32 v131, vcc_lo, v129, 10
	v_add_co_ci_u32_e32 v132, vcc_lo, 0, v130, vcc_lo
	s_delay_alu instid0(VALU_DEP_1)
	v_cmp_gt_i64_e32 vcc_lo, s[16:17], v[131:132]
	v_mov_b32_e32 v131, 0
	scratch_store_b32 off, v131, off offset:260 ; 4-byte Folded Spill
	s_and_saveexec_b32 s7, vcc_lo
	s_cbranch_execz .LBB84_170
; %bb.169:                              ;   in Loop: Header=BB84_145 Depth=1
	v_add_co_u32 v131, vcc_lo, v223, v127
	v_add_co_ci_u32_e32 v132, vcc_lo, v224, v128, vcc_lo
	v_add_co_u32 v147, vcc_lo, v225, v127
	v_add_co_ci_u32_e32 v148, vcc_lo, v226, v128, vcc_lo
	global_load_u16 v131, v[131:132], off
	global_load_u16 v132, v[147:148], off
	s_waitcnt vmcnt(1)
	v_cvt_f32_f16_e64 v131, v131
	scratch_store_b32 off, v131, off offset:224 ; 4-byte Folded Spill
	s_waitcnt vmcnt(0)
	v_cvt_f32_f16_e64 v131, v132
	scratch_store_b32 off, v131, off offset:260 ; 4-byte Folded Spill
.LBB84_170:                             ;   in Loop: Header=BB84_145 Depth=1
	s_or_b32 exec_lo, exec_lo, s7
	v_add_co_u32 v147, vcc_lo, v129, 11
	v_add_co_ci_u32_e32 v148, vcc_lo, 0, v130, vcc_lo
	v_dual_mov_b32 v131, 0 :: v_dual_mov_b32 v132, 0
	s_delay_alu instid0(VALU_DEP_2)
	v_cmp_gt_i64_e32 vcc_lo, s[16:17], v[147:148]
	v_mov_b32_e32 v147, 0
	scratch_store_b32 off, v147, off offset:264 ; 4-byte Folded Spill
	s_and_saveexec_b32 s7, vcc_lo
	s_cbranch_execz .LBB84_172
; %bb.171:                              ;   in Loop: Header=BB84_145 Depth=1
	v_add_co_u32 v147, vcc_lo, v219, v127
	v_add_co_ci_u32_e32 v148, vcc_lo, v220, v128, vcc_lo
	v_add_co_u32 v149, vcc_lo, v221, v127
	v_add_co_ci_u32_e32 v150, vcc_lo, v222, v128, vcc_lo
	global_load_u16 v132, v[147:148], off
	global_load_u16 v147, v[149:150], off
	s_waitcnt vmcnt(1)
	v_cvt_f32_f16_e64 v132, v132
	s_waitcnt vmcnt(0)
	v_cvt_f32_f16_e64 v147, v147
	scratch_store_b32 off, v147, off offset:264 ; 4-byte Folded Spill
.LBB84_172:                             ;   in Loop: Header=BB84_145 Depth=1
	s_or_b32 exec_lo, exec_lo, s7
	v_add_co_u32 v147, vcc_lo, v129, 12
	v_add_co_ci_u32_e32 v148, vcc_lo, 0, v130, vcc_lo
	s_delay_alu instid0(VALU_DEP_1)
	v_cmp_gt_i64_e32 vcc_lo, s[16:17], v[147:148]
	v_mov_b32_e32 v147, 0
	scratch_store_b32 off, v147, off offset:268 ; 4-byte Folded Spill
	s_and_saveexec_b32 s7, vcc_lo
	s_cbranch_execz .LBB84_174
; %bb.173:                              ;   in Loop: Header=BB84_145 Depth=1
	v_add_co_u32 v147, vcc_lo, v215, v127
	v_add_co_ci_u32_e32 v148, vcc_lo, v216, v128, vcc_lo
	v_add_co_u32 v149, vcc_lo, v217, v127
	v_add_co_ci_u32_e32 v150, vcc_lo, v218, v128, vcc_lo
	global_load_u16 v131, v[147:148], off
	global_load_u16 v147, v[149:150], off
	s_waitcnt vmcnt(1)
	v_cvt_f32_f16_e64 v131, v131
	s_waitcnt vmcnt(0)
	v_cvt_f32_f16_e64 v147, v147
	scratch_store_b32 off, v147, off offset:268 ; 4-byte Folded Spill
.LBB84_174:                             ;   in Loop: Header=BB84_145 Depth=1
	s_or_b32 exec_lo, exec_lo, s7
	v_add_co_u32 v148, vcc_lo, v129, 13
	v_add_co_ci_u32_e32 v149, vcc_lo, 0, v130, vcc_lo
	v_mov_b32_e32 v147, 0
	s_delay_alu instid0(VALU_DEP_2)
	v_cmp_gt_i64_e32 vcc_lo, s[16:17], v[148:149]
	v_dual_mov_b32 v148, 0 :: v_dual_mov_b32 v149, 0
	scratch_store_b32 off, v149, off offset:272 ; 4-byte Folded Spill
	s_and_saveexec_b32 s7, vcc_lo
	s_cbranch_execz .LBB84_176
; %bb.175:                              ;   in Loop: Header=BB84_145 Depth=1
	v_add_co_u32 v148, vcc_lo, v211, v127
	v_add_co_ci_u32_e32 v149, vcc_lo, v212, v128, vcc_lo
	v_add_co_u32 v150, vcc_lo, v213, v127
	v_add_co_ci_u32_e32 v151, vcc_lo, v214, v128, vcc_lo
	global_load_u16 v148, v[148:149], off
	global_load_u16 v149, v[150:151], off
	s_waitcnt vmcnt(1)
	v_cvt_f32_f16_e64 v148, v148
	s_waitcnt vmcnt(0)
	v_cvt_f32_f16_e64 v149, v149
	scratch_store_b32 off, v149, off offset:272 ; 4-byte Folded Spill
.LBB84_176:                             ;   in Loop: Header=BB84_145 Depth=1
	s_or_b32 exec_lo, exec_lo, s7
	v_add_co_u32 v149, vcc_lo, v129, 14
	v_add_co_ci_u32_e32 v150, vcc_lo, 0, v130, vcc_lo
	s_delay_alu instid0(VALU_DEP_1)
	v_cmp_gt_i64_e32 vcc_lo, s[16:17], v[149:150]
	v_mov_b32_e32 v149, 0
	scratch_store_b32 off, v149, off offset:276 ; 4-byte Folded Spill
	s_and_saveexec_b32 s7, vcc_lo
	s_cbranch_execz .LBB84_178
; %bb.177:                              ;   in Loop: Header=BB84_145 Depth=1
	v_add_co_u32 v149, vcc_lo, v207, v127
	v_add_co_ci_u32_e32 v150, vcc_lo, v208, v128, vcc_lo
	v_add_co_u32 v151, vcc_lo, v209, v127
	v_add_co_ci_u32_e32 v152, vcc_lo, v210, v128, vcc_lo
	global_load_u16 v147, v[149:150], off
	global_load_u16 v149, v[151:152], off
	s_waitcnt vmcnt(1)
	v_cvt_f32_f16_e64 v147, v147
	s_waitcnt vmcnt(0)
	v_cvt_f32_f16_e64 v149, v149
	scratch_store_b32 off, v149, off offset:276 ; 4-byte Folded Spill
.LBB84_178:                             ;   in Loop: Header=BB84_145 Depth=1
	s_or_b32 exec_lo, exec_lo, s7
	v_add_co_u32 v150, vcc_lo, v129, 15
	v_add_co_ci_u32_e32 v151, vcc_lo, 0, v130, vcc_lo
	v_mov_b32_e32 v149, 0
	s_delay_alu instid0(VALU_DEP_2)
	v_cmp_gt_i64_e32 vcc_lo, s[16:17], v[150:151]
	v_dual_mov_b32 v150, 0 :: v_dual_mov_b32 v151, 0
	;; [unrolled: 45-line block ×4, first 2 shown]
	scratch_store_b32 off, v155, off offset:292 ; 4-byte Folded Spill
	s_and_saveexec_b32 s7, vcc_lo
	s_cbranch_execz .LBB84_188
; %bb.187:                              ;   in Loop: Header=BB84_145 Depth=1
	s_clause 0x3
	scratch_load_b32 v154, off, off offset:196
	scratch_load_b32 v155, off, off offset:200
	;; [unrolled: 1-line block ×4, first 2 shown]
	s_waitcnt vmcnt(3)
	v_add_co_u32 v154, vcc_lo, v154, v127
	s_waitcnt vmcnt(2)
	v_add_co_ci_u32_e32 v155, vcc_lo, v155, v128, vcc_lo
	s_waitcnt vmcnt(1)
	v_add_co_u32 v156, vcc_lo, v156, v127
	s_waitcnt vmcnt(0)
	v_add_co_ci_u32_e32 v157, vcc_lo, v157, v128, vcc_lo
	global_load_u16 v154, v[154:155], off
	global_load_u16 v155, v[156:157], off
	s_waitcnt vmcnt(1)
	v_cvt_f32_f16_e64 v154, v154
	s_waitcnt vmcnt(0)
	v_cvt_f32_f16_e64 v155, v155
	scratch_store_b32 off, v155, off offset:292 ; 4-byte Folded Spill
.LBB84_188:                             ;   in Loop: Header=BB84_145 Depth=1
	s_or_b32 exec_lo, exec_lo, s7
	v_add_co_u32 v155, vcc_lo, v129, 20
	v_add_co_ci_u32_e32 v156, vcc_lo, 0, v130, vcc_lo
	v_mov_b32_e32 v158, 0
	s_mov_b32 s7, exec_lo
	s_delay_alu instid0(VALU_DEP_2)
	v_cmpx_gt_i64_e64 s[16:17], v[155:156]
	s_cbranch_execz .LBB84_190
; %bb.189:                              ;   in Loop: Header=BB84_145 Depth=1
	scratch_load_b32 v153, off, off offset:180 ; 4-byte Folded Reload
	s_waitcnt vmcnt(0)
	v_add_co_u32 v155, vcc_lo, v153, v127
	scratch_load_b32 v153, off, off offset:184 ; 4-byte Folded Reload
	s_waitcnt vmcnt(0)
	v_add_co_ci_u32_e32 v156, vcc_lo, v153, v128, vcc_lo
	scratch_load_b32 v153, off, off offset:188 ; 4-byte Folded Reload
	s_waitcnt vmcnt(0)
	v_add_co_u32 v157, vcc_lo, v153, v127
	scratch_load_b32 v153, off, off offset:192 ; 4-byte Folded Reload
	s_waitcnt vmcnt(0)
	v_add_co_ci_u32_e32 v158, vcc_lo, v153, v128, vcc_lo
	global_load_u16 v153, v[155:156], off
	global_load_u16 v155, v[157:158], off
	s_waitcnt vmcnt(1)
	v_cvt_f32_f16_e64 v153, v153
	s_waitcnt vmcnt(0)
	v_cvt_f32_f16_e64 v158, v155
.LBB84_190:                             ;   in Loop: Header=BB84_145 Depth=1
	s_or_b32 exec_lo, exec_lo, s7
	v_add_co_u32 v159, vcc_lo, v129, 21
	v_add_co_ci_u32_e32 v160, vcc_lo, 0, v130, vcc_lo
	v_dual_mov_b32 v156, 0 :: v_dual_mov_b32 v157, 0
	s_delay_alu instid0(VALU_DEP_2)
	v_cmp_gt_i64_e32 vcc_lo, s[16:17], v[159:160]
	v_mov_b32_e32 v159, 0
	s_and_saveexec_b32 s7, vcc_lo
	s_cbranch_execz .LBB84_192
; %bb.191:                              ;   in Loop: Header=BB84_145 Depth=1
	scratch_load_b32 v155, off, off offset:164 ; 4-byte Folded Reload
	s_waitcnt vmcnt(0)
	v_add_co_u32 v159, vcc_lo, v155, v127
	scratch_load_b32 v155, off, off offset:168 ; 4-byte Folded Reload
	s_waitcnt vmcnt(0)
	v_add_co_ci_u32_e32 v160, vcc_lo, v155, v128, vcc_lo
	scratch_load_b32 v155, off, off offset:172 ; 4-byte Folded Reload
	s_waitcnt vmcnt(0)
	v_add_co_u32 v161, vcc_lo, v155, v127
	scratch_load_b32 v155, off, off offset:176 ; 4-byte Folded Reload
	s_waitcnt vmcnt(0)
	v_add_co_ci_u32_e32 v162, vcc_lo, v155, v128, vcc_lo
	global_load_u16 v155, v[159:160], off
	global_load_u16 v159, v[161:162], off
	s_waitcnt vmcnt(1)
	v_cvt_f32_f16_e64 v157, v155
	s_waitcnt vmcnt(0)
	v_cvt_f32_f16_e64 v159, v159
.LBB84_192:                             ;   in Loop: Header=BB84_145 Depth=1
	s_or_b32 exec_lo, exec_lo, s7
	v_add_co_u32 v160, vcc_lo, v129, 22
	v_add_co_ci_u32_e32 v161, vcc_lo, 0, v130, vcc_lo
	v_mov_b32_e32 v162, 0
	s_mov_b32 s7, exec_lo
	s_delay_alu instid0(VALU_DEP_2)
	v_cmpx_gt_i64_e64 s[16:17], v[160:161]
	s_cbranch_execz .LBB84_194
; %bb.193:                              ;   in Loop: Header=BB84_145 Depth=1
	s_clause 0x3
	scratch_load_b32 v155, off, off offset:148
	scratch_load_b32 v156, off, off offset:152
	;; [unrolled: 1-line block ×4, first 2 shown]
	s_waitcnt vmcnt(3)
	v_add_co_u32 v155, vcc_lo, v155, v127
	s_waitcnt vmcnt(2)
	v_add_co_ci_u32_e32 v156, vcc_lo, v156, v128, vcc_lo
	s_waitcnt vmcnt(1)
	v_add_co_u32 v160, vcc_lo, v160, v127
	s_waitcnt vmcnt(0)
	v_add_co_ci_u32_e32 v161, vcc_lo, v161, v128, vcc_lo
	global_load_u16 v155, v[155:156], off
	global_load_u16 v160, v[160:161], off
	s_waitcnt vmcnt(1)
	v_cvt_f32_f16_e64 v156, v155
	s_waitcnt vmcnt(0)
	v_cvt_f32_f16_e64 v162, v160
.LBB84_194:                             ;   in Loop: Header=BB84_145 Depth=1
	s_or_b32 exec_lo, exec_lo, s7
	v_add_co_u32 v163, vcc_lo, v129, 23
	v_add_co_ci_u32_e32 v164, vcc_lo, 0, v130, vcc_lo
	v_dual_mov_b32 v160, 0 :: v_dual_mov_b32 v161, 0
	s_delay_alu instid0(VALU_DEP_2)
	v_cmp_gt_i64_e32 vcc_lo, s[16:17], v[163:164]
	v_mov_b32_e32 v164, 0
	s_and_saveexec_b32 s7, vcc_lo
	s_cbranch_execz .LBB84_196
; %bb.195:                              ;   in Loop: Header=BB84_145 Depth=1
	scratch_load_b32 v155, off, off offset:132 ; 4-byte Folded Reload
	s_waitcnt vmcnt(0)
	v_add_co_u32 v163, vcc_lo, v155, v127
	scratch_load_b32 v155, off, off offset:136 ; 4-byte Folded Reload
	s_waitcnt vmcnt(0)
	v_add_co_ci_u32_e32 v164, vcc_lo, v155, v128, vcc_lo
	scratch_load_b32 v155, off, off offset:140 ; 4-byte Folded Reload
	s_waitcnt vmcnt(0)
	v_add_co_u32 v165, vcc_lo, v155, v127
	scratch_load_b32 v155, off, off offset:144 ; 4-byte Folded Reload
	s_waitcnt vmcnt(0)
	v_add_co_ci_u32_e32 v166, vcc_lo, v155, v128, vcc_lo
	global_load_u16 v155, v[163:164], off
	global_load_u16 v163, v[165:166], off
	s_waitcnt vmcnt(1)
	v_cvt_f32_f16_e64 v161, v155
	s_waitcnt vmcnt(0)
	v_cvt_f32_f16_e64 v164, v163
.LBB84_196:                             ;   in Loop: Header=BB84_145 Depth=1
	s_or_b32 exec_lo, exec_lo, s7
	v_add_co_u32 v165, vcc_lo, v129, 24
	v_add_co_ci_u32_e32 v166, vcc_lo, 0, v130, vcc_lo
	s_delay_alu instid0(VALU_DEP_1)
	v_cmp_gt_i64_e32 vcc_lo, s[16:17], v[165:166]
	v_mov_b32_e32 v166, 0
	s_and_saveexec_b32 s7, vcc_lo
	s_cbranch_execz .LBB84_198
; %bb.197:                              ;   in Loop: Header=BB84_145 Depth=1
	scratch_load_b32 v155, off, off offset:116 ; 4-byte Folded Reload
	s_waitcnt vmcnt(0)
	v_add_co_u32 v165, vcc_lo, v155, v127
	scratch_load_b32 v155, off, off offset:120 ; 4-byte Folded Reload
	s_waitcnt vmcnt(0)
	v_add_co_ci_u32_e32 v166, vcc_lo, v155, v128, vcc_lo
	scratch_load_b32 v155, off, off offset:124 ; 4-byte Folded Reload
	s_waitcnt vmcnt(0)
	v_add_co_u32 v167, vcc_lo, v155, v127
	scratch_load_b32 v155, off, off offset:128 ; 4-byte Folded Reload
	s_waitcnt vmcnt(0)
	v_add_co_ci_u32_e32 v168, vcc_lo, v155, v128, vcc_lo
	global_load_u16 v155, v[165:166], off
	global_load_u16 v163, v[167:168], off
	s_waitcnt vmcnt(1)
	v_cvt_f32_f16_e64 v160, v155
	s_waitcnt vmcnt(0)
	v_cvt_f32_f16_e64 v166, v163
.LBB84_198:                             ;   in Loop: Header=BB84_145 Depth=1
	s_or_b32 exec_lo, exec_lo, s7
	v_add_co_u32 v167, vcc_lo, v129, 25
	v_add_co_ci_u32_e32 v168, vcc_lo, 0, v130, vcc_lo
	v_mov_b32_e32 v163, 0
	v_mov_b32_e32 v165, 0
	s_delay_alu instid0(VALU_DEP_3)
	v_cmp_gt_i64_e32 vcc_lo, s[16:17], v[167:168]
	v_mov_b32_e32 v167, 0
	s_and_saveexec_b32 s7, vcc_lo
	s_cbranch_execz .LBB84_200
; %bb.199:                              ;   in Loop: Header=BB84_145 Depth=1
	scratch_load_b32 v155, off, off offset:100 ; 4-byte Folded Reload
	s_waitcnt vmcnt(0)
	v_add_co_u32 v167, vcc_lo, v155, v127
	scratch_load_b32 v155, off, off offset:104 ; 4-byte Folded Reload
	s_waitcnt vmcnt(0)
	v_add_co_ci_u32_e32 v168, vcc_lo, v155, v128, vcc_lo
	scratch_load_b32 v155, off, off offset:108 ; 4-byte Folded Reload
	s_waitcnt vmcnt(0)
	v_add_co_u32 v169, vcc_lo, v155, v127
	scratch_load_b32 v155, off, off offset:112 ; 4-byte Folded Reload
	s_waitcnt vmcnt(0)
	v_add_co_ci_u32_e32 v170, vcc_lo, v155, v128, vcc_lo
	global_load_u16 v155, v[167:168], off
	global_load_u16 v167, v[169:170], off
	s_waitcnt vmcnt(1)
	v_cvt_f32_f16_e64 v165, v155
	s_waitcnt vmcnt(0)
	v_cvt_f32_f16_e64 v167, v167
.LBB84_200:                             ;   in Loop: Header=BB84_145 Depth=1
	s_or_b32 exec_lo, exec_lo, s7
	v_add_co_u32 v168, vcc_lo, v129, 26
	v_add_co_ci_u32_e32 v169, vcc_lo, 0, v130, vcc_lo
	v_mov_b32_e32 v170, 0
	s_mov_b32 s7, exec_lo
	s_delay_alu instid0(VALU_DEP_2)
	v_cmpx_gt_i64_e64 s[16:17], v[168:169]
	s_cbranch_execz .LBB84_202
; %bb.201:                              ;   in Loop: Header=BB84_145 Depth=1
	scratch_load_b32 v155, off, off offset:84 ; 4-byte Folded Reload
	s_waitcnt vmcnt(0)
	v_add_co_u32 v168, vcc_lo, v155, v127
	scratch_load_b32 v155, off, off offset:88 ; 4-byte Folded Reload
	s_waitcnt vmcnt(0)
	v_add_co_ci_u32_e32 v169, vcc_lo, v155, v128, vcc_lo
	scratch_load_b32 v155, off, off offset:92 ; 4-byte Folded Reload
	s_waitcnt vmcnt(0)
	v_add_co_u32 v170, vcc_lo, v155, v127
	scratch_load_b32 v155, off, off offset:96 ; 4-byte Folded Reload
	s_waitcnt vmcnt(0)
	v_add_co_ci_u32_e32 v171, vcc_lo, v155, v128, vcc_lo
	global_load_u16 v155, v[168:169], off
	global_load_u16 v168, v[170:171], off
	s_waitcnt vmcnt(1)
	v_cvt_f32_f16_e64 v163, v155
	s_waitcnt vmcnt(0)
	v_cvt_f32_f16_e64 v170, v168
.LBB84_202:                             ;   in Loop: Header=BB84_145 Depth=1
	s_or_b32 exec_lo, exec_lo, s7
	v_add_co_u32 v171, vcc_lo, v129, 27
	v_add_co_ci_u32_e32 v172, vcc_lo, 0, v130, vcc_lo
	v_dual_mov_b32 v168, 0 :: v_dual_mov_b32 v169, 0
	s_delay_alu instid0(VALU_DEP_2)
	v_cmp_gt_i64_e32 vcc_lo, s[16:17], v[171:172]
	v_mov_b32_e32 v171, 0
	s_and_saveexec_b32 s7, vcc_lo
	s_cbranch_execz .LBB84_204
; %bb.203:                              ;   in Loop: Header=BB84_145 Depth=1
	scratch_load_b32 v155, off, off offset:68 ; 4-byte Folded Reload
	s_waitcnt vmcnt(0)
	v_add_co_u32 v171, vcc_lo, v155, v127
	scratch_load_b32 v155, off, off offset:72 ; 4-byte Folded Reload
	s_waitcnt vmcnt(0)
	v_add_co_ci_u32_e32 v172, vcc_lo, v155, v128, vcc_lo
	scratch_load_b32 v155, off, off offset:76 ; 4-byte Folded Reload
	s_waitcnt vmcnt(0)
	v_add_co_u32 v173, vcc_lo, v155, v127
	scratch_load_b32 v155, off, off offset:80 ; 4-byte Folded Reload
	s_waitcnt vmcnt(0)
	v_add_co_ci_u32_e32 v174, vcc_lo, v155, v128, vcc_lo
	global_load_u16 v155, v[171:172], off
	global_load_u16 v171, v[173:174], off
	s_waitcnt vmcnt(1)
	v_cvt_f32_f16_e64 v169, v155
	s_waitcnt vmcnt(0)
	v_cvt_f32_f16_e64 v171, v171
.LBB84_204:                             ;   in Loop: Header=BB84_145 Depth=1
	s_or_b32 exec_lo, exec_lo, s7
	v_add_co_u32 v172, vcc_lo, v129, 28
	v_add_co_ci_u32_e32 v173, vcc_lo, 0, v130, vcc_lo
	s_delay_alu instid0(VALU_DEP_1)
	v_cmp_gt_i64_e32 vcc_lo, s[16:17], v[172:173]
	v_mov_b32_e32 v172, 0
	s_and_saveexec_b32 s7, vcc_lo
	s_cbranch_execz .LBB84_206
; %bb.205:                              ;   in Loop: Header=BB84_145 Depth=1
	scratch_load_b32 v155, off, off offset:52 ; 4-byte Folded Reload
	s_waitcnt vmcnt(0)
	v_add_co_u32 v172, vcc_lo, v155, v127
	scratch_load_b32 v155, off, off offset:56 ; 4-byte Folded Reload
	s_waitcnt vmcnt(0)
	v_add_co_ci_u32_e32 v173, vcc_lo, v155, v128, vcc_lo
	scratch_load_b32 v155, off, off offset:60 ; 4-byte Folded Reload
	s_waitcnt vmcnt(0)
	v_add_co_u32 v174, vcc_lo, v155, v127
	scratch_load_b32 v155, off, off offset:64 ; 4-byte Folded Reload
	s_waitcnt vmcnt(0)
	v_add_co_ci_u32_e32 v175, vcc_lo, v155, v128, vcc_lo
	global_load_u16 v155, v[172:173], off
	global_load_u16 v172, v[174:175], off
	s_waitcnt vmcnt(1)
	v_cvt_f32_f16_e64 v168, v155
	s_waitcnt vmcnt(0)
	v_cvt_f32_f16_e64 v172, v172
.LBB84_206:                             ;   in Loop: Header=BB84_145 Depth=1
	s_or_b32 exec_lo, exec_lo, s7
	v_add_co_u32 v174, vcc_lo, v129, 29
	v_add_co_ci_u32_e32 v175, vcc_lo, 0, v130, vcc_lo
	v_mov_b32_e32 v173, 0
	s_delay_alu instid0(VALU_DEP_2)
	v_cmp_gt_i64_e32 vcc_lo, s[16:17], v[174:175]
	v_dual_mov_b32 v174, 0 :: v_dual_mov_b32 v175, 0
	s_and_saveexec_b32 s7, vcc_lo
	s_cbranch_execz .LBB84_208
; %bb.207:                              ;   in Loop: Header=BB84_145 Depth=1
	scratch_load_b32 v155, off, off offset:36 ; 4-byte Folded Reload
	s_waitcnt vmcnt(0)
	v_add_co_u32 v174, vcc_lo, v155, v127
	scratch_load_b32 v155, off, off offset:40 ; 4-byte Folded Reload
	s_waitcnt vmcnt(0)
	v_add_co_ci_u32_e32 v175, vcc_lo, v155, v128, vcc_lo
	scratch_load_b32 v155, off, off offset:44 ; 4-byte Folded Reload
	s_waitcnt vmcnt(0)
	v_add_co_u32 v176, vcc_lo, v155, v127
	scratch_load_b32 v155, off, off offset:48 ; 4-byte Folded Reload
	s_waitcnt vmcnt(0)
	v_add_co_ci_u32_e32 v177, vcc_lo, v155, v128, vcc_lo
	global_load_u16 v155, v[174:175], off
	global_load_u16 v175, v[176:177], off
	s_waitcnt vmcnt(1)
	v_cvt_f32_f16_e64 v174, v155
	s_waitcnt vmcnt(0)
	v_cvt_f32_f16_e64 v175, v175
.LBB84_208:                             ;   in Loop: Header=BB84_145 Depth=1
	s_or_b32 exec_lo, exec_lo, s7
	v_add_co_u32 v176, vcc_lo, v129, 30
	v_add_co_ci_u32_e32 v177, vcc_lo, 0, v130, vcc_lo
	s_delay_alu instid0(VALU_DEP_1)
	v_cmp_gt_i64_e32 vcc_lo, s[16:17], v[176:177]
	v_mov_b32_e32 v176, 0
	s_and_saveexec_b32 s7, vcc_lo
	s_cbranch_execz .LBB84_210
; %bb.209:                              ;   in Loop: Header=BB84_145 Depth=1
	scratch_load_b32 v155, off, off offset:20 ; 4-byte Folded Reload
	s_waitcnt vmcnt(0)
	v_add_co_u32 v176, vcc_lo, v155, v127
	scratch_load_b32 v155, off, off offset:24 ; 4-byte Folded Reload
	s_waitcnt vmcnt(0)
	v_add_co_ci_u32_e32 v177, vcc_lo, v155, v128, vcc_lo
	scratch_load_b32 v155, off, off offset:28 ; 4-byte Folded Reload
	s_waitcnt vmcnt(0)
	v_add_co_u32 v178, vcc_lo, v155, v127
	scratch_load_b32 v155, off, off offset:32 ; 4-byte Folded Reload
	s_waitcnt vmcnt(0)
	v_add_co_ci_u32_e32 v179, vcc_lo, v155, v128, vcc_lo
	global_load_u16 v155, v[176:177], off
	global_load_u16 v176, v[178:179], off
	s_waitcnt vmcnt(1)
	v_cvt_f32_f16_e64 v173, v155
	s_waitcnt vmcnt(0)
	v_cvt_f32_f16_e64 v176, v176
.LBB84_210:                             ;   in Loop: Header=BB84_145 Depth=1
	s_or_b32 exec_lo, exec_lo, s7
	v_add_co_u32 v177, vcc_lo, v129, 31
	v_add_co_ci_u32_e32 v178, vcc_lo, 0, v130, vcc_lo
	v_mov_b32_e32 v181, v144
	v_mov_b32_e32 v155, 0
	s_mov_b32 s7, 0
	s_delay_alu instid0(VALU_DEP_3)
	v_cmp_gt_i64_e32 vcc_lo, s[16:17], v[177:178]
	v_mov_b32_e32 v177, 0
	s_and_saveexec_b32 s15, vcc_lo
	s_cbranch_execz .LBB84_212
; %bb.211:                              ;   in Loop: Header=BB84_145 Depth=1
	scratch_load_b32 v155, off, off offset:4 ; 4-byte Folded Reload
	v_mov_b32_e32 v144, v180
	s_waitcnt vmcnt(0)
	v_add_co_u32 v177, vcc_lo, v155, v127
	scratch_load_b32 v155, off, off offset:8 ; 4-byte Folded Reload
	s_waitcnt vmcnt(0)
	v_add_co_ci_u32_e32 v178, vcc_lo, v155, v128, vcc_lo
	scratch_load_b32 v155, off, off offset:12 ; 4-byte Folded Reload
	s_waitcnt vmcnt(0)
	v_add_co_u32 v179, vcc_lo, v155, v127
	scratch_load_b32 v155, off, off offset:16 ; 4-byte Folded Reload
	s_waitcnt vmcnt(0)
	v_add_co_ci_u32_e32 v180, vcc_lo, v155, v128, vcc_lo
	global_load_u16 v155, v[177:178], off
	global_load_u16 v177, v[179:180], off
	v_mov_b32_e32 v180, v144
	s_waitcnt vmcnt(1)
	v_cvt_f32_f16_e64 v155, v155
	s_waitcnt vmcnt(0)
	v_cvt_f32_f16_e64 v177, v177
.LBB84_212:                             ;   in Loop: Header=BB84_145 Depth=1
	s_or_b32 exec_lo, exec_lo, s15
	s_waitcnt vmcnt(1)
	ds_bpermute_b32 v178, v126, v146
	ds_bpermute_b32 v179, v126, v146 offset:4
	v_mov_b32_e32 v184, v180
	scratch_load_b32 v180, off, off offset:216 ; 4-byte Folded Reload
	s_waitcnt lgkmcnt(0)
	v_dual_sub_f32 v178, v188, v178 :: v_dual_sub_f32 v179, v190, v179
	v_mov_b32_e32 v188, v187
	v_mov_b32_e32 v190, v189
	s_delay_alu instid0(VALU_DEP_3)
	v_mul_f32_e32 v144, v184, v178
	s_waitcnt vmcnt(1)
	ds_bpermute_b32 v178, v126, v125
	s_waitcnt lgkmcnt(0)
	v_fma_f32 v144, v144, v178, v145
	v_mul_f32_e32 v178, v182, v179
	ds_bpermute_b32 v179, v126, v125 offset:4
	s_waitcnt lgkmcnt(0)
	v_fmac_f32_e32 v144, v178, v179
	scratch_load_b32 v179, off, off offset:228 ; 4-byte Folded Reload
	ds_bpermute_b32 v178, v126, v146 offset:8
	s_waitcnt vmcnt(0) lgkmcnt(0)
	v_sub_f32_e32 v178, v179, v178
	ds_bpermute_b32 v179, v126, v125 offset:8
	v_mul_f32_e32 v178, v181, v178
	s_waitcnt lgkmcnt(0)
	s_delay_alu instid0(VALU_DEP_1)
	v_fmac_f32_e32 v144, v178, v179
	scratch_load_b32 v179, off, off offset:232 ; 4-byte Folded Reload
	ds_bpermute_b32 v178, v126, v146 offset:12
	s_waitcnt vmcnt(0) lgkmcnt(0)
	v_sub_f32_e32 v178, v179, v178
	ds_bpermute_b32 v179, v126, v125 offset:12
	v_mul_f32_e32 v178, v180, v178
	s_waitcnt lgkmcnt(0)
	s_delay_alu instid0(VALU_DEP_1)
	;; [unrolled: 9-line block ×5, first 2 shown]
	v_fmac_f32_e32 v144, v178, v179
	scratch_load_b32 v179, off, off offset:248 ; 4-byte Folded Reload
	ds_bpermute_b32 v178, v126, v146 offset:28
	s_waitcnt vmcnt(0) lgkmcnt(0)
	v_sub_f32_e32 v178, v179, v178
	ds_bpermute_b32 v179, v126, v125 offset:28
	v_mul_f32_e32 v178, v187, v178
	scratch_load_b32 v187, off, off offset:220 ; 4-byte Folded Reload
	s_waitcnt lgkmcnt(0)
	v_fmac_f32_e32 v144, v178, v179
	scratch_load_b32 v179, off, off offset:252 ; 4-byte Folded Reload
	ds_bpermute_b32 v178, v126, v146 offset:32
	s_waitcnt vmcnt(0) lgkmcnt(0)
	v_sub_f32_e32 v178, v179, v178
	ds_bpermute_b32 v179, v126, v125 offset:32
	v_mul_f32_e32 v178, v187, v178
	s_waitcnt lgkmcnt(0)
	s_delay_alu instid0(VALU_DEP_1)
	v_fmac_f32_e32 v144, v178, v179
	scratch_load_b32 v179, off, off offset:256 ; 4-byte Folded Reload
	ds_bpermute_b32 v178, v126, v146 offset:36
	s_waitcnt vmcnt(0) lgkmcnt(0)
	v_sub_f32_e32 v178, v179, v178
	ds_bpermute_b32 v179, v126, v125 offset:36
	v_mul_f32_e32 v178, v189, v178
	scratch_load_b32 v189, off, off offset:224 ; 4-byte Folded Reload
	s_waitcnt lgkmcnt(0)
	v_fmac_f32_e32 v144, v178, v179
	scratch_load_b32 v179, off, off offset:260 ; 4-byte Folded Reload
	ds_bpermute_b32 v178, v126, v146 offset:40
	s_waitcnt vmcnt(0) lgkmcnt(0)
	v_sub_f32_e32 v178, v179, v178
	ds_bpermute_b32 v179, v126, v125 offset:40
	v_mul_f32_e32 v178, v189, v178
	s_waitcnt lgkmcnt(0)
	s_delay_alu instid0(VALU_DEP_1)
	v_fmac_f32_e32 v144, v178, v179
	scratch_load_b32 v179, off, off offset:264 ; 4-byte Folded Reload
	ds_bpermute_b32 v178, v126, v146 offset:44
	s_waitcnt vmcnt(0) lgkmcnt(0)
	v_sub_f32_e32 v178, v179, v178
	ds_bpermute_b32 v179, v126, v125 offset:44
	v_mul_f32_e32 v178, v132, v178
	s_waitcnt lgkmcnt(0)
	s_delay_alu instid0(VALU_DEP_1)
	;; [unrolled: 9-line block ×7, first 2 shown]
	v_fmac_f32_e32 v144, v178, v179
	scratch_load_b32 v179, off, off offset:296 ; 4-byte Folded Reload
	ds_bpermute_b32 v178, v126, v146 offset:68
	s_waitcnt vmcnt(0) lgkmcnt(0)
	v_sub_f32_e32 v178, v179, v178
	ds_bpermute_b32 v179, v126, v125 offset:68
	v_mul_f32_e32 v178, v152, v178
	s_waitcnt lgkmcnt(0)
	s_delay_alu instid0(VALU_DEP_1) | instskip(SKIP_4) | instid1(VALU_DEP_1)
	v_fmac_f32_e32 v144, v178, v179
	scratch_load_b32 v178, off, off offset:212 ; 4-byte Folded Reload
	ds_bpermute_b32 v179, v126, v146 offset:72
	s_waitcnt vmcnt(0)
	v_add_f32_e32 v178, v178, v184
	v_add_f32_e32 v178, v178, v182
	s_delay_alu instid0(VALU_DEP_1) | instskip(SKIP_4) | instid1(VALU_DEP_1)
	v_add_f32_e32 v178, v178, v181
	scratch_load_b32 v181, off, off offset:292 ; 4-byte Folded Reload
	v_add_f32_e32 v178, v178, v180
	scratch_load_b32 v180, off, off offset:284 ; 4-byte Folded Reload
	v_add_f32_e32 v178, v178, v183
	v_add_f32_e32 v178, v178, v186
	s_delay_alu instid0(VALU_DEP_1) | instskip(NEXT) | instid1(VALU_DEP_1)
	v_add_f32_e32 v178, v178, v185
	v_add_f32_e32 v178, v178, v188
	s_delay_alu instid0(VALU_DEP_1) | instskip(NEXT) | instid1(VALU_DEP_1)
	;; [unrolled: 3-line block ×3, first 2 shown]
	v_add_f32_e32 v178, v178, v189
	v_add_f32_e32 v132, v178, v132
	ds_bpermute_b32 v178, v126, v146 offset:76
	v_add_f32_e32 v131, v132, v131
	ds_bpermute_b32 v132, v126, v146 offset:80
	;; [unrolled: 2-line block ×6, first 2 shown]
	s_waitcnt lgkmcnt(4)
	v_sub_f32_e32 v132, v158, v132
	ds_bpermute_b32 v158, v126, v146 offset:92
	v_add_f32_e32 v131, v131, v152
	ds_bpermute_b32 v152, v126, v146 offset:100
	v_dual_mul_f32 v132, v153, v132 :: v_dual_add_f32 v131, v131, v151
	s_delay_alu instid0(VALU_DEP_1) | instskip(NEXT) | instid1(VALU_DEP_1)
	v_add_f32_e32 v131, v131, v154
	v_add_f32_e32 v131, v131, v153
	ds_bpermute_b32 v153, v126, v146 offset:104
	v_add_f32_e32 v131, v131, v157
	s_delay_alu instid0(VALU_DEP_1) | instskip(NEXT) | instid1(VALU_DEP_1)
	v_add_f32_e32 v131, v131, v156
	v_add_f32_e32 v131, v131, v161
	s_delay_alu instid0(VALU_DEP_1) | instskip(NEXT) | instid1(VALU_DEP_1)
	v_add_f32_e32 v131, v131, v160
	;; [unrolled: 3-line block ×4, first 2 shown]
	v_add_f32_e32 v131, v131, v174
	s_waitcnt vmcnt(1)
	s_delay_alu instid0(VALU_DEP_1)
	v_dual_add_f32 v131, v131, v173 :: v_dual_sub_f32 v178, v181, v178
	ds_bpermute_b32 v181, v126, v146 offset:88
	s_waitcnt vmcnt(0)
	v_sub_f32_e32 v179, v180, v179
	ds_bpermute_b32 v180, v126, v146 offset:84
	v_mul_f32_e32 v179, v151, v179
	s_waitcnt lgkmcnt(8)
	s_delay_alu instid0(VALU_DEP_1)
	v_fmac_f32_e32 v144, v179, v148
	v_mul_f32_e32 v148, v154, v178
	ds_bpermute_b32 v154, v126, v125 offset:116
	s_waitcnt lgkmcnt(8)
	v_fmac_f32_e32 v144, v148, v147
	ds_bpermute_b32 v147, v126, v125 offset:88
	ds_bpermute_b32 v148, v126, v146 offset:96
	s_waitcnt lgkmcnt(3)
	v_dual_sub_f32 v151, v159, v180 :: v_dual_fmac_f32 v144, v132, v150
	ds_bpermute_b32 v132, v126, v125 offset:92
	v_dual_mul_f32 v150, v157, v151 :: v_dual_sub_f32 v151, v162, v181
	s_delay_alu instid0(VALU_DEP_1) | instskip(SKIP_3) | instid1(VALU_DEP_1)
	v_fmac_f32_e32 v144, v150, v149
	ds_bpermute_b32 v149, v126, v125 offset:96
	v_mul_f32_e32 v150, v156, v151
	s_waitcnt lgkmcnt(3)
	v_dual_sub_f32 v151, v164, v158 :: v_dual_fmac_f32 v144, v150, v147
	ds_bpermute_b32 v147, v126, v125 offset:100
	v_mul_f32_e32 v150, v161, v151
	s_waitcnt lgkmcnt(3)
	v_sub_f32_e32 v148, v166, v148
	ds_bpermute_b32 v151, v126, v146 offset:108
	s_waitcnt lgkmcnt(3)
	v_fmac_f32_e32 v144, v150, v132
	v_mul_f32_e32 v132, v160, v148
	ds_bpermute_b32 v148, v126, v125 offset:104
	v_sub_f32_e32 v150, v167, v152
	ds_bpermute_b32 v152, v126, v146 offset:112
	s_waitcnt lgkmcnt(4)
	v_fmac_f32_e32 v144, v132, v149
	v_mul_f32_e32 v132, v165, v150
	ds_bpermute_b32 v149, v126, v125 offset:108
	v_sub_f32_e32 v150, v170, v153
	ds_bpermute_b32 v153, v126, v146 offset:116
	s_waitcnt lgkmcnt(5)
	v_fmac_f32_e32 v144, v132, v147
	ds_bpermute_b32 v132, v126, v125 offset:112
	v_mul_f32_e32 v147, v163, v150
	ds_bpermute_b32 v150, v126, v146 offset:120
	s_waitcnt lgkmcnt(6)
	v_sub_f32_e32 v151, v171, v151
	ds_bpermute_b32 v146, v126, v146 offset:124
	s_waitcnt lgkmcnt(6)
	v_dual_fmac_f32 v144, v147, v148 :: v_dual_mul_f32 v147, v169, v151
	s_waitcnt lgkmcnt(5)
	v_sub_f32_e32 v148, v172, v152
	ds_bpermute_b32 v151, v126, v125 offset:120
	ds_bpermute_b32 v125, v126, v125 offset:124
	s_waitcnt lgkmcnt(6)
	v_dual_fmac_f32 v144, v147, v149 :: v_dual_mul_f32 v147, v168, v148
	s_waitcnt lgkmcnt(5)
	v_sub_f32_e32 v148, v175, v153
	s_waitcnt lgkmcnt(4)
	s_delay_alu instid0(VALU_DEP_2) | instskip(SKIP_1) | instid1(VALU_DEP_2)
	v_fmac_f32_e32 v144, v147, v132
	s_waitcnt lgkmcnt(3)
	v_dual_mul_f32 v132, v174, v148 :: v_dual_sub_f32 v147, v176, v150
	s_waitcnt lgkmcnt(2)
	v_sub_f32_e32 v146, v177, v146
	s_delay_alu instid0(VALU_DEP_2) | instskip(NEXT) | instid1(VALU_DEP_3)
	v_fmac_f32_e32 v144, v132, v154
	v_mul_f32_e32 v132, v173, v147
	s_waitcnt lgkmcnt(1)
	s_delay_alu instid0(VALU_DEP_1) | instskip(SKIP_2) | instid1(VALU_DEP_1)
	v_fmac_f32_e32 v144, v132, v151
	v_mul_f32_e32 v132, v155, v146
	s_waitcnt lgkmcnt(0)
	v_dual_fmac_f32 v144, v132, v125 :: v_dual_add_f32 v125, v131, v155
	s_and_b32 vcc_lo, exec_lo, s7
	s_cbranch_vccnz .LBB84_214
	s_branch .LBB84_217
.LBB84_213:                             ;   in Loop: Header=BB84_145 Depth=1
                                        ; implicit-def: $vgpr125
                                        ; implicit-def: $vgpr144
	s_cbranch_execz .LBB84_217
.LBB84_214:                             ;   in Loop: Header=BB84_145 Depth=1
	s_load_b32 s7, s[4:5], 0x0
	s_waitcnt lgkmcnt(0)
	s_cmp_lt_u32 s14, s7
	s_cselect_b32 s7, 12, 18
	s_delay_alu instid0(SALU_CYCLE_1)
	s_add_u32 s24, s4, s7
	s_addc_u32 s25, s5, 0
	s_mov_b32 s7, exec_lo
	global_load_u16 v125, v126, s[24:25]
	s_clause 0x1
	scratch_load_b32 v131, off, off offset:300
	scratch_load_b32 v132, off, off offset:304
	s_waitcnt vmcnt(0)
	v_mad_u32_u24 v125, v131, v125, v132
	v_mov_b32_e32 v131, 0
	s_delay_alu instid0(VALU_DEP_2) | instskip(NEXT) | instid1(VALU_DEP_1)
	v_and_b32_e32 v125, 31, v125
	v_add_co_u32 v129, vcc_lo, v129, v125
	v_add_co_ci_u32_e32 v130, vcc_lo, 0, v130, vcc_lo
	v_mov_b32_e32 v125, 0
	s_delay_alu instid0(VALU_DEP_2)
	v_cmpx_gt_i64_e64 s[16:17], v[129:130]
	s_cbranch_execz .LBB84_216
; %bb.215:                              ;   in Loop: Header=BB84_145 Depth=1
	v_lshlrev_b64 v[129:130], 2, v[129:130]
	s_delay_alu instid0(VALU_DEP_1) | instskip(NEXT) | instid1(VALU_DEP_2)
	v_add_co_u32 v131, vcc_lo, s8, v129
	v_add_co_ci_u32_e32 v132, vcc_lo, s9, v130, vcc_lo
	v_add_co_u32 v129, vcc_lo, s10, v129
	v_add_co_ci_u32_e32 v130, vcc_lo, s11, v130, vcc_lo
	global_load_b32 v131, v[131:132], off
	global_load_b32 v125, v[129:130], off
.LBB84_216:                             ;   in Loop: Header=BB84_145 Depth=1
	s_or_b32 exec_lo, exec_lo, s7
	v_add_co_u32 v129, vcc_lo, v137, v127
	v_add_co_ci_u32_e32 v130, vcc_lo, v138, v128, vcc_lo
	s_waitcnt vmcnt(1)
	ds_bpermute_b32 v144, v126, v131 offset:4
	global_load_u16 v132, v[129:130], off
	v_add_co_u32 v129, vcc_lo, v135, v127
	v_add_co_ci_u32_e32 v130, vcc_lo, v136, v128, vcc_lo
	v_add_co_u32 v146, vcc_lo, v9, v127
	v_add_co_ci_u32_e32 v147, vcc_lo, v10, v128, vcc_lo
	global_load_u16 v129, v[129:130], off
	s_waitcnt vmcnt(1)
	v_cvt_f32_f16_e64 v130, v132
	ds_bpermute_b32 v132, v126, v131
	s_waitcnt vmcnt(0)
	v_cvt_f32_f16_e64 v129, v129
	s_waitcnt lgkmcnt(0)
	v_sub_f32_e32 v130, v130, v132
	ds_bpermute_b32 v132, v126, v125
	v_mul_f32_e32 v130, v130, v129
	s_waitcnt lgkmcnt(0)
	s_delay_alu instid0(VALU_DEP_1)
	v_fmac_f32_e32 v145, v130, v132
	global_load_u16 v130, v[146:147], off
	v_add_co_u32 v146, vcc_lo, v1, v127
	v_add_co_ci_u32_e32 v147, vcc_lo, v2, v128, vcc_lo
	global_load_u16 v132, v[146:147], off
	v_add_co_u32 v146, vcc_lo, v13, v127
	v_add_co_ci_u32_e32 v147, vcc_lo, v14, v128, vcc_lo
	s_waitcnt vmcnt(1)
	v_cvt_f32_f16_e64 v130, v130
	s_delay_alu instid0(VALU_DEP_1) | instskip(SKIP_2) | instid1(VALU_DEP_1)
	v_sub_f32_e32 v144, v130, v144
	s_waitcnt vmcnt(0)
	v_cvt_f32_f16_e64 v130, v132
	v_mul_f32_e32 v132, v144, v130
	ds_bpermute_b32 v144, v126, v125 offset:4
	s_waitcnt lgkmcnt(0)
	v_fmac_f32_e32 v145, v132, v144
	global_load_u16 v132, v[146:147], off
	v_add_co_u32 v146, vcc_lo, v3, v127
	v_add_co_ci_u32_e32 v147, vcc_lo, v4, v128, vcc_lo
	global_load_u16 v144, v[146:147], off
	ds_bpermute_b32 v146, v126, v131 offset:8
	s_waitcnt vmcnt(1)
	v_cvt_f32_f16_e64 v132, v132
	s_waitcnt lgkmcnt(0)
	s_delay_alu instid0(VALU_DEP_1) | instskip(SKIP_2) | instid1(VALU_DEP_1)
	v_sub_f32_e32 v146, v132, v146
	s_waitcnt vmcnt(0)
	v_cvt_f32_f16_e64 v132, v144
	v_mul_f32_e32 v144, v146, v132
	ds_bpermute_b32 v146, v126, v125 offset:8
	s_waitcnt lgkmcnt(0)
	v_fmac_f32_e32 v145, v144, v146
	v_add_co_u32 v146, vcc_lo, v15, v127
	v_add_co_ci_u32_e32 v147, vcc_lo, v16, v128, vcc_lo
	global_load_u16 v144, v[146:147], off
	v_add_co_u32 v146, vcc_lo, v5, v127
	v_add_co_ci_u32_e32 v147, vcc_lo, v6, v128, vcc_lo
	global_load_u16 v146, v[146:147], off
	ds_bpermute_b32 v147, v126, v131 offset:12
	s_waitcnt vmcnt(1)
	v_cvt_f32_f16_e64 v144, v144
	s_waitcnt lgkmcnt(0)
	s_delay_alu instid0(VALU_DEP_1) | instskip(SKIP_2) | instid1(VALU_DEP_1)
	v_sub_f32_e32 v147, v144, v147
	s_waitcnt vmcnt(0)
	v_cvt_f32_f16_e64 v144, v146
	v_mul_f32_e32 v146, v147, v144
	ds_bpermute_b32 v147, v126, v125 offset:12
	s_waitcnt lgkmcnt(0)
	v_fmac_f32_e32 v145, v146, v147
	v_add_co_u32 v146, vcc_lo, v17, v127
	v_add_co_ci_u32_e32 v147, vcc_lo, v18, v128, vcc_lo
	global_load_u16 v148, v[146:147], off
	v_add_co_u32 v146, vcc_lo, v7, v127
	v_add_co_ci_u32_e32 v147, vcc_lo, v8, v128, vcc_lo
	global_load_u16 v146, v[146:147], off
	s_waitcnt vmcnt(1)
	v_cvt_f32_f16_e64 v147, v148
	ds_bpermute_b32 v148, v126, v131 offset:16
	s_waitcnt vmcnt(0)
	v_cvt_f32_f16_e64 v146, v146
	s_waitcnt lgkmcnt(0)
	v_sub_f32_e32 v147, v147, v148
	ds_bpermute_b32 v148, v126, v125 offset:16
	v_mul_f32_e32 v147, v147, v146
	s_waitcnt lgkmcnt(0)
	s_delay_alu instid0(VALU_DEP_1)
	v_fmac_f32_e32 v145, v147, v148
	v_add_co_u32 v147, vcc_lo, v21, v127
	v_add_co_ci_u32_e32 v148, vcc_lo, v22, v128, vcc_lo
	global_load_u16 v149, v[147:148], off
	v_add_co_u32 v147, vcc_lo, v11, v127
	v_add_co_ci_u32_e32 v148, vcc_lo, v12, v128, vcc_lo
	global_load_u16 v147, v[147:148], off
	s_waitcnt vmcnt(1)
	v_cvt_f32_f16_e64 v148, v149
	ds_bpermute_b32 v149, v126, v131 offset:20
	s_waitcnt vmcnt(0)
	v_cvt_f32_f16_e64 v147, v147
	s_waitcnt lgkmcnt(0)
	v_sub_f32_e32 v148, v148, v149
	ds_bpermute_b32 v149, v126, v125 offset:20
	v_mul_f32_e32 v148, v148, v147
	s_waitcnt lgkmcnt(0)
	s_delay_alu instid0(VALU_DEP_1)
	;; [unrolled: 18-line block ×6, first 2 shown]
	v_fmac_f32_e32 v145, v152, v153
	v_add_co_u32 v152, vcc_lo, v39, v127
	v_add_co_ci_u32_e32 v153, vcc_lo, v40, v128, vcc_lo
	global_load_u16 v154, v[152:153], off
	v_add_co_u32 v152, vcc_lo, v37, v127
	v_add_co_ci_u32_e32 v153, vcc_lo, v38, v128, vcc_lo
	global_load_u16 v152, v[152:153], off
	s_waitcnt vmcnt(1)
	v_cvt_f32_f16_e64 v153, v154
	ds_bpermute_b32 v154, v126, v131 offset:40
	s_waitcnt lgkmcnt(0)
	v_sub_f32_e32 v153, v153, v154
	s_waitcnt vmcnt(0)
	v_cvt_f32_f16_e64 v154, v152
	s_delay_alu instid0(VALU_DEP_1)
	v_mul_f32_e32 v152, v153, v154
	ds_bpermute_b32 v153, v126, v125 offset:40
	s_waitcnt lgkmcnt(0)
	v_fmac_f32_e32 v145, v152, v153
	v_add_co_u32 v152, vcc_lo, v43, v127
	v_add_co_ci_u32_e32 v153, vcc_lo, v44, v128, vcc_lo
	global_load_u16 v155, v[152:153], off
	v_add_co_u32 v152, vcc_lo, v41, v127
	v_add_co_ci_u32_e32 v153, vcc_lo, v42, v128, vcc_lo
	global_load_u16 v152, v[152:153], off
	s_waitcnt vmcnt(1)
	v_cvt_f32_f16_e64 v153, v155
	ds_bpermute_b32 v155, v126, v131 offset:44
	s_waitcnt lgkmcnt(0)
	v_sub_f32_e32 v153, v153, v155
	s_waitcnt vmcnt(0)
	v_cvt_f32_f16_e64 v155, v152
	s_delay_alu instid0(VALU_DEP_1)
	v_mul_f32_e32 v152, v153, v155
	ds_bpermute_b32 v153, v126, v125 offset:44
	s_waitcnt lgkmcnt(0)
	;; [unrolled: 18-line block ×20, first 2 shown]
	v_fmac_f32_e32 v145, v152, v153
	v_add_co_u32 v152, vcc_lo, v119, v127
	v_add_co_ci_u32_e32 v153, vcc_lo, v120, v128, vcc_lo
	global_load_u16 v174, v[152:153], off
	v_add_co_u32 v152, vcc_lo, v117, v127
	v_add_co_ci_u32_e32 v153, vcc_lo, v118, v128, vcc_lo
	global_load_u16 v152, v[152:153], off
	s_waitcnt vmcnt(1)
	v_cvt_f32_f16_e64 v153, v174
	ds_bpermute_b32 v174, v126, v131 offset:120
	ds_bpermute_b32 v131, v126, v131 offset:124
	s_waitcnt lgkmcnt(1)
	v_sub_f32_e32 v153, v153, v174
	s_waitcnt vmcnt(0)
	v_cvt_f32_f16_e64 v174, v152
	s_delay_alu instid0(VALU_DEP_1)
	v_mul_f32_e32 v152, v153, v174
	ds_bpermute_b32 v153, v126, v125 offset:120
	ds_bpermute_b32 v125, v126, v125 offset:124
	s_waitcnt lgkmcnt(1)
	v_fmac_f32_e32 v145, v152, v153
	v_add_co_u32 v152, vcc_lo, v123, v127
	v_add_co_ci_u32_e32 v153, vcc_lo, v124, v128, vcc_lo
	global_load_u16 v175, v[152:153], off
	v_add_co_u32 v152, vcc_lo, v121, v127
	v_add_co_ci_u32_e32 v153, vcc_lo, v122, v128, vcc_lo
	global_load_u16 v152, v[152:153], off
	s_waitcnt vmcnt(1)
	v_cvt_f32_f16_e64 v153, v175
	s_delay_alu instid0(VALU_DEP_1) | instskip(SKIP_2) | instid1(VALU_DEP_1)
	v_sub_f32_e32 v131, v153, v131
	s_waitcnt vmcnt(0)
	v_cvt_f32_f16_e64 v152, v152
	v_mul_f32_e32 v131, v131, v152
	s_waitcnt lgkmcnt(0)
	s_delay_alu instid0(VALU_DEP_1) | instskip(SKIP_3) | instid1(VALU_DEP_1)
	v_fmac_f32_e32 v145, v131, v125
	scratch_load_b32 v125, off, off offset:212 ; 4-byte Folded Reload
	s_waitcnt vmcnt(0)
	v_add_f32_e32 v125, v125, v129
	v_add_f32_e32 v125, v125, v130
	s_delay_alu instid0(VALU_DEP_1) | instskip(NEXT) | instid1(VALU_DEP_1)
	v_add_f32_e32 v125, v125, v132
	v_add_f32_e32 v125, v125, v144
	v_mov_b32_e32 v144, v145
	s_delay_alu instid0(VALU_DEP_2) | instskip(NEXT) | instid1(VALU_DEP_1)
	v_add_f32_e32 v125, v125, v146
	v_add_f32_e32 v125, v125, v147
	s_delay_alu instid0(VALU_DEP_1) | instskip(NEXT) | instid1(VALU_DEP_1)
	v_add_f32_e32 v125, v125, v148
	v_add_f32_e32 v125, v125, v149
	s_delay_alu instid0(VALU_DEP_1) | instskip(NEXT) | instid1(VALU_DEP_1)
	;; [unrolled: 3-line block ×13, first 2 shown]
	v_add_f32_e32 v125, v125, v174
	v_add_f32_e32 v125, v125, v152
.LBB84_217:                             ;   in Loop: Header=BB84_145 Depth=1
	scratch_load_b32 v129, off, off         ; 4-byte Folded Reload
	v_add_co_u32 v1, vcc_lo, v1, s12
	v_add_co_ci_u32_e32 v2, vcc_lo, s13, v2, vcc_lo
	v_add_co_u32 v3, vcc_lo, v3, s12
	v_add_co_ci_u32_e32 v4, vcc_lo, s13, v4, vcc_lo
	;; [unrolled: 2-line block ×64, first 2 shown]
	s_add_u32 s22, s22, s3
	s_addc_u32 s23, s23, 0
	s_add_u32 s20, s20, s3
	v_cmp_ge_i64_e64 s7, s[22:23], s[16:17]
	s_addc_u32 s21, s21, 0
	s_waitcnt vmcnt(0)
	v_add_co_u32 v129, vcc_lo, v129, s3
	v_add_co_ci_u32_e32 v143, vcc_lo, 0, v143, vcc_lo
	scratch_store_b32 off, v129, off        ; 4-byte Folded Spill
	scratch_load_b32 v129, off, off offset:4 ; 4-byte Folded Reload
	s_waitcnt vmcnt(0)
	v_add_co_u32 v129, vcc_lo, v129, s12
	scratch_store_b32 off, v129, off offset:4 ; 4-byte Folded Spill
	scratch_load_b32 v129, off, off offset:8 ; 4-byte Folded Reload
	s_waitcnt vmcnt(0)
	v_add_co_ci_u32_e32 v129, vcc_lo, s13, v129, vcc_lo
	scratch_store_b32 off, v129, off offset:8 ; 4-byte Folded Spill
	scratch_load_b32 v129, off, off offset:12 ; 4-byte Folded Reload
	s_waitcnt vmcnt(0)
	v_add_co_u32 v129, vcc_lo, v129, s12
	scratch_store_b32 off, v129, off offset:12 ; 4-byte Folded Spill
	scratch_load_b32 v129, off, off offset:16 ; 4-byte Folded Reload
	s_waitcnt vmcnt(0)
	v_add_co_ci_u32_e32 v129, vcc_lo, s13, v129, vcc_lo
	scratch_store_b32 off, v129, off offset:16 ; 4-byte Folded Spill
	;; [unrolled: 8-line block ×25, first 2 shown]
	scratch_load_b32 v129, off, off offset:204 ; 4-byte Folded Reload
	s_waitcnt vmcnt(0)
	v_add_co_u32 v129, vcc_lo, v129, s12
	scratch_store_b32 off, v129, off offset:204 ; 4-byte Folded Spill
	scratch_load_b32 v129, off, off offset:208 ; 4-byte Folded Reload
	s_waitcnt vmcnt(0)
	v_add_co_ci_u32_e32 v129, vcc_lo, s13, v129, vcc_lo
	v_add_co_u32 v191, vcc_lo, v191, s12
	v_add_co_ci_u32_e32 v192, vcc_lo, s13, v192, vcc_lo
	v_add_co_u32 v193, vcc_lo, v193, s12
	v_add_co_ci_u32_e32 v194, vcc_lo, s13, v194, vcc_lo
	v_add_co_u32 v195, vcc_lo, v195, s12
	v_add_co_ci_u32_e32 v196, vcc_lo, s13, v196, vcc_lo
	v_add_co_u32 v197, vcc_lo, v197, s12
	v_add_co_ci_u32_e32 v198, vcc_lo, s13, v198, vcc_lo
	v_add_co_u32 v199, vcc_lo, v199, s12
	v_add_co_ci_u32_e32 v200, vcc_lo, s13, v200, vcc_lo
	v_add_co_u32 v201, vcc_lo, v201, s12
	v_add_co_ci_u32_e32 v202, vcc_lo, s13, v202, vcc_lo
	v_add_co_u32 v203, vcc_lo, v203, s12
	v_add_co_ci_u32_e32 v204, vcc_lo, s13, v204, vcc_lo
	v_add_co_u32 v205, vcc_lo, v205, s12
	v_add_co_ci_u32_e32 v206, vcc_lo, s13, v206, vcc_lo
	v_add_co_u32 v207, vcc_lo, v207, s12
	v_add_co_ci_u32_e32 v208, vcc_lo, s13, v208, vcc_lo
	v_add_co_u32 v209, vcc_lo, v209, s12
	v_add_co_ci_u32_e32 v210, vcc_lo, s13, v210, vcc_lo
	v_add_co_u32 v211, vcc_lo, v211, s12
	v_add_co_ci_u32_e32 v212, vcc_lo, s13, v212, vcc_lo
	v_add_co_u32 v213, vcc_lo, v213, s12
	v_add_co_ci_u32_e32 v214, vcc_lo, s13, v214, vcc_lo
	v_add_co_u32 v215, vcc_lo, v215, s12
	v_add_co_ci_u32_e32 v216, vcc_lo, s13, v216, vcc_lo
	v_add_co_u32 v217, vcc_lo, v217, s12
	v_add_co_ci_u32_e32 v218, vcc_lo, s13, v218, vcc_lo
	v_add_co_u32 v219, vcc_lo, v219, s12
	v_add_co_ci_u32_e32 v220, vcc_lo, s13, v220, vcc_lo
	v_add_co_u32 v221, vcc_lo, v221, s12
	v_add_co_ci_u32_e32 v222, vcc_lo, s13, v222, vcc_lo
	v_add_co_u32 v223, vcc_lo, v223, s12
	v_add_co_ci_u32_e32 v224, vcc_lo, s13, v224, vcc_lo
	v_add_co_u32 v225, vcc_lo, v225, s12
	v_add_co_ci_u32_e32 v226, vcc_lo, s13, v226, vcc_lo
	v_add_co_u32 v227, vcc_lo, v227, s12
	v_add_co_ci_u32_e32 v228, vcc_lo, s13, v228, vcc_lo
	v_add_co_u32 v229, vcc_lo, v229, s12
	v_add_co_ci_u32_e32 v230, vcc_lo, s13, v230, vcc_lo
	v_add_co_u32 v231, vcc_lo, v231, s12
	v_add_co_ci_u32_e32 v232, vcc_lo, s13, v232, vcc_lo
	v_add_co_u32 v233, vcc_lo, v233, s12
	v_add_co_ci_u32_e32 v234, vcc_lo, s13, v234, vcc_lo
	v_add_co_u32 v235, vcc_lo, v235, s12
	v_add_co_ci_u32_e32 v236, vcc_lo, s13, v236, vcc_lo
	v_add_co_u32 v237, vcc_lo, v237, s12
	v_add_co_ci_u32_e32 v238, vcc_lo, s13, v238, vcc_lo
	v_add_co_u32 v239, vcc_lo, v239, s12
	v_add_co_ci_u32_e32 v240, vcc_lo, s13, v240, vcc_lo
	v_add_co_u32 v241, vcc_lo, v241, s12
	v_add_co_ci_u32_e32 v242, vcc_lo, s13, v242, vcc_lo
	v_add_co_u32 v243, vcc_lo, v243, s12
	v_add_co_ci_u32_e32 v244, vcc_lo, s13, v244, vcc_lo
	v_add_co_u32 v245, vcc_lo, v245, s12
	v_add_co_ci_u32_e32 v246, vcc_lo, s13, v246, vcc_lo
	v_add_co_u32 v247, vcc_lo, v247, s12
	v_add_co_ci_u32_e32 v248, vcc_lo, s13, v248, vcc_lo
	v_add_co_u32 v249, vcc_lo, v249, s12
	v_add_co_ci_u32_e32 v250, vcc_lo, s13, v250, vcc_lo
	v_add_co_u32 v251, vcc_lo, v251, s12
	v_add_co_ci_u32_e32 v252, vcc_lo, s13, v252, vcc_lo
	v_add_co_u32 v253, vcc_lo, v253, s12
	v_add_co_ci_u32_e32 v254, vcc_lo, s13, v254, vcc_lo
	v_add_co_u32 v255, vcc_lo, v255, s12
	v_add_co_ci_u32_e32 v133, vcc_lo, s13, v133, vcc_lo
	v_add_co_u32 v0, vcc_lo, v0, s12
	v_add_co_ci_u32_e32 v134, vcc_lo, s13, v134, vcc_lo
	v_add_co_u32 v139, vcc_lo, v139, s12
	v_add_co_ci_u32_e32 v140, vcc_lo, s13, v140, vcc_lo
	v_add_co_u32 v141, vcc_lo, v141, s12
	v_add_co_ci_u32_e32 v142, vcc_lo, s13, v142, vcc_lo
	s_and_b32 vcc_lo, exec_lo, s7
	scratch_store_b32 off, v129, off offset:208 ; 4-byte Folded Spill
	s_cbranch_vccnz .LBB84_219
; %bb.218:                              ;   in Loop: Header=BB84_145 Depth=1
	v_mov_b32_e32 v131, v125
	v_mov_b32_e32 v145, v144
	s_branch .LBB84_145
.LBB84_219:
	scratch_load_b32 v227, off, off offset:308 ; 4-byte Folded Reload
.LBB84_220:
	s_mov_b32 s15, 0
	s_mov_b32 s3, exec_lo
	s_lshl_b64 s[4:5], s[14:15], 5
	s_waitcnt vmcnt(0)
	v_dual_mov_b32 v5, s5 :: v_dual_and_b32 v0, 0x3ff, v227
	s_delay_alu instid0(VALU_DEP_1) | instskip(NEXT) | instid1(VALU_DEP_1)
	v_or_b32_e32 v4, s4, v0
	v_cmpx_gt_i64_e64 s[18:19], v[4:5]
	s_cbranch_execz .LBB84_225
; %bb.221:
	s_clause 0x1
	s_load_b32 s3, s[0:1], 0x4c
	s_load_b128 s[4:7], s[0:1], 0x30
	v_bfe_u32 v0, v227, 10, 10
	v_mov_b32_e32 v1, 0
	s_waitcnt lgkmcnt(0)
	s_lshr_b32 s0, s3, 16
	s_cmp_eq_u64 s[4:5], 0
	s_delay_alu instid0(VALU_DEP_1) | instskip(SKIP_1) | instid1(VALU_DEP_2)
	v_mad_u64_u32 v[2:3], null, s0, s2, v[0:1]
	v_lshlrev_b64 v[0:1], 1, v[4:5]
	v_mul_lo_u32 v3, v3, s18
	s_delay_alu instid0(VALU_DEP_3)
	v_mul_lo_u32 v6, v2, s19
	s_cbranch_scc1 .LBB84_223
; %bb.222:
	v_mad_u64_u32 v[4:5], null, v2, s18, 0
	v_cvt_f16_f32_e64 v7, v144
	s_delay_alu instid0(VALU_DEP_2) | instskip(NEXT) | instid1(VALU_DEP_1)
	v_add3_u32 v5, v5, v6, v3
	v_lshlrev_b64 v[4:5], 1, v[4:5]
	s_delay_alu instid0(VALU_DEP_1) | instskip(NEXT) | instid1(VALU_DEP_2)
	v_add_co_u32 v4, vcc_lo, s4, v4
	v_add_co_ci_u32_e32 v5, vcc_lo, s5, v5, vcc_lo
	s_delay_alu instid0(VALU_DEP_2) | instskip(NEXT) | instid1(VALU_DEP_2)
	v_add_co_u32 v4, vcc_lo, v4, v0
	v_add_co_ci_u32_e32 v5, vcc_lo, v5, v1, vcc_lo
	global_store_b16 v[4:5], v7, off
.LBB84_223:
	s_cmp_eq_u64 s[6:7], 0
	s_cbranch_scc1 .LBB84_225
; %bb.224:
	v_mad_u64_u32 v[4:5], null, v2, s18, 0
	s_delay_alu instid0(VALU_DEP_1) | instskip(NEXT) | instid1(VALU_DEP_1)
	v_add3_u32 v5, v5, v6, v3
	v_lshlrev_b64 v[2:3], 1, v[4:5]
	v_cvt_f16_f32_e32 v4, v125
	s_delay_alu instid0(VALU_DEP_2) | instskip(NEXT) | instid1(VALU_DEP_3)
	v_add_co_u32 v2, vcc_lo, s6, v2
	v_add_co_ci_u32_e32 v3, vcc_lo, s7, v3, vcc_lo
	s_delay_alu instid0(VALU_DEP_2) | instskip(NEXT) | instid1(VALU_DEP_2)
	v_add_co_u32 v0, vcc_lo, v2, v0
	v_add_co_ci_u32_e32 v1, vcc_lo, v3, v1, vcc_lo
	global_store_b16 v[0:1], v4, off
.LBB84_225:
	s_endpgm
	.section	.rodata,"a",@progbits
	.p2align	6, 0x0
	.amdhsa_kernel _ZN2at6native12_GLOBAL__N_135GammaBetaBackwardCUDAKernelTemplateIN3c104HalfEfLj32ELj1ELj32ELb1ELb0ELb0EEEvllPKT_S7_PKT0_SA_PS5_SB_
		.amdhsa_group_segment_fixed_size 0
		.amdhsa_private_segment_fixed_size 316
		.amdhsa_kernarg_size 320
		.amdhsa_user_sgpr_count 14
		.amdhsa_user_sgpr_dispatch_ptr 0
		.amdhsa_user_sgpr_queue_ptr 0
		.amdhsa_user_sgpr_kernarg_segment_ptr 1
		.amdhsa_user_sgpr_dispatch_id 0
		.amdhsa_user_sgpr_private_segment_size 0
		.amdhsa_wavefront_size32 1
		.amdhsa_uses_dynamic_stack 0
		.amdhsa_enable_private_segment 1
		.amdhsa_system_sgpr_workgroup_id_x 1
		.amdhsa_system_sgpr_workgroup_id_y 1
		.amdhsa_system_sgpr_workgroup_id_z 0
		.amdhsa_system_sgpr_workgroup_info 0
		.amdhsa_system_vgpr_workitem_id 1
		.amdhsa_next_free_vgpr 256
		.amdhsa_next_free_sgpr 36
		.amdhsa_reserve_vcc 1
		.amdhsa_float_round_mode_32 0
		.amdhsa_float_round_mode_16_64 0
		.amdhsa_float_denorm_mode_32 3
		.amdhsa_float_denorm_mode_16_64 3
		.amdhsa_dx10_clamp 1
		.amdhsa_ieee_mode 1
		.amdhsa_fp16_overflow 0
		.amdhsa_workgroup_processor_mode 1
		.amdhsa_memory_ordered 1
		.amdhsa_forward_progress 0
		.amdhsa_shared_vgpr_count 0
		.amdhsa_exception_fp_ieee_invalid_op 0
		.amdhsa_exception_fp_denorm_src 0
		.amdhsa_exception_fp_ieee_div_zero 0
		.amdhsa_exception_fp_ieee_overflow 0
		.amdhsa_exception_fp_ieee_underflow 0
		.amdhsa_exception_fp_ieee_inexact 0
		.amdhsa_exception_int_div_zero 0
	.end_amdhsa_kernel
	.section	.text._ZN2at6native12_GLOBAL__N_135GammaBetaBackwardCUDAKernelTemplateIN3c104HalfEfLj32ELj1ELj32ELb1ELb0ELb0EEEvllPKT_S7_PKT0_SA_PS5_SB_,"axG",@progbits,_ZN2at6native12_GLOBAL__N_135GammaBetaBackwardCUDAKernelTemplateIN3c104HalfEfLj32ELj1ELj32ELb1ELb0ELb0EEEvllPKT_S7_PKT0_SA_PS5_SB_,comdat
.Lfunc_end84:
	.size	_ZN2at6native12_GLOBAL__N_135GammaBetaBackwardCUDAKernelTemplateIN3c104HalfEfLj32ELj1ELj32ELb1ELb0ELb0EEEvllPKT_S7_PKT0_SA_PS5_SB_, .Lfunc_end84-_ZN2at6native12_GLOBAL__N_135GammaBetaBackwardCUDAKernelTemplateIN3c104HalfEfLj32ELj1ELj32ELb1ELb0ELb0EEEvllPKT_S7_PKT0_SA_PS5_SB_
                                        ; -- End function
	.section	.AMDGPU.csdata,"",@progbits
; Kernel info:
; codeLenInByte = 30432
; NumSgprs: 38
; NumVgprs: 256
; ScratchSize: 316
; MemoryBound: 0
; FloatMode: 240
; IeeeMode: 1
; LDSByteSize: 0 bytes/workgroup (compile time only)
; SGPRBlocks: 4
; VGPRBlocks: 31
; NumSGPRsForWavesPerEU: 38
; NumVGPRsForWavesPerEU: 256
; Occupancy: 5
; WaveLimiterHint : 0
; COMPUTE_PGM_RSRC2:SCRATCH_EN: 1
; COMPUTE_PGM_RSRC2:USER_SGPR: 14
; COMPUTE_PGM_RSRC2:TRAP_HANDLER: 0
; COMPUTE_PGM_RSRC2:TGID_X_EN: 1
; COMPUTE_PGM_RSRC2:TGID_Y_EN: 1
; COMPUTE_PGM_RSRC2:TGID_Z_EN: 0
; COMPUTE_PGM_RSRC2:TIDIG_COMP_CNT: 1
	.section	.text._ZN2at6native12_GLOBAL__N_135GammaBetaBackwardCUDAKernelTemplateIN3c104HalfEfLj32ELj1ELj8ELb1ELb1ELb0EEEvllPKT_S7_PKT0_SA_PS5_SB_,"axG",@progbits,_ZN2at6native12_GLOBAL__N_135GammaBetaBackwardCUDAKernelTemplateIN3c104HalfEfLj32ELj1ELj8ELb1ELb1ELb0EEEvllPKT_S7_PKT0_SA_PS5_SB_,comdat
	.globl	_ZN2at6native12_GLOBAL__N_135GammaBetaBackwardCUDAKernelTemplateIN3c104HalfEfLj32ELj1ELj8ELb1ELb1ELb0EEEvllPKT_S7_PKT0_SA_PS5_SB_ ; -- Begin function _ZN2at6native12_GLOBAL__N_135GammaBetaBackwardCUDAKernelTemplateIN3c104HalfEfLj32ELj1ELj8ELb1ELb1ELb0EEEvllPKT_S7_PKT0_SA_PS5_SB_
	.p2align	8
	.type	_ZN2at6native12_GLOBAL__N_135GammaBetaBackwardCUDAKernelTemplateIN3c104HalfEfLj32ELj1ELj8ELb1ELb1ELb0EEEvllPKT_S7_PKT0_SA_PS5_SB_,@function
_ZN2at6native12_GLOBAL__N_135GammaBetaBackwardCUDAKernelTemplateIN3c104HalfEfLj32ELj1ELj8ELb1ELb1ELb0EEEvllPKT_S7_PKT0_SA_PS5_SB_: ; @_ZN2at6native12_GLOBAL__N_135GammaBetaBackwardCUDAKernelTemplateIN3c104HalfEfLj32ELj1ELj8ELb1ELb1ELb0EEEvllPKT_S7_PKT0_SA_PS5_SB_
; %bb.0:
	s_load_b128 s[16:19], s[0:1], 0x0
	s_mov_b32 s13, 0
	s_lshl_b32 s12, s15, 3
	v_bfe_u32 v6, v0, 10, 10
	s_mov_b32 s2, s15
	s_waitcnt lgkmcnt(0)
	v_cmp_lt_i64_e64 s3, s[12:13], s[16:17]
	s_delay_alu instid0(VALU_DEP_1)
	s_and_b32 vcc_lo, exec_lo, s3
	s_cbranch_vccnz .LBB85_2
; %bb.1:
	v_bfe_u32 v1, v0, 10, 10
	s_add_u32 s24, s0, 64
	s_addc_u32 s25, s1, 0
	s_mov_b32 s4, 0
	s_mov_b32 s3, s13
	s_branch .LBB85_3
.LBB85_2:
	s_mov_b32 s3, -1
                                        ; implicit-def: $sgpr4
                                        ; implicit-def: $sgpr24_sgpr25
                                        ; implicit-def: $vgpr1
.LBB85_3:
	s_load_b128 s[20:23], s[0:1], 0x30
	v_dual_mov_b32 v8, s4 :: v_dual_and_b32 v7, 0x3ff, v0
	v_mov_b32_e32 v5, s4
	s_and_not1_b32 vcc_lo, exec_lo, s3
	s_cbranch_vccnz .LBB85_11
; %bb.4:
	s_clause 0x2
	s_load_b32 s3, s[0:1], 0x4c
	s_load_b32 s15, s[0:1], 0x44
	s_load_b256 s[4:11], s[0:1], 0x10
	v_dual_mov_b32 v1, 0 :: v_dual_lshlrev_b32 v0, 3, v6
	s_add_u32 s24, s0, 64
	s_addc_u32 s25, s1, 0
	v_dual_mov_b32 v8, 8 :: v_dual_mov_b32 v9, 4
	s_delay_alu instid0(VALU_DEP_2) | instskip(NEXT) | instid1(VALU_DEP_1)
	v_add_co_u32 v2, s0, v0, s12
	v_add_co_ci_u32_e64 v3, null, 0, 0, s0
	v_lshl_add_u32 v0, s14, 5, v7
	s_delay_alu instid0(VALU_DEP_3) | instskip(SKIP_1) | instid1(VALU_DEP_4)
	v_mul_lo_u32 v17, s19, v2
	v_mad_u64_u32 v[4:5], null, s18, v2, 0
	v_mul_lo_u32 v18, s18, v3
	s_delay_alu instid0(VALU_DEP_4)
	v_lshlrev_b64 v[15:16], 1, v[0:1]
	v_dual_mov_b32 v10, 12 :: v_dual_mov_b32 v11, 16
	s_waitcnt lgkmcnt(0)
	s_and_b32 s0, s3, 0xffff
	s_lshl_b32 s26, s15, 3
	v_mad_u32_u24 v14, v6, s0, v7
	s_mul_i32 s1, s19, s26
	v_add3_u32 v5, v5, v18, v17
	s_mul_hi_u32 s3, s18, s26
	v_dual_mov_b32 v12, 20 :: v_dual_mov_b32 v13, 24
	v_dual_mov_b32 v14, 28 :: v_dual_and_b32 v19, 31, v14
	s_delay_alu instid0(VALU_DEP_3) | instskip(SKIP_2) | instid1(VALU_DEP_2)
	v_lshlrev_b64 v[17:18], 1, v[4:5]
	s_mov_b32 s27, 0
	s_add_i32 s31, s3, s1
	v_add_co_u32 v2, vcc_lo, v2, v19
	v_add_co_ci_u32_e32 v3, vcc_lo, 0, v3, vcc_lo
	s_delay_alu instid0(VALU_DEP_3) | instskip(SKIP_1) | instid1(VALU_DEP_3)
	v_add_co_u32 v0, vcc_lo, v17, v15
	v_cmp_gt_u32_e64 s0, 8, v19
	v_lshlrev_b64 v[4:5], 2, v[2:3]
	v_add_co_ci_u32_e32 v15, vcc_lo, v18, v16, vcc_lo
	v_dual_mov_b32 v17, 0 :: v_dual_mov_b32 v16, 0
	s_mul_i32 s30, s18, s26
	s_lshl_b64 s[28:29], s[26:27], 2
	s_lshl_b64 s[30:31], s[30:31], 1
	;; [unrolled: 1-line block ×3, first 2 shown]
	s_branch .LBB85_7
.LBB85_5:                               ;   in Loop: Header=BB85_7 Depth=1
	s_or_b32 exec_lo, exec_lo, s3
.LBB85_6:                               ;   in Loop: Header=BB85_7 Depth=1
	s_delay_alu instid0(SALU_CYCLE_1) | instskip(SKIP_4) | instid1(VALU_DEP_4)
	s_or_b32 exec_lo, exec_lo, s1
	v_add_co_u32 v20, vcc_lo, s4, v0
	v_add_co_ci_u32_e32 v21, vcc_lo, s5, v15, vcc_lo
	v_add_co_u32 v22, vcc_lo, s6, v0
	v_add_co_ci_u32_e32 v23, vcc_lo, s7, v15, vcc_lo
	v_add_co_u32 v24, vcc_lo, v20, s34
	s_delay_alu instid0(VALU_DEP_4) | instskip(NEXT) | instid1(VALU_DEP_4)
	v_add_co_ci_u32_e32 v25, vcc_lo, s35, v21, vcc_lo
	v_add_co_u32 v26, vcc_lo, v22, s34
	s_delay_alu instid0(VALU_DEP_4) | instskip(NEXT) | instid1(VALU_DEP_4)
	v_add_co_ci_u32_e32 v27, vcc_lo, s35, v23, vcc_lo
	v_add_co_u32 v28, vcc_lo, v24, s34
	s_delay_alu instid0(VALU_DEP_4)
	v_add_co_ci_u32_e32 v29, vcc_lo, s35, v25, vcc_lo
	global_load_u16 v30, v[20:21], off
	global_load_u16 v31, v[22:23], off
	;; [unrolled: 1-line block ×5, first 2 shown]
	v_add_co_u32 v20, vcc_lo, v26, s34
	v_add_co_ci_u32_e32 v21, vcc_lo, s35, v27, vcc_lo
	v_add_co_u32 v22, vcc_lo, v28, s34
	v_add_co_ci_u32_e32 v23, vcc_lo, s35, v29, vcc_lo
	s_delay_alu instid0(VALU_DEP_4) | instskip(NEXT) | instid1(VALU_DEP_4)
	v_add_co_u32 v24, vcc_lo, v20, s34
	v_add_co_ci_u32_e32 v25, vcc_lo, s35, v21, vcc_lo
	s_delay_alu instid0(VALU_DEP_4) | instskip(NEXT) | instid1(VALU_DEP_4)
	;; [unrolled: 3-line block ×3, first 2 shown]
	v_add_co_u32 v28, vcc_lo, v24, s34
	v_add_co_ci_u32_e32 v29, vcc_lo, s35, v25, vcc_lo
	global_load_u16 v35, v[20:21], off
	global_load_u16 v36, v[22:23], off
	;; [unrolled: 1-line block ×5, first 2 shown]
	v_add_co_u32 v20, vcc_lo, v26, s34
	v_add_co_ci_u32_e32 v21, vcc_lo, s35, v27, vcc_lo
	v_add_co_u32 v22, vcc_lo, v28, s34
	v_add_co_ci_u32_e32 v23, vcc_lo, s35, v29, vcc_lo
	s_delay_alu instid0(VALU_DEP_4) | instskip(NEXT) | instid1(VALU_DEP_4)
	v_add_co_u32 v24, vcc_lo, v20, s34
	v_add_co_ci_u32_e32 v25, vcc_lo, s35, v21, vcc_lo
	s_delay_alu instid0(VALU_DEP_4) | instskip(NEXT) | instid1(VALU_DEP_4)
	v_add_co_u32 v26, vcc_lo, v22, s34
	v_add_co_ci_u32_e32 v27, vcc_lo, s35, v23, vcc_lo
	global_load_u16 v28, v[20:21], off
	global_load_u16 v29, v[22:23], off
	;; [unrolled: 1-line block ×4, first 2 shown]
	v_add_co_u32 v20, vcc_lo, v26, s34
	v_add_co_ci_u32_e32 v21, vcc_lo, s35, v27, vcc_lo
	v_add_co_u32 v22, vcc_lo, v24, s34
	v_add_co_ci_u32_e32 v23, vcc_lo, s35, v25, vcc_lo
	global_load_u16 v20, v[20:21], off
	global_load_u16 v21, v[22:23], off
	s_waitcnt vmcnt(17)
	ds_bpermute_b32 v22, v1, v18
	ds_bpermute_b32 v25, v9, v18
	s_waitcnt vmcnt(16)
	ds_bpermute_b32 v23, v1, v19
	ds_bpermute_b32 v27, v8, v18
	ds_bpermute_b32 v24, v9, v19
	ds_bpermute_b32 v43, v10, v18
	ds_bpermute_b32 v26, v8, v19
	ds_bpermute_b32 v45, v11, v18
	ds_bpermute_b32 v42, v10, v19
	ds_bpermute_b32 v47, v12, v18
	ds_bpermute_b32 v44, v11, v19
	ds_bpermute_b32 v49, v13, v18
	ds_bpermute_b32 v46, v12, v19
	ds_bpermute_b32 v18, v14, v18
	ds_bpermute_b32 v48, v13, v19
	ds_bpermute_b32 v19, v14, v19
	v_add_co_u32 v4, vcc_lo, v4, s28
	s_add_u32 s12, s12, s26
	v_add_co_ci_u32_e32 v5, vcc_lo, s29, v5, vcc_lo
	s_addc_u32 s13, s13, 0
	v_add_co_u32 v2, vcc_lo, v2, s26
	v_add_co_ci_u32_e32 v3, vcc_lo, 0, v3, vcc_lo
	v_cmp_lt_i64_e64 s1, s[12:13], s[16:17]
	v_add_co_u32 v0, vcc_lo, v0, s30
	v_add_co_ci_u32_e32 v15, vcc_lo, s31, v15, vcc_lo
	s_delay_alu instid0(VALU_DEP_3)
	s_and_b32 vcc_lo, exec_lo, s1
	s_waitcnt vmcnt(15)
	v_cvt_f32_f16_e32 v30, v30
	s_waitcnt vmcnt(14)
	v_cvt_f32_f16_e32 v31, v31
	;; [unrolled: 2-line block ×3, first 2 shown]
	s_waitcnt lgkmcnt(15)
	s_delay_alu instid0(VALU_DEP_2)
	v_sub_f32_e32 v22, v31, v22
	v_cvt_f32_f16_e32 v31, v32
	s_waitcnt lgkmcnt(14)
	v_sub_f32_e32 v25, v33, v25
	s_waitcnt vmcnt(10)
	v_cvt_f32_f16_e32 v32, v35
	v_mul_f32_e32 v22, v22, v30
	v_add_f32_e32 v17, v17, v30
	v_cvt_f32_f16_e32 v30, v34
	s_waitcnt lgkmcnt(13)
	s_delay_alu instid0(VALU_DEP_3)
	v_fmac_f32_e32 v16, v22, v23
	v_mul_f32_e32 v22, v25, v31
	s_waitcnt lgkmcnt(12)
	v_sub_f32_e32 v23, v32, v27
	s_waitcnt vmcnt(8)
	v_cvt_f32_f16_e32 v25, v37
	v_add_f32_e32 v17, v17, v31
	v_cvt_f32_f16_e32 v27, v36
	s_waitcnt lgkmcnt(11)
	v_fmac_f32_e32 v16, v22, v24
	s_waitcnt lgkmcnt(10)
	v_dual_mul_f32 v22, v23, v30 :: v_dual_sub_f32 v23, v25, v43
	s_waitcnt vmcnt(6)
	v_cvt_f32_f16_e32 v24, v39
	v_add_f32_e32 v17, v17, v30
	v_cvt_f32_f16_e32 v25, v38
	s_waitcnt lgkmcnt(9)
	v_fmac_f32_e32 v16, v22, v26
	s_waitcnt lgkmcnt(8)
	v_dual_mul_f32 v22, v23, v27 :: v_dual_sub_f32 v23, v24, v45
	v_add_f32_e32 v17, v17, v27
	s_waitcnt vmcnt(4)
	v_cvt_f32_f16_e32 v24, v29
	v_cvt_f32_f16_e32 v26, v28
	s_waitcnt lgkmcnt(7)
	v_dual_fmac_f32 v16, v22, v42 :: v_dual_add_f32 v17, v17, v25
	s_waitcnt lgkmcnt(6)
	v_dual_mul_f32 v22, v23, v25 :: v_dual_sub_f32 v23, v24, v47
	s_waitcnt vmcnt(2)
	v_cvt_f32_f16_e32 v24, v41
	v_cvt_f32_f16_e32 v25, v40
	s_waitcnt lgkmcnt(5)
	v_dual_add_f32 v17, v17, v26 :: v_dual_fmac_f32 v16, v22, v44
	s_waitcnt lgkmcnt(4)
	v_dual_mul_f32 v22, v23, v26 :: v_dual_sub_f32 v23, v24, v49
	s_waitcnt vmcnt(1)
	v_cvt_f32_f16_e32 v20, v20
	s_waitcnt vmcnt(0)
	v_cvt_f32_f16_e32 v21, v21
	s_waitcnt lgkmcnt(3)
	v_dual_add_f32 v17, v17, v25 :: v_dual_fmac_f32 v16, v22, v46
	v_mul_f32_e32 v22, v23, v25
	s_waitcnt lgkmcnt(2)
	s_delay_alu instid0(VALU_DEP_2) | instskip(SKIP_1) | instid1(VALU_DEP_2)
	v_dual_sub_f32 v18, v20, v18 :: v_dual_add_f32 v17, v17, v21
	s_waitcnt lgkmcnt(1)
	v_fmac_f32_e32 v16, v22, v48
	s_delay_alu instid0(VALU_DEP_2) | instskip(SKIP_1) | instid1(VALU_DEP_1)
	v_mul_f32_e32 v18, v18, v21
	s_waitcnt lgkmcnt(0)
	v_fmac_f32_e32 v16, v18, v19
	s_cbranch_vccz .LBB85_10
.LBB85_7:                               ; =>This Inner Loop Header: Depth=1
	v_dual_mov_b32 v19, 0 :: v_dual_mov_b32 v18, 0
	s_and_saveexec_b32 s1, s0
	s_cbranch_execz .LBB85_6
; %bb.8:                                ;   in Loop: Header=BB85_7 Depth=1
	v_dual_mov_b32 v18, 0 :: v_dual_mov_b32 v19, 0
	s_mov_b32 s3, exec_lo
	v_cmpx_gt_i64_e64 s[16:17], v[2:3]
	s_cbranch_execz .LBB85_5
; %bb.9:                                ;   in Loop: Header=BB85_7 Depth=1
	v_add_co_u32 v18, vcc_lo, s8, v4
	v_add_co_ci_u32_e32 v19, vcc_lo, s9, v5, vcc_lo
	v_add_co_u32 v20, vcc_lo, s10, v4
	v_add_co_ci_u32_e32 v21, vcc_lo, s11, v5, vcc_lo
	global_load_b32 v18, v[18:19], off
	global_load_b32 v19, v[20:21], off
	s_branch .LBB85_5
.LBB85_10:
	s_delay_alu instid0(VALU_DEP_1)
	v_cvt_f16_f32_e32 v8, v16
	v_cvt_f16_f32_e32 v5, v17
	v_mov_b32_e32 v1, v6
.LBB85_11:
	s_load_b32 s0, s[24:25], 0xc
	v_mov_b32_e32 v2, 0
	s_mov_b32 s15, 0
	s_waitcnt lgkmcnt(0)
	s_lshr_b32 s0, s0, 16
	s_delay_alu instid0(VALU_DEP_1) | instid1(SALU_CYCLE_1)
	v_mad_u64_u32 v[3:4], null, s0, s2, v[1:2]
	s_lshl_b64 s[0:1], s[14:15], 5
	s_cmp_eq_u64 s[20:21], 0
	v_add_co_u32 v0, s0, s0, v7
	s_delay_alu instid0(VALU_DEP_1) | instskip(NEXT) | instid1(VALU_DEP_3)
	v_add_co_ci_u32_e64 v1, null, s1, 0, s0
	v_mul_lo_u32 v2, v4, s18
	s_delay_alu instid0(VALU_DEP_4) | instskip(NEXT) | instid1(VALU_DEP_3)
	v_mul_lo_u32 v4, v3, s19
	v_lshlrev_b64 v[0:1], 1, v[0:1]
	s_cbranch_scc1 .LBB85_13
; %bb.12:
	v_mad_u64_u32 v[6:7], null, v3, s18, 0
	s_delay_alu instid0(VALU_DEP_1) | instskip(NEXT) | instid1(VALU_DEP_1)
	v_add3_u32 v7, v7, v4, v2
	v_lshlrev_b64 v[6:7], 1, v[6:7]
	s_delay_alu instid0(VALU_DEP_1) | instskip(NEXT) | instid1(VALU_DEP_2)
	v_add_co_u32 v6, vcc_lo, s20, v6
	v_add_co_ci_u32_e32 v7, vcc_lo, s21, v7, vcc_lo
	s_delay_alu instid0(VALU_DEP_2) | instskip(NEXT) | instid1(VALU_DEP_2)
	v_add_co_u32 v6, vcc_lo, v6, v0
	v_add_co_ci_u32_e32 v7, vcc_lo, v7, v1, vcc_lo
	global_store_b16 v[6:7], v8, off
.LBB85_13:
	s_cmp_eq_u64 s[22:23], 0
	s_cbranch_scc1 .LBB85_15
; %bb.14:
	v_mad_u64_u32 v[6:7], null, v3, s18, 0
	s_delay_alu instid0(VALU_DEP_1) | instskip(NEXT) | instid1(VALU_DEP_1)
	v_add3_u32 v7, v7, v4, v2
	v_lshlrev_b64 v[2:3], 1, v[6:7]
	s_delay_alu instid0(VALU_DEP_1) | instskip(NEXT) | instid1(VALU_DEP_2)
	v_add_co_u32 v2, vcc_lo, s22, v2
	v_add_co_ci_u32_e32 v3, vcc_lo, s23, v3, vcc_lo
	s_delay_alu instid0(VALU_DEP_2) | instskip(NEXT) | instid1(VALU_DEP_2)
	v_add_co_u32 v0, vcc_lo, v2, v0
	v_add_co_ci_u32_e32 v1, vcc_lo, v3, v1, vcc_lo
	global_store_b16 v[0:1], v5, off
.LBB85_15:
	s_nop 0
	s_sendmsg sendmsg(MSG_DEALLOC_VGPRS)
	s_endpgm
	.section	.rodata,"a",@progbits
	.p2align	6, 0x0
	.amdhsa_kernel _ZN2at6native12_GLOBAL__N_135GammaBetaBackwardCUDAKernelTemplateIN3c104HalfEfLj32ELj1ELj8ELb1ELb1ELb0EEEvllPKT_S7_PKT0_SA_PS5_SB_
		.amdhsa_group_segment_fixed_size 0
		.amdhsa_private_segment_fixed_size 0
		.amdhsa_kernarg_size 320
		.amdhsa_user_sgpr_count 14
		.amdhsa_user_sgpr_dispatch_ptr 0
		.amdhsa_user_sgpr_queue_ptr 0
		.amdhsa_user_sgpr_kernarg_segment_ptr 1
		.amdhsa_user_sgpr_dispatch_id 0
		.amdhsa_user_sgpr_private_segment_size 0
		.amdhsa_wavefront_size32 1
		.amdhsa_uses_dynamic_stack 0
		.amdhsa_enable_private_segment 0
		.amdhsa_system_sgpr_workgroup_id_x 1
		.amdhsa_system_sgpr_workgroup_id_y 1
		.amdhsa_system_sgpr_workgroup_id_z 0
		.amdhsa_system_sgpr_workgroup_info 0
		.amdhsa_system_vgpr_workitem_id 1
		.amdhsa_next_free_vgpr 50
		.amdhsa_next_free_sgpr 36
		.amdhsa_reserve_vcc 1
		.amdhsa_float_round_mode_32 0
		.amdhsa_float_round_mode_16_64 0
		.amdhsa_float_denorm_mode_32 3
		.amdhsa_float_denorm_mode_16_64 3
		.amdhsa_dx10_clamp 1
		.amdhsa_ieee_mode 1
		.amdhsa_fp16_overflow 0
		.amdhsa_workgroup_processor_mode 1
		.amdhsa_memory_ordered 1
		.amdhsa_forward_progress 0
		.amdhsa_shared_vgpr_count 0
		.amdhsa_exception_fp_ieee_invalid_op 0
		.amdhsa_exception_fp_denorm_src 0
		.amdhsa_exception_fp_ieee_div_zero 0
		.amdhsa_exception_fp_ieee_overflow 0
		.amdhsa_exception_fp_ieee_underflow 0
		.amdhsa_exception_fp_ieee_inexact 0
		.amdhsa_exception_int_div_zero 0
	.end_amdhsa_kernel
	.section	.text._ZN2at6native12_GLOBAL__N_135GammaBetaBackwardCUDAKernelTemplateIN3c104HalfEfLj32ELj1ELj8ELb1ELb1ELb0EEEvllPKT_S7_PKT0_SA_PS5_SB_,"axG",@progbits,_ZN2at6native12_GLOBAL__N_135GammaBetaBackwardCUDAKernelTemplateIN3c104HalfEfLj32ELj1ELj8ELb1ELb1ELb0EEEvllPKT_S7_PKT0_SA_PS5_SB_,comdat
.Lfunc_end85:
	.size	_ZN2at6native12_GLOBAL__N_135GammaBetaBackwardCUDAKernelTemplateIN3c104HalfEfLj32ELj1ELj8ELb1ELb1ELb0EEEvllPKT_S7_PKT0_SA_PS5_SB_, .Lfunc_end85-_ZN2at6native12_GLOBAL__N_135GammaBetaBackwardCUDAKernelTemplateIN3c104HalfEfLj32ELj1ELj8ELb1ELb1ELb0EEEvllPKT_S7_PKT0_SA_PS5_SB_
                                        ; -- End function
	.section	.AMDGPU.csdata,"",@progbits
; Kernel info:
; codeLenInByte = 1620
; NumSgprs: 38
; NumVgprs: 50
; ScratchSize: 0
; MemoryBound: 0
; FloatMode: 240
; IeeeMode: 1
; LDSByteSize: 0 bytes/workgroup (compile time only)
; SGPRBlocks: 4
; VGPRBlocks: 6
; NumSGPRsForWavesPerEU: 38
; NumVGPRsForWavesPerEU: 50
; Occupancy: 16
; WaveLimiterHint : 0
; COMPUTE_PGM_RSRC2:SCRATCH_EN: 0
; COMPUTE_PGM_RSRC2:USER_SGPR: 14
; COMPUTE_PGM_RSRC2:TRAP_HANDLER: 0
; COMPUTE_PGM_RSRC2:TGID_X_EN: 1
; COMPUTE_PGM_RSRC2:TGID_Y_EN: 1
; COMPUTE_PGM_RSRC2:TGID_Z_EN: 0
; COMPUTE_PGM_RSRC2:TIDIG_COMP_CNT: 1
	.section	.text._ZN2at6native12_GLOBAL__N_135GammaBetaBackwardCUDAKernelTemplateIN3c104HalfEfLj32ELj1ELj8ELb1ELb0ELb0EEEvllPKT_S7_PKT0_SA_PS5_SB_,"axG",@progbits,_ZN2at6native12_GLOBAL__N_135GammaBetaBackwardCUDAKernelTemplateIN3c104HalfEfLj32ELj1ELj8ELb1ELb0ELb0EEEvllPKT_S7_PKT0_SA_PS5_SB_,comdat
	.globl	_ZN2at6native12_GLOBAL__N_135GammaBetaBackwardCUDAKernelTemplateIN3c104HalfEfLj32ELj1ELj8ELb1ELb0ELb0EEEvllPKT_S7_PKT0_SA_PS5_SB_ ; -- Begin function _ZN2at6native12_GLOBAL__N_135GammaBetaBackwardCUDAKernelTemplateIN3c104HalfEfLj32ELj1ELj8ELb1ELb0ELb0EEEvllPKT_S7_PKT0_SA_PS5_SB_
	.p2align	8
	.type	_ZN2at6native12_GLOBAL__N_135GammaBetaBackwardCUDAKernelTemplateIN3c104HalfEfLj32ELj1ELj8ELb1ELb0ELb0EEEvllPKT_S7_PKT0_SA_PS5_SB_,@function
_ZN2at6native12_GLOBAL__N_135GammaBetaBackwardCUDAKernelTemplateIN3c104HalfEfLj32ELj1ELj8ELb1ELb0ELb0EEEvllPKT_S7_PKT0_SA_PS5_SB_: ; @_ZN2at6native12_GLOBAL__N_135GammaBetaBackwardCUDAKernelTemplateIN3c104HalfEfLj32ELj1ELj8ELb1ELb0ELb0EEEvllPKT_S7_PKT0_SA_PS5_SB_
; %bb.0:
	s_clause 0x1
	s_load_b256 s[16:23], s[0:1], 0x0
	s_load_b128 s[36:39], s[0:1], 0x20
	s_mov_b32 s2, s15
	s_mov_b32 s5, 0
	s_lshl_b32 s12, s2, 3
	s_mov_b32 s13, s5
	s_lshl_b32 s15, s14, 5
	s_delay_alu instid0(SALU_CYCLE_1) | instskip(SKIP_3) | instid1(VALU_DEP_2)
	s_or_b32 s4, s15, 31
	s_waitcnt lgkmcnt(0)
	v_cmp_lt_i64_e64 s33, s[12:13], s[16:17]
	v_cmp_ge_i64_e64 s3, s[4:5], s[18:19]
	v_cndmask_b32_e64 v1, 0, 1, s33
	s_delay_alu instid0(VALU_DEP_2) | instskip(NEXT) | instid1(VALU_DEP_1)
	s_and_b32 vcc_lo, exec_lo, s3
	v_cmp_ne_u32_e64 s3, 1, v1
	s_cbranch_vccz .LBB86_49
; %bb.1:
	v_dual_mov_b32 v6, 0 :: v_dual_mov_b32 v61, 0
	s_delay_alu instid0(VALU_DEP_2)
	s_and_b32 vcc_lo, exec_lo, s3
	s_cbranch_vccnz .LBB86_50
; %bb.2:
	v_bfe_u32 v29, v0, 10, 10
	s_load_b32 s4, s[0:1], 0x44
	v_dual_mov_b32 v2, 0 :: v_dual_and_b32 v31, 0x3ff, v0
	s_add_u32 s6, s0, 64
	s_delay_alu instid0(VALU_DEP_2) | instskip(NEXT) | instid1(VALU_DEP_2)
	v_dual_mov_b32 v61, 0 :: v_dual_lshlrev_b32 v30, 3, v29
	v_dual_mov_b32 v32, v2 :: v_dual_add_nc_u32 v1, s15, v31
	s_addc_u32 s7, s1, 0
	s_delay_alu instid0(VALU_DEP_2) | instskip(NEXT) | instid1(VALU_DEP_1)
	v_add_co_u32 v9, s3, v30, s12
	v_add_co_ci_u32_e64 v10, null, 0, 0, s3
	s_delay_alu instid0(VALU_DEP_3) | instskip(NEXT) | instid1(VALU_DEP_3)
	v_cmp_gt_i64_e64 s3, s[18:19], v[1:2]
	v_add_co_u32 v5, vcc_lo, v9, 7
	s_delay_alu instid0(VALU_DEP_3) | instskip(SKIP_1) | instid1(VALU_DEP_3)
	v_add_co_ci_u32_e32 v3, vcc_lo, 0, v10, vcc_lo
	v_add_co_u32 v8, vcc_lo, v9, 6
	v_mul_lo_u32 v6, s19, v5
	s_delay_alu instid0(VALU_DEP_3)
	v_mul_lo_u32 v7, s18, v3
	v_mad_u64_u32 v[3:4], null, s18, v5, 0
	v_add_co_ci_u32_e32 v5, vcc_lo, 0, v10, vcc_lo
	v_lshlrev_b64 v[25:26], 1, v[1:2]
	v_mul_lo_u32 v1, s19, v8
	s_waitcnt lgkmcnt(0)
	s_lshl_b32 s40, s4, 3
	v_mov_b32_e32 v66, 0
	v_add3_u32 v4, v4, v7, v6
	v_mul_lo_u32 v7, s18, v5
	v_mad_u64_u32 v[5:6], null, s18, v8, 0
	s_mul_i32 s4, s19, s40
	s_delay_alu instid0(VALU_DEP_3) | instskip(SKIP_4) | instid1(VALU_DEP_2)
	v_lshlrev_b64 v[3:4], 1, v[3:4]
	s_mul_hi_u32 s8, s18, s40
	s_mul_i32 s10, s18, s40
	s_add_i32 s11, s8, s4
	s_mov_b32 s24, 0
	v_add3_u32 v6, v6, v7, v1
	v_add_co_u32 v33, vcc_lo, s20, v3
	v_add_co_ci_u32_e32 v34, vcc_lo, s21, v4, vcc_lo
	v_add_co_u32 v1, vcc_lo, v9, 5
	v_add_co_u32 v35, s4, s22, v3
	s_delay_alu instid0(VALU_DEP_1) | instskip(SKIP_4) | instid1(VALU_DEP_3)
	v_add_co_ci_u32_e64 v36, s4, s23, v4, s4
	v_lshlrev_b64 v[3:4], 1, v[5:6]
	v_add_co_ci_u32_e32 v5, vcc_lo, 0, v10, vcc_lo
	v_add_co_u32 v12, vcc_lo, v9, 4
	v_mul_lo_u32 v11, s19, v1
	v_mul_lo_u32 v13, s18, v5
	v_mad_u64_u32 v[5:6], null, s18, v1, 0
	v_add_co_ci_u32_e32 v7, vcc_lo, 0, v10, vcc_lo
	v_mul_lo_u32 v1, s19, v12
	v_add_co_u32 v37, vcc_lo, s20, v3
	s_delay_alu instid0(VALU_DEP_3)
	v_mul_lo_u32 v14, s18, v7
	v_mad_u64_u32 v[7:8], null, s18, v12, 0
	v_add3_u32 v6, v6, v13, v11
	v_add_co_ci_u32_e32 v38, vcc_lo, s21, v4, vcc_lo
	v_add_co_u32 v39, vcc_lo, s22, v3
	v_add_co_ci_u32_e32 v40, vcc_lo, s23, v4, vcc_lo
	s_delay_alu instid0(VALU_DEP_4) | instskip(SKIP_3) | instid1(VALU_DEP_4)
	v_lshlrev_b64 v[3:4], 1, v[5:6]
	v_add3_u32 v8, v8, v14, v1
	v_add_co_u32 v1, vcc_lo, v9, 3
	v_add_co_ci_u32_e32 v11, vcc_lo, 0, v10, vcc_lo
	v_add_co_u32 v41, vcc_lo, s20, v3
	s_delay_alu instid0(VALU_DEP_4)
	v_lshlrev_b64 v[5:6], 1, v[7:8]
	v_add_co_ci_u32_e32 v42, vcc_lo, s21, v4, vcc_lo
	v_mul_lo_u32 v12, s19, v1
	v_mul_lo_u32 v11, s18, v11
	v_mad_u64_u32 v[7:8], null, s18, v1, 0
	v_add_co_u32 v43, vcc_lo, s22, v3
	v_add_co_ci_u32_e32 v44, vcc_lo, s23, v4, vcc_lo
	v_add_co_u32 v45, vcc_lo, s20, v5
	v_add_co_ci_u32_e32 v46, vcc_lo, s21, v6, vcc_lo
	v_add_co_u32 v1, vcc_lo, v9, 2
	v_add3_u32 v8, v8, v11, v12
	v_add_co_ci_u32_e32 v11, vcc_lo, 0, v10, vcc_lo
	v_add_co_u32 v47, vcc_lo, s22, v5
	v_add_co_ci_u32_e32 v48, vcc_lo, s23, v6, vcc_lo
	v_mul_lo_u32 v12, s19, v1
	s_delay_alu instid0(VALU_DEP_4)
	v_mul_lo_u32 v11, s18, v11
	v_mad_u64_u32 v[5:6], null, s18, v1, 0
	v_lshlrev_b64 v[3:4], 1, v[7:8]
	v_mul_lo_u32 v1, s19, v9
	v_mul_lo_u32 v10, s18, v10
	v_mad_u64_u32 v[7:8], null, s18, v9, 0
	s_mov_b64 s[8:9], 7
	s_delay_alu instid0(VALU_DEP_4)
	v_add_co_u32 v49, vcc_lo, s20, v3
	v_add3_u32 v6, v6, v11, v12
	v_add_co_ci_u32_e32 v50, vcc_lo, s21, v4, vcc_lo
	v_add_co_u32 v51, vcc_lo, s22, v3
	v_add3_u32 v8, v8, v10, v1
	v_add_co_ci_u32_e32 v52, vcc_lo, s23, v4, vcc_lo
	v_lshlrev_b64 v[3:4], 1, v[5:6]
	v_add_co_u32 v5, vcc_lo, v7, s18
	s_delay_alu instid0(VALU_DEP_4) | instskip(SKIP_1) | instid1(VALU_DEP_3)
	v_add_co_ci_u32_e32 v6, vcc_lo, s19, v8, vcc_lo
	s_lshl_b64 s[10:11], s[10:11], 1
	v_add_co_u32 v53, vcc_lo, s20, v3
	s_delay_alu instid0(VALU_DEP_2) | instskip(SKIP_3) | instid1(VALU_DEP_4)
	v_lshlrev_b64 v[5:6], 1, v[5:6]
	v_add_co_ci_u32_e32 v54, vcc_lo, s21, v4, vcc_lo
	v_add_co_u32 v55, vcc_lo, s22, v3
	v_add_co_ci_u32_e32 v56, vcc_lo, s23, v4, vcc_lo
	v_add_co_u32 v57, vcc_lo, s20, v5
	v_lshlrev_b64 v[3:4], 1, v[7:8]
	v_add_co_ci_u32_e32 v58, vcc_lo, s21, v6, vcc_lo
	v_add_co_u32 v59, vcc_lo, s22, v5
	v_add_co_ci_u32_e32 v60, vcc_lo, s23, v6, vcc_lo
	s_delay_alu instid0(VALU_DEP_4)
	v_add_co_u32 v62, vcc_lo, s20, v3
	v_add_co_ci_u32_e32 v63, vcc_lo, s21, v4, vcc_lo
	v_add_co_u32 v64, vcc_lo, s22, v3
	v_add_co_ci_u32_e32 v65, vcc_lo, s23, v4, vcc_lo
	s_mov_b64 s[34:35], s[12:13]
.LBB86_3:                               ; =>This Inner Loop Header: Depth=1
	s_add_u32 s26, s12, s8
	s_addc_u32 s27, 0, s9
	v_add_co_u32 v27, vcc_lo, s12, v30
	v_cmp_ge_i64_e64 s4, s[26:27], s[16:17]
	v_add_co_ci_u32_e32 v28, vcc_lo, 0, v32, vcc_lo
	s_delay_alu instid0(VALU_DEP_2)
	s_and_b32 vcc_lo, exec_lo, s4
	s_cbranch_vccz .LBB86_25
; %bb.4:                                ;   in Loop: Header=BB86_3 Depth=1
	s_load_b32 s4, s[6:7], 0xc
	v_dual_mov_b32 v67, 0 :: v_dual_mov_b32 v68, 0
	s_waitcnt lgkmcnt(0)
	s_and_b32 s4, s4, 0xffff
	s_delay_alu instid0(SALU_CYCLE_1) | instskip(SKIP_1) | instid1(VALU_DEP_1)
	v_mad_u32_u24 v1, v29, s4, v31
	s_mov_b32 s4, exec_lo
	v_and_b32_e32 v1, 31, v1
	s_delay_alu instid0(VALU_DEP_1)
	v_cmpx_gt_u32_e32 8, v1
	s_cbranch_execz .LBB86_8
; %bb.5:                                ;   in Loop: Header=BB86_3 Depth=1
	v_add_co_u32 v3, vcc_lo, v27, v1
	v_add_co_ci_u32_e32 v4, vcc_lo, 0, v28, vcc_lo
	v_dual_mov_b32 v67, 0 :: v_dual_mov_b32 v68, 0
	s_mov_b32 s25, exec_lo
	s_delay_alu instid0(VALU_DEP_2)
	v_cmpx_gt_i64_e64 s[16:17], v[3:4]
	s_cbranch_execz .LBB86_7
; %bb.6:                                ;   in Loop: Header=BB86_3 Depth=1
	v_lshlrev_b64 v[3:4], 2, v[3:4]
	s_delay_alu instid0(VALU_DEP_1) | instskip(NEXT) | instid1(VALU_DEP_2)
	v_add_co_u32 v5, vcc_lo, s36, v3
	v_add_co_ci_u32_e32 v6, vcc_lo, s37, v4, vcc_lo
	v_add_co_u32 v3, vcc_lo, s38, v3
	v_add_co_ci_u32_e32 v4, vcc_lo, s39, v4, vcc_lo
	global_load_b32 v67, v[5:6], off
	global_load_b32 v68, v[3:4], off
.LBB86_7:                               ;   in Loop: Header=BB86_3 Depth=1
	s_or_b32 exec_lo, exec_lo, s25
.LBB86_8:                               ;   in Loop: Header=BB86_3 Depth=1
	s_delay_alu instid0(SALU_CYCLE_1)
	s_or_b32 exec_lo, exec_lo, s4
	s_mov_b32 s30, s24
	s_mov_b32 s31, s24
	;; [unrolled: 1-line block ×7, first 2 shown]
	v_dual_mov_b32 v9, s24 :: v_dual_mov_b32 v10, s25
	v_dual_mov_b32 v15, s30 :: v_dual_mov_b32 v16, s31
	;; [unrolled: 1-line block ×4, first 2 shown]
	v_cmp_gt_i64_e32 vcc_lo, s[16:17], v[27:28]
	s_delay_alu instid0(VALU_DEP_4) | instskip(NEXT) | instid1(VALU_DEP_3)
	v_dual_mov_b32 v24, v16 :: v_dual_mov_b32 v23, v15
	v_dual_mov_b32 v21, v13 :: v_dual_mov_b32 v22, v14
	;; [unrolled: 1-line block ×4, first 2 shown]
	s_and_b32 s25, s3, vcc_lo
	s_delay_alu instid0(SALU_CYCLE_1)
	s_and_saveexec_b32 s4, s25
	s_cbranch_execz .LBB86_10
; %bb.9:                                ;   in Loop: Header=BB86_3 Depth=1
	v_add_co_u32 v3, vcc_lo, v62, v25
	v_add_co_ci_u32_e32 v4, vcc_lo, v63, v26, vcc_lo
	v_add_co_u32 v5, vcc_lo, v64, v25
	v_add_co_ci_u32_e32 v6, vcc_lo, v65, v26, vcc_lo
	v_mov_b32_e32 v8, v2
	global_load_u16 v1, v[3:4], off
	global_load_u16 v9, v[5:6], off
	v_mov_b32_e32 v3, v2
	v_mov_b32_e32 v4, v2
	;; [unrolled: 1-line block ×6, first 2 shown]
	s_waitcnt vmcnt(1)
	v_cvt_f32_f16_e32 v1, v1
	v_dual_mov_b32 v11, v2 :: v_dual_mov_b32 v24, v8
	v_dual_mov_b32 v10, v2 :: v_dual_mov_b32 v23, v7
	s_waitcnt vmcnt(0)
	v_cvt_f32_f16_e32 v9, v9
	v_dual_mov_b32 v12, v2 :: v_dual_mov_b32 v21, v5
	v_dual_mov_b32 v13, v2 :: v_dual_mov_b32 v20, v4
	;; [unrolled: 1-line block ×4, first 2 shown]
	v_mov_b32_e32 v22, v6
	v_mov_b32_e32 v18, v2
.LBB86_10:                              ;   in Loop: Header=BB86_3 Depth=1
	s_or_b32 exec_lo, exec_lo, s4
	v_add_co_u32 v3, vcc_lo, v27, 1
	v_add_co_ci_u32_e32 v4, vcc_lo, 0, v28, vcc_lo
	s_delay_alu instid0(VALU_DEP_1) | instskip(SKIP_1) | instid1(SALU_CYCLE_1)
	v_cmp_gt_i64_e32 vcc_lo, s[16:17], v[3:4]
	s_and_b32 s25, s3, vcc_lo
	s_and_saveexec_b32 s4, s25
	s_cbranch_execz .LBB86_12
; %bb.11:                               ;   in Loop: Header=BB86_3 Depth=1
	v_add_co_u32 v3, vcc_lo, v57, v25
	v_add_co_ci_u32_e32 v4, vcc_lo, v58, v26, vcc_lo
	v_add_co_u32 v5, vcc_lo, v59, v25
	v_add_co_ci_u32_e32 v6, vcc_lo, v60, v26, vcc_lo
	global_load_u16 v1, v[3:4], off
	global_load_u16 v3, v[5:6], off
	s_waitcnt vmcnt(1)
	v_cvt_f32_f16_e32 v18, v1
	s_waitcnt vmcnt(0)
	v_cvt_f32_f16_e32 v10, v3
.LBB86_12:                              ;   in Loop: Header=BB86_3 Depth=1
	s_or_b32 exec_lo, exec_lo, s4
	v_add_co_u32 v3, vcc_lo, v27, 2
	v_add_co_ci_u32_e32 v4, vcc_lo, 0, v28, vcc_lo
	s_delay_alu instid0(VALU_DEP_1) | instskip(SKIP_1) | instid1(SALU_CYCLE_1)
	v_cmp_gt_i64_e32 vcc_lo, s[16:17], v[3:4]
	s_and_b32 s25, s3, vcc_lo
	s_and_saveexec_b32 s4, s25
	s_cbranch_execz .LBB86_14
; %bb.13:                               ;   in Loop: Header=BB86_3 Depth=1
	v_add_co_u32 v3, vcc_lo, v53, v25
	v_add_co_ci_u32_e32 v4, vcc_lo, v54, v26, vcc_lo
	v_add_co_u32 v5, vcc_lo, v55, v25
	v_add_co_ci_u32_e32 v6, vcc_lo, v56, v26, vcc_lo
	global_load_u16 v1, v[3:4], off
	global_load_u16 v3, v[5:6], off
	s_waitcnt vmcnt(1)
	v_cvt_f32_f16_e32 v19, v1
	s_waitcnt vmcnt(0)
	v_cvt_f32_f16_e32 v11, v3
.LBB86_14:                              ;   in Loop: Header=BB86_3 Depth=1
	;; [unrolled: 20-line block ×7, first 2 shown]
	s_or_b32 exec_lo, exec_lo, s4
	s_waitcnt vmcnt(1)
	ds_bpermute_b32 v1, v2, v67
	ds_bpermute_b32 v3, v2, v67 offset:4
	ds_bpermute_b32 v4, v2, v67 offset:8
	s_waitcnt vmcnt(0)
	ds_bpermute_b32 v5, v2, v68
	ds_bpermute_b32 v7, v2, v67 offset:12
	ds_bpermute_b32 v8, v2, v68 offset:4
	;; [unrolled: 1-line block ×6, first 2 shown]
	s_waitcnt lgkmcnt(9)
	v_sub_f32_e32 v1, v9, v1
	s_waitcnt lgkmcnt(7)
	v_dual_sub_f32 v3, v10, v3 :: v_dual_sub_f32 v4, v11, v4
	v_add_f32_e32 v9, v61, v17
	ds_bpermute_b32 v10, v2, v68 offset:16
	ds_bpermute_b32 v11, v2, v68 offset:24
	v_dual_mul_f32 v4, v19, v4 :: v_dual_mul_f32 v3, v18, v3
	v_mul_f32_e32 v1, v17, v1
	ds_bpermute_b32 v17, v2, v67 offset:24
	s_waitcnt lgkmcnt(9)
	v_fma_f32 v6, v1, v5, v66
	ds_bpermute_b32 v5, v2, v68 offset:20
	ds_bpermute_b32 v1, v2, v68 offset:28
	s_waitcnt lgkmcnt(9)
	v_fmac_f32_e32 v6, v3, v8
	s_waitcnt lgkmcnt(8)
	v_dual_sub_f32 v8, v13, v69 :: v_dual_sub_f32 v7, v12, v7
	s_waitcnt lgkmcnt(7)
	s_delay_alu instid0(VALU_DEP_2) | instskip(NEXT) | instid1(VALU_DEP_2)
	v_fmac_f32_e32 v6, v4, v70
	v_dual_mul_f32 v8, v21, v8 :: v_dual_mul_f32 v7, v20, v7
	v_add_f32_e32 v3, v18, v9
	s_waitcnt lgkmcnt(5)
	s_delay_alu instid0(VALU_DEP_2) | instskip(NEXT) | instid1(VALU_DEP_2)
	v_dual_sub_f32 v9, v14, v72 :: v_dual_fmac_f32 v6, v7, v71
	v_add_f32_e32 v4, v19, v3
	ds_bpermute_b32 v3, v2, v67 offset:28
	s_waitcnt lgkmcnt(3)
	v_sub_f32_e32 v7, v15, v17
	v_dual_mul_f32 v9, v22, v9 :: v_dual_fmac_f32 v6, v8, v10
	s_delay_alu instid0(VALU_DEP_2) | instskip(SKIP_1) | instid1(VALU_DEP_2)
	v_dual_add_f32 v4, v20, v4 :: v_dual_mul_f32 v7, v23, v7
	s_waitcnt lgkmcnt(2)
	v_fmac_f32_e32 v6, v9, v5
	s_delay_alu instid0(VALU_DEP_2) | instskip(NEXT) | instid1(VALU_DEP_2)
	v_add_f32_e32 v4, v21, v4
	v_fmac_f32_e32 v6, v7, v11
	s_delay_alu instid0(VALU_DEP_2) | instskip(NEXT) | instid1(VALU_DEP_1)
	v_add_f32_e32 v4, v22, v4
	v_add_f32_e32 v4, v23, v4
	s_branch .LBB86_40
.LBB86_25:                              ;   in Loop: Header=BB86_3 Depth=1
                                        ; implicit-def: $vgpr1
                                        ; implicit-def: $vgpr9_vgpr10_vgpr11_vgpr12_vgpr13_vgpr14_vgpr15_vgpr16
                                        ; implicit-def: $vgpr17_vgpr18_vgpr19_vgpr20_vgpr21_vgpr22_vgpr23_vgpr24
                                        ; implicit-def: $vgpr3
                                        ; implicit-def: $vgpr6
                                        ; implicit-def: $vgpr4
	s_cbranch_execz .LBB86_40
; %bb.26:                               ;   in Loop: Header=BB86_3 Depth=1
	s_load_b32 s4, s[6:7], 0x0
	v_dual_mov_b32 v67, 0 :: v_dual_mov_b32 v68, 0
	s_waitcnt lgkmcnt(0)
	s_cmp_lt_u32 s14, s4
	s_cselect_b32 s4, 12, 18
	s_delay_alu instid0(SALU_CYCLE_1)
	s_add_u32 s26, s6, s4
	s_addc_u32 s27, s7, 0
	s_mov_b32 s4, exec_lo
	global_load_u16 v1, v2, s[26:27]
	s_waitcnt vmcnt(0)
	v_mad_u32_u24 v1, v29, v1, v31
	s_delay_alu instid0(VALU_DEP_1) | instskip(NEXT) | instid1(VALU_DEP_1)
	v_and_b32_e32 v1, 31, v1
	v_cmpx_gt_u32_e32 8, v1
	s_cbranch_execz .LBB86_30
; %bb.27:                               ;   in Loop: Header=BB86_3 Depth=1
	v_add_co_u32 v3, vcc_lo, v27, v1
	v_add_co_ci_u32_e32 v4, vcc_lo, 0, v28, vcc_lo
	v_dual_mov_b32 v67, 0 :: v_dual_mov_b32 v68, 0
	s_mov_b32 s25, exec_lo
	s_delay_alu instid0(VALU_DEP_2)
	v_cmpx_gt_i64_e64 s[16:17], v[3:4]
	s_cbranch_execz .LBB86_29
; %bb.28:                               ;   in Loop: Header=BB86_3 Depth=1
	v_lshlrev_b64 v[3:4], 2, v[3:4]
	s_delay_alu instid0(VALU_DEP_1) | instskip(NEXT) | instid1(VALU_DEP_2)
	v_add_co_u32 v5, vcc_lo, s36, v3
	v_add_co_ci_u32_e32 v6, vcc_lo, s37, v4, vcc_lo
	v_add_co_u32 v3, vcc_lo, s38, v3
	v_add_co_ci_u32_e32 v4, vcc_lo, s39, v4, vcc_lo
	global_load_b32 v67, v[5:6], off
	global_load_b32 v68, v[3:4], off
.LBB86_29:                              ;   in Loop: Header=BB86_3 Depth=1
	s_or_b32 exec_lo, exec_lo, s25
.LBB86_30:                              ;   in Loop: Header=BB86_3 Depth=1
	s_delay_alu instid0(SALU_CYCLE_1)
	s_or_b32 exec_lo, exec_lo, s4
	s_mov_b32 s30, s24
	s_mov_b32 s31, s24
	;; [unrolled: 1-line block ×7, first 2 shown]
	v_dual_mov_b32 v9, s24 :: v_dual_mov_b32 v10, s25
	v_dual_mov_b32 v15, s30 :: v_dual_mov_b32 v16, s31
	;; [unrolled: 1-line block ×4, first 2 shown]
	s_delay_alu instid0(VALU_DEP_3) | instskip(NEXT) | instid1(VALU_DEP_3)
	v_dual_mov_b32 v24, v16 :: v_dual_mov_b32 v23, v15
	v_dual_mov_b32 v20, v12 :: v_dual_mov_b32 v19, v11
	s_delay_alu instid0(VALU_DEP_3)
	v_dual_mov_b32 v22, v14 :: v_dual_mov_b32 v21, v13
	v_dual_mov_b32 v18, v10 :: v_dual_mov_b32 v17, v9
	s_and_saveexec_b32 s4, s3
	s_cbranch_execnz .LBB86_42
; %bb.31:                               ;   in Loop: Header=BB86_3 Depth=1
	s_or_b32 exec_lo, exec_lo, s4
	s_and_saveexec_b32 s4, s3
	s_cbranch_execnz .LBB86_43
.LBB86_32:                              ;   in Loop: Header=BB86_3 Depth=1
	s_or_b32 exec_lo, exec_lo, s4
	s_and_saveexec_b32 s4, s3
	s_cbranch_execnz .LBB86_44
.LBB86_33:                              ;   in Loop: Header=BB86_3 Depth=1
	s_or_b32 exec_lo, exec_lo, s4
	s_and_saveexec_b32 s4, s3
	s_cbranch_execnz .LBB86_45
.LBB86_34:                              ;   in Loop: Header=BB86_3 Depth=1
	s_or_b32 exec_lo, exec_lo, s4
	s_and_saveexec_b32 s4, s3
	s_cbranch_execnz .LBB86_46
.LBB86_35:                              ;   in Loop: Header=BB86_3 Depth=1
	s_or_b32 exec_lo, exec_lo, s4
	s_and_saveexec_b32 s4, s3
	s_cbranch_execnz .LBB86_47
.LBB86_36:                              ;   in Loop: Header=BB86_3 Depth=1
	s_or_b32 exec_lo, exec_lo, s4
	s_and_saveexec_b32 s4, s3
	s_cbranch_execnz .LBB86_48
.LBB86_37:                              ;   in Loop: Header=BB86_3 Depth=1
	s_or_b32 exec_lo, exec_lo, s4
	s_and_saveexec_b32 s4, s3
	s_cbranch_execz .LBB86_39
.LBB86_38:                              ;   in Loop: Header=BB86_3 Depth=1
	v_add_co_u32 v3, vcc_lo, v33, v25
	v_add_co_ci_u32_e32 v4, vcc_lo, v34, v26, vcc_lo
	v_add_co_u32 v5, vcc_lo, v35, v25
	v_add_co_ci_u32_e32 v6, vcc_lo, v36, v26, vcc_lo
	global_load_u16 v1, v[3:4], off
	global_load_u16 v3, v[5:6], off
	s_waitcnt vmcnt(1)
	v_cvt_f32_f16_e32 v24, v1
	s_waitcnt vmcnt(0)
	v_cvt_f32_f16_e32 v16, v3
.LBB86_39:                              ;   in Loop: Header=BB86_3 Depth=1
	s_or_b32 exec_lo, exec_lo, s4
	s_waitcnt vmcnt(1)
	ds_bpermute_b32 v1, v2, v67
	ds_bpermute_b32 v3, v2, v67 offset:4
	ds_bpermute_b32 v4, v2, v67 offset:8
	s_waitcnt vmcnt(0)
	ds_bpermute_b32 v5, v2, v68
	ds_bpermute_b32 v6, v2, v67 offset:12
	ds_bpermute_b32 v7, v2, v68 offset:4
	;; [unrolled: 1-line block ×5, first 2 shown]
	s_waitcnt lgkmcnt(8)
	v_sub_f32_e32 v1, v9, v1
	s_waitcnt lgkmcnt(7)
	v_dual_sub_f32 v3, v10, v3 :: v_dual_add_f32 v10, v61, v17
	s_waitcnt lgkmcnt(6)
	v_sub_f32_e32 v4, v11, v4
	ds_bpermute_b32 v9, v2, v68 offset:12
	v_mul_f32_e32 v1, v17, v1
	ds_bpermute_b32 v17, v2, v68 offset:16
	ds_bpermute_b32 v11, v2, v68 offset:20
	v_dual_mul_f32 v4, v19, v4 :: v_dual_mul_f32 v3, v18, v3
	s_waitcnt lgkmcnt(8)
	v_fmac_f32_e32 v66, v1, v5
	ds_bpermute_b32 v5, v2, v67 offset:24
	s_waitcnt lgkmcnt(6)
	v_dual_sub_f32 v1, v12, v6 :: v_dual_sub_f32 v6, v13, v8
	s_waitcnt lgkmcnt(4)
	v_sub_f32_e32 v8, v14, v28
	v_dual_fmac_f32 v66, v3, v7 :: v_dual_add_f32 v3, v18, v10
	s_delay_alu instid0(VALU_DEP_3) | instskip(NEXT) | instid1(VALU_DEP_2)
	v_dual_mul_f32 v1, v20, v1 :: v_dual_mul_f32 v6, v21, v6
	v_fmac_f32_e32 v66, v4, v27
	ds_bpermute_b32 v4, v2, v68 offset:24
	v_add_f32_e32 v7, v19, v3
	ds_bpermute_b32 v3, v2, v67 offset:28
	v_add_f32_e32 v7, v20, v7
	s_waitcnt lgkmcnt(2)
	v_sub_f32_e32 v5, v15, v5
	v_fmac_f32_e32 v66, v1, v9
	v_mul_f32_e32 v8, v22, v8
	ds_bpermute_b32 v1, v2, v68 offset:28
	v_mul_f32_e32 v5, v23, v5
	v_fmac_f32_e32 v66, v6, v17
	v_add_f32_e32 v6, v21, v7
	s_delay_alu instid0(VALU_DEP_2) | instskip(NEXT) | instid1(VALU_DEP_2)
	v_fmac_f32_e32 v66, v8, v11
	v_add_f32_e32 v6, v22, v6
	s_waitcnt lgkmcnt(2)
	s_delay_alu instid0(VALU_DEP_2) | instskip(NEXT) | instid1(VALU_DEP_2)
	v_fmac_f32_e32 v66, v5, v4
	v_add_f32_e32 v4, v23, v6
	s_delay_alu instid0(VALU_DEP_2)
	v_mov_b32_e32 v6, v66
.LBB86_40:                              ;   in Loop: Header=BB86_3 Depth=1
	v_add_co_u32 v33, vcc_lo, v33, s10
	v_add_co_ci_u32_e32 v34, vcc_lo, s11, v34, vcc_lo
	v_add_co_u32 v35, vcc_lo, v35, s10
	v_add_co_ci_u32_e32 v36, vcc_lo, s11, v36, vcc_lo
	;; [unrolled: 2-line block ×13, first 2 shown]
	v_add_co_u32 v59, vcc_lo, v59, s10
	s_waitcnt lgkmcnt(0)
	v_sub_f32_e32 v3, v16, v3
	v_add_co_ci_u32_e32 v60, vcc_lo, s11, v60, vcc_lo
	v_add_co_u32 v30, vcc_lo, v30, s40
	s_add_u32 s34, s34, s40
	v_add_co_ci_u32_e32 v32, vcc_lo, 0, v32, vcc_lo
	v_mul_f32_e32 v3, v24, v3
	s_addc_u32 s35, s35, 0
	v_add_co_u32 v62, vcc_lo, v62, s10
	v_add_co_ci_u32_e32 v63, vcc_lo, s11, v63, vcc_lo
	v_cmp_lt_i64_e64 s4, s[34:35], s[16:17]
	v_add_co_u32 v64, vcc_lo, v64, s10
	v_dual_add_f32 v61, v4, v24 :: v_dual_fmac_f32 v6, v3, v1
	v_add_co_ci_u32_e32 v65, vcc_lo, s11, v65, vcc_lo
	s_add_u32 s8, s8, s40
	s_addc_u32 s9, s9, 0
	s_and_b32 vcc_lo, exec_lo, s4
	s_cbranch_vccz .LBB86_50
; %bb.41:                               ;   in Loop: Header=BB86_3 Depth=1
	v_mov_b32_e32 v66, v6
	s_branch .LBB86_3
.LBB86_42:                              ;   in Loop: Header=BB86_3 Depth=1
	v_add_co_u32 v3, vcc_lo, v62, v25
	v_add_co_ci_u32_e32 v4, vcc_lo, v63, v26, vcc_lo
	v_add_co_u32 v5, vcc_lo, v64, v25
	v_add_co_ci_u32_e32 v6, vcc_lo, v65, v26, vcc_lo
	v_mov_b32_e32 v8, v2
	global_load_u16 v1, v[3:4], off
	global_load_u16 v9, v[5:6], off
	v_mov_b32_e32 v3, v2
	v_mov_b32_e32 v4, v2
	;; [unrolled: 1-line block ×6, first 2 shown]
	s_waitcnt vmcnt(1)
	v_cvt_f32_f16_e32 v1, v1
	v_dual_mov_b32 v11, v2 :: v_dual_mov_b32 v24, v8
	v_dual_mov_b32 v10, v2 :: v_dual_mov_b32 v23, v7
	s_waitcnt vmcnt(0)
	v_cvt_f32_f16_e32 v9, v9
	v_dual_mov_b32 v12, v2 :: v_dual_mov_b32 v21, v5
	v_dual_mov_b32 v13, v2 :: v_dual_mov_b32 v20, v4
	;; [unrolled: 1-line block ×4, first 2 shown]
	v_mov_b32_e32 v22, v6
	v_mov_b32_e32 v18, v2
	s_or_b32 exec_lo, exec_lo, s4
	s_and_saveexec_b32 s4, s3
	s_cbranch_execz .LBB86_32
.LBB86_43:                              ;   in Loop: Header=BB86_3 Depth=1
	v_add_co_u32 v3, vcc_lo, v57, v25
	v_add_co_ci_u32_e32 v4, vcc_lo, v58, v26, vcc_lo
	v_add_co_u32 v5, vcc_lo, v59, v25
	v_add_co_ci_u32_e32 v6, vcc_lo, v60, v26, vcc_lo
	global_load_u16 v1, v[3:4], off
	global_load_u16 v3, v[5:6], off
	s_waitcnt vmcnt(1)
	v_cvt_f32_f16_e32 v18, v1
	s_waitcnt vmcnt(0)
	v_cvt_f32_f16_e32 v10, v3
	s_or_b32 exec_lo, exec_lo, s4
	s_and_saveexec_b32 s4, s3
	s_cbranch_execz .LBB86_33
.LBB86_44:                              ;   in Loop: Header=BB86_3 Depth=1
	v_add_co_u32 v3, vcc_lo, v53, v25
	v_add_co_ci_u32_e32 v4, vcc_lo, v54, v26, vcc_lo
	v_add_co_u32 v5, vcc_lo, v55, v25
	v_add_co_ci_u32_e32 v6, vcc_lo, v56, v26, vcc_lo
	global_load_u16 v1, v[3:4], off
	global_load_u16 v3, v[5:6], off
	s_waitcnt vmcnt(1)
	v_cvt_f32_f16_e32 v19, v1
	s_waitcnt vmcnt(0)
	v_cvt_f32_f16_e32 v11, v3
	s_or_b32 exec_lo, exec_lo, s4
	s_and_saveexec_b32 s4, s3
	s_cbranch_execz .LBB86_34
.LBB86_45:                              ;   in Loop: Header=BB86_3 Depth=1
	v_add_co_u32 v3, vcc_lo, v49, v25
	v_add_co_ci_u32_e32 v4, vcc_lo, v50, v26, vcc_lo
	v_add_co_u32 v5, vcc_lo, v51, v25
	v_add_co_ci_u32_e32 v6, vcc_lo, v52, v26, vcc_lo
	global_load_u16 v1, v[3:4], off
	global_load_u16 v3, v[5:6], off
	s_waitcnt vmcnt(1)
	v_cvt_f32_f16_e32 v20, v1
	s_waitcnt vmcnt(0)
	v_cvt_f32_f16_e32 v12, v3
	s_or_b32 exec_lo, exec_lo, s4
	s_and_saveexec_b32 s4, s3
	s_cbranch_execz .LBB86_35
.LBB86_46:                              ;   in Loop: Header=BB86_3 Depth=1
	v_add_co_u32 v3, vcc_lo, v45, v25
	v_add_co_ci_u32_e32 v4, vcc_lo, v46, v26, vcc_lo
	v_add_co_u32 v5, vcc_lo, v47, v25
	v_add_co_ci_u32_e32 v6, vcc_lo, v48, v26, vcc_lo
	global_load_u16 v1, v[3:4], off
	global_load_u16 v3, v[5:6], off
	s_waitcnt vmcnt(1)
	v_cvt_f32_f16_e32 v21, v1
	s_waitcnt vmcnt(0)
	v_cvt_f32_f16_e32 v13, v3
	s_or_b32 exec_lo, exec_lo, s4
	s_and_saveexec_b32 s4, s3
	s_cbranch_execz .LBB86_36
.LBB86_47:                              ;   in Loop: Header=BB86_3 Depth=1
	v_add_co_u32 v3, vcc_lo, v41, v25
	v_add_co_ci_u32_e32 v4, vcc_lo, v42, v26, vcc_lo
	v_add_co_u32 v5, vcc_lo, v43, v25
	v_add_co_ci_u32_e32 v6, vcc_lo, v44, v26, vcc_lo
	global_load_u16 v1, v[3:4], off
	global_load_u16 v3, v[5:6], off
	s_waitcnt vmcnt(1)
	v_cvt_f32_f16_e32 v22, v1
	s_waitcnt vmcnt(0)
	v_cvt_f32_f16_e32 v14, v3
	s_or_b32 exec_lo, exec_lo, s4
	s_and_saveexec_b32 s4, s3
	s_cbranch_execz .LBB86_37
.LBB86_48:                              ;   in Loop: Header=BB86_3 Depth=1
	v_add_co_u32 v3, vcc_lo, v37, v25
	v_add_co_ci_u32_e32 v4, vcc_lo, v38, v26, vcc_lo
	v_add_co_u32 v5, vcc_lo, v39, v25
	v_add_co_ci_u32_e32 v6, vcc_lo, v40, v26, vcc_lo
	global_load_u16 v1, v[3:4], off
	global_load_u16 v3, v[5:6], off
	s_waitcnt vmcnt(1)
	v_cvt_f32_f16_e32 v23, v1
	s_waitcnt vmcnt(0)
	v_cvt_f32_f16_e32 v15, v3
	s_or_b32 exec_lo, exec_lo, s4
	s_and_saveexec_b32 s4, s3
	s_cbranch_execnz .LBB86_38
	s_branch .LBB86_39
.LBB86_49:
	s_mov_b32 s5, -1
                                        ; implicit-def: $vgpr6
                                        ; implicit-def: $vgpr61
.LBB86_50:
	s_delay_alu instid0(SALU_CYCLE_1)
	s_and_not1_b32 vcc_lo, exec_lo, s5
	s_cbranch_vccnz .LBB86_83
; %bb.51:
	v_dual_mov_b32 v6, 0 :: v_dual_mov_b32 v61, 0
	s_and_not1_b32 vcc_lo, exec_lo, s33
	s_mov_b32 s4, 0
	s_cbranch_vccnz .LBB86_83
; %bb.52:
	v_bfe_u32 v57, v0, 10, 10
	v_mov_b32_e32 v2, 0
	s_add_u32 s24, s0, 64
	s_addc_u32 s25, s1, 0
	s_lshl_b64 s[6:7], s[12:13], 1
	v_lshlrev_b32_e32 v3, 4, v57
	s_load_b32 s3, s[0:1], 0x44
	v_dual_mov_b32 v95, 0 :: v_dual_and_b32 v58, 0x3ff, v0
	v_mov_b32_e32 v60, v2
	s_delay_alu instid0(VALU_DEP_3) | instskip(NEXT) | instid1(VALU_DEP_1)
	v_add_co_u32 v3, s5, v3, s6
	v_add_co_ci_u32_e64 v4, null, 0, s7, s5
	s_delay_alu instid0(VALU_DEP_4) | instskip(NEXT) | instid1(VALU_DEP_3)
	v_add_nc_u32_e32 v1, s15, v58
	v_add_co_u32 v7, vcc_lo, v3, 2
	s_delay_alu instid0(VALU_DEP_3) | instskip(NEXT) | instid1(VALU_DEP_3)
	v_add_co_ci_u32_e32 v5, vcc_lo, 0, v4, vcc_lo
	v_lshlrev_b64 v[27:28], 1, v[1:2]
	v_add_co_u32 v1, vcc_lo, v3, 4
	s_delay_alu instid0(VALU_DEP_3) | instskip(SKIP_3) | instid1(VALU_DEP_3)
	v_mul_lo_u32 v8, s18, v5
	v_add_co_ci_u32_e32 v5, vcc_lo, 0, v4, vcc_lo
	v_add_co_u32 v11, vcc_lo, v3, 6
	v_dual_mov_b32 v94, 0 :: v_dual_lshlrev_b32 v59, 3, v57
	v_mul_lo_u32 v10, s18, v5
	v_add_co_ci_u32_e32 v5, vcc_lo, 0, v4, vcc_lo
	v_add_co_u32 v13, vcc_lo, v3, 8
	s_waitcnt lgkmcnt(0)
	s_lshl_b32 s15, s3, 3
	v_add_co_ci_u32_e32 v6, vcc_lo, 0, v4, vcc_lo
	v_add_co_u32 v17, vcc_lo, v3, 10
	s_mul_i32 s3, s19, s15
	s_mul_hi_u32 s5, s18, s15
	v_mul_lo_u32 v14, s18, v5
	v_add_co_ci_u32_e32 v5, vcc_lo, 0, v4, vcc_lo
	s_add_i32 s7, s5, s3
	v_add_co_u32 v19, vcc_lo, v3, 12
	v_add_co_u32 v24, s3, v59, s12
	v_mul_lo_u32 v16, s18, v6
	v_add_co_ci_u32_e32 v6, vcc_lo, 0, v4, vcc_lo
	v_add_co_ci_u32_e64 v55, null, 0, 0, s3
	v_add_co_u32 v56, vcc_lo, v3, 14
	v_mul_lo_u32 v20, s18, v5
	s_delay_alu instid0(VALU_DEP_4) | instskip(SKIP_4) | instid1(VALU_DEP_4)
	v_mul_lo_u32 v22, s18, v6
	v_add_co_ci_u32_e32 v5, vcc_lo, 0, v4, vcc_lo
	v_mul_lo_u32 v6, s19, v24
	v_mul_lo_u32 v41, s18, v55
	v_mad_u64_u32 v[3:4], null, s18, v24, 0
	v_mul_lo_u32 v61, s18, v5
	v_mad_u64_u32 v[25:26], null, s18, v7, s[20:21]
	;; [unrolled: 2-line block ×3, first 2 shown]
	v_add3_u32 v4, v4, v41, v6
	v_mul_lo_u32 v12, s19, v1
	v_mad_u64_u32 v[41:42], null, s18, v7, s[22:23]
	v_mad_u64_u32 v[43:44], null, s18, v1, s[22:23]
	s_delay_alu instid0(VALU_DEP_4) | instskip(SKIP_3) | instid1(VALU_DEP_4)
	v_lshlrev_b64 v[5:6], 1, v[3:4]
	v_mad_u64_u32 v[31:32], null, s18, v11, s[20:21]
	v_mul_lo_u32 v15, s19, v11
	v_mad_u64_u32 v[45:46], null, s18, v11, s[22:23]
	v_add_co_u32 v62, vcc_lo, s20, v5
	v_add_co_ci_u32_e32 v63, vcc_lo, s21, v6, vcc_lo
	v_add_co_u32 v1, vcc_lo, v24, 7
	v_add_co_ci_u32_e32 v7, vcc_lo, 0, v55, vcc_lo
	v_mad_u64_u32 v[33:34], null, s18, v13, s[20:21]
	v_mul_lo_u32 v18, s19, v13
	v_mad_u64_u32 v[47:48], null, s18, v13, s[22:23]
	v_add_co_u32 v13, vcc_lo, v24, 6
	v_add3_u32 v26, v9, v26, v8
	v_add3_u32 v30, v12, v30, v10
	;; [unrolled: 1-line block ×4, first 2 shown]
	v_mul_lo_u32 v11, s19, v1
	v_mul_lo_u32 v12, s18, v7
	v_mad_u64_u32 v[7:8], null, s18, v1, 0
	v_add_co_ci_u32_e32 v9, vcc_lo, 0, v55, vcc_lo
	v_mad_u64_u32 v[39:40], null, s18, v56, s[20:21]
	v_mul_lo_u32 v64, s19, v56
	v_mad_u64_u32 v[53:54], null, s18, v56, s[22:23]
	v_add3_u32 v32, v15, v32, v14
	v_add3_u32 v46, v15, v46, v14
	v_mul_lo_u32 v1, s19, v13
	v_mul_lo_u32 v14, s18, v9
	v_mad_u64_u32 v[9:10], null, s18, v13, 0
	v_add3_u32 v8, v8, v12, v11
	v_add3_u32 v40, v64, v40, v61
	;; [unrolled: 1-line block ×3, first 2 shown]
	v_add_co_u32 v64, vcc_lo, s22, v5
	v_add_co_ci_u32_e32 v65, vcc_lo, s23, v6, vcc_lo
	v_lshlrev_b64 v[5:6], 1, v[7:8]
	v_add3_u32 v10, v10, v14, v1
	v_add_co_u32 v1, vcc_lo, v24, 5
	v_add_co_ci_u32_e32 v11, vcc_lo, 0, v55, vcc_lo
	s_delay_alu instid0(VALU_DEP_4) | instskip(NEXT) | instid1(VALU_DEP_4)
	v_add_co_u32 v66, vcc_lo, s20, v5
	v_lshlrev_b64 v[7:8], 1, v[9:10]
	v_add_co_ci_u32_e32 v67, vcc_lo, s21, v6, vcc_lo
	v_mul_lo_u32 v12, s19, v1
	v_mul_lo_u32 v11, s18, v11
	v_mad_u64_u32 v[9:10], null, s18, v1, 0
	v_add_co_u32 v68, vcc_lo, s22, v5
	v_add_co_ci_u32_e32 v69, vcc_lo, s23, v6, vcc_lo
	v_add_co_u32 v70, vcc_lo, s20, v7
	v_add_co_ci_u32_e32 v71, vcc_lo, s21, v8, vcc_lo
	v_add_co_u32 v1, vcc_lo, v24, 4
	v_add3_u32 v10, v10, v11, v12
	v_add_co_u32 v72, s3, s22, v7
	v_add_co_ci_u32_e32 v7, vcc_lo, 0, v55, vcc_lo
	v_add_co_u32 v12, vcc_lo, v24, 3
	s_delay_alu instid0(VALU_DEP_4)
	v_lshlrev_b64 v[5:6], 1, v[9:10]
	v_add_co_ci_u32_e32 v9, vcc_lo, 0, v55, vcc_lo
	v_add_co_ci_u32_e64 v73, s3, s23, v8, s3
	v_mul_lo_u32 v11, s19, v1
	v_mul_lo_u32 v13, s18, v7
	v_mad_u64_u32 v[7:8], null, s18, v1, 0
	v_mul_lo_u32 v1, s19, v12
	v_mul_lo_u32 v14, s18, v9
	v_mad_u64_u32 v[9:10], null, s18, v12, 0
	v_add_co_u32 v74, vcc_lo, s20, v5
	v_add_co_ci_u32_e32 v75, vcc_lo, s21, v6, vcc_lo
	v_add3_u32 v8, v8, v13, v11
	v_add_co_u32 v76, vcc_lo, s22, v5
	v_add_co_ci_u32_e32 v77, vcc_lo, s23, v6, vcc_lo
	v_add3_u32 v10, v10, v14, v1
	v_add_co_u32 v1, vcc_lo, v24, 2
	v_lshlrev_b64 v[5:6], 1, v[7:8]
	v_add_co_ci_u32_e32 v11, vcc_lo, 0, v55, vcc_lo
	s_delay_alu instid0(VALU_DEP_4) | instskip(NEXT) | instid1(VALU_DEP_4)
	v_lshlrev_b64 v[7:8], 1, v[9:10]
	v_mul_lo_u32 v12, s19, v1
	v_mad_u64_u32 v[9:10], null, s18, v1, 0
	v_add_co_u32 v78, vcc_lo, s20, v5
	v_mul_lo_u32 v11, s18, v11
	v_add_co_ci_u32_e32 v79, vcc_lo, s21, v6, vcc_lo
	v_add_co_u32 v80, vcc_lo, s22, v5
	v_add_co_ci_u32_e32 v81, vcc_lo, s23, v6, vcc_lo
	v_add_co_u32 v82, vcc_lo, s20, v7
	v_add_co_ci_u32_e32 v83, vcc_lo, s21, v8, vcc_lo
	v_add3_u32 v10, v10, v11, v12
	v_add_co_u32 v84, vcc_lo, s22, v7
	v_add_co_ci_u32_e32 v85, vcc_lo, s23, v8, vcc_lo
	v_add_co_u32 v3, vcc_lo, v3, s18
	s_delay_alu instid0(VALU_DEP_4) | instskip(SKIP_3) | instid1(VALU_DEP_4)
	v_lshlrev_b64 v[5:6], 1, v[9:10]
	v_add_co_ci_u32_e32 v4, vcc_lo, s19, v4, vcc_lo
	v_mad_u64_u32 v[35:36], null, s18, v17, s[20:21]
	v_mul_lo_u32 v21, s19, v17
	v_add_co_u32 v86, vcc_lo, s20, v5
	s_delay_alu instid0(VALU_DEP_4)
	v_lshlrev_b64 v[3:4], 1, v[3:4]
	v_add_co_ci_u32_e32 v87, vcc_lo, s21, v6, vcc_lo
	v_mad_u64_u32 v[37:38], null, s18, v19, s[20:21]
	v_mul_lo_u32 v23, s19, v19
	v_mad_u64_u32 v[49:50], null, s18, v17, s[22:23]
	v_mad_u64_u32 v[51:52], null, s18, v19, s[22:23]
	v_add_co_u32 v88, vcc_lo, s22, v5
	v_add_co_ci_u32_e32 v89, vcc_lo, s23, v6, vcc_lo
	v_add_co_u32 v90, vcc_lo, s20, v3
	v_add_co_ci_u32_e32 v91, vcc_lo, s21, v4, vcc_lo
	v_add_co_u32 v92, vcc_lo, s22, v3
	v_add3_u32 v34, v18, v34, v16
	v_add3_u32 v36, v21, v36, v20
	;; [unrolled: 1-line block ×6, first 2 shown]
	v_add_co_ci_u32_e32 v93, vcc_lo, s23, v4, vcc_lo
	s_mul_i32 s6, s18, s15
	s_mov_b64 s[22:23], 7
	s_lshl_b64 s[20:21], s[6:7], 1
	s_mov_b64 s[26:27], s[12:13]
.LBB86_53:                              ; =>This Inner Loop Header: Depth=1
	s_add_u32 s6, s12, s22
	s_addc_u32 s7, 0, s23
	v_add_co_u32 v55, vcc_lo, s12, v59
	v_cmp_ge_i64_e64 s3, s[6:7], s[16:17]
	v_add_co_ci_u32_e32 v56, vcc_lo, 0, v60, vcc_lo
	s_delay_alu instid0(VALU_DEP_2)
	s_and_b32 vcc_lo, exec_lo, s3
	s_cbranch_vccz .LBB86_75
; %bb.54:                               ;   in Loop: Header=BB86_53 Depth=1
	s_load_b32 s3, s[24:25], 0xc
	v_dual_mov_b32 v61, 0 :: v_dual_mov_b32 v96, 0
	s_waitcnt lgkmcnt(0)
	s_and_b32 s3, s3, 0xffff
	s_delay_alu instid0(SALU_CYCLE_1) | instskip(SKIP_1) | instid1(VALU_DEP_1)
	v_mad_u32_u24 v1, v57, s3, v58
	s_mov_b32 s3, exec_lo
	v_and_b32_e32 v1, 31, v1
	s_delay_alu instid0(VALU_DEP_1)
	v_cmpx_gt_u32_e32 8, v1
	s_cbranch_execz .LBB86_58
; %bb.55:                               ;   in Loop: Header=BB86_53 Depth=1
	v_add_co_u32 v3, vcc_lo, v55, v1
	v_add_co_ci_u32_e32 v4, vcc_lo, 0, v56, vcc_lo
	v_dual_mov_b32 v96, 0 :: v_dual_mov_b32 v61, 0
	s_mov_b32 s5, exec_lo
	s_delay_alu instid0(VALU_DEP_2)
	v_cmpx_gt_i64_e64 s[16:17], v[3:4]
	s_cbranch_execz .LBB86_57
; %bb.56:                               ;   in Loop: Header=BB86_53 Depth=1
	v_lshlrev_b64 v[3:4], 2, v[3:4]
	s_delay_alu instid0(VALU_DEP_1) | instskip(NEXT) | instid1(VALU_DEP_2)
	v_add_co_u32 v5, vcc_lo, s36, v3
	v_add_co_ci_u32_e32 v6, vcc_lo, s37, v4, vcc_lo
	v_add_co_u32 v3, vcc_lo, s38, v3
	v_add_co_ci_u32_e32 v4, vcc_lo, s39, v4, vcc_lo
	global_load_b32 v96, v[5:6], off
	global_load_b32 v61, v[3:4], off
.LBB86_57:                              ;   in Loop: Header=BB86_53 Depth=1
	s_or_b32 exec_lo, exec_lo, s5
.LBB86_58:                              ;   in Loop: Header=BB86_53 Depth=1
	s_delay_alu instid0(SALU_CYCLE_1)
	s_or_b32 exec_lo, exec_lo, s3
	s_mov_b32 s11, s4
	s_mov_b32 s5, s4
	;; [unrolled: 1-line block ×7, first 2 shown]
	s_delay_alu instid0(SALU_CYCLE_1) | instskip(SKIP_3) | instid1(VALU_DEP_4)
	v_dual_mov_b32 v16, s11 :: v_dual_mov_b32 v15, s10
	v_dual_mov_b32 v14, s9 :: v_dual_mov_b32 v13, s8
	;; [unrolled: 1-line block ×5, first 2 shown]
	s_delay_alu instid0(VALU_DEP_4) | instskip(NEXT) | instid1(VALU_DEP_4)
	v_dual_mov_b32 v22, v14 :: v_dual_mov_b32 v21, v13
	v_dual_mov_b32 v20, v12 :: v_dual_mov_b32 v19, v11
	s_delay_alu instid0(VALU_DEP_4)
	v_dual_mov_b32 v18, v10 :: v_dual_mov_b32 v17, v9
	s_mov_b32 s3, exec_lo
	v_cmpx_gt_i64_e64 s[16:17], v[55:56]
	s_cbranch_execz .LBB86_60
; %bb.59:                               ;   in Loop: Header=BB86_53 Depth=1
	v_add_co_u32 v3, vcc_lo, v62, v27
	v_add_co_ci_u32_e32 v4, vcc_lo, v63, v28, vcc_lo
	v_add_co_u32 v5, vcc_lo, v64, v27
	v_add_co_ci_u32_e32 v6, vcc_lo, v65, v28, vcc_lo
	v_mov_b32_e32 v8, v2
	global_load_u16 v1, v[3:4], off
	global_load_u16 v9, v[5:6], off
	v_mov_b32_e32 v3, v2
	v_mov_b32_e32 v4, v2
	;; [unrolled: 1-line block ×6, first 2 shown]
	s_waitcnt vmcnt(1)
	v_cvt_f32_f16_e32 v1, v1
	v_dual_mov_b32 v11, v2 :: v_dual_mov_b32 v24, v8
	v_dual_mov_b32 v10, v2 :: v_dual_mov_b32 v23, v7
	s_waitcnt vmcnt(0)
	v_cvt_f32_f16_e32 v9, v9
	v_dual_mov_b32 v12, v2 :: v_dual_mov_b32 v21, v5
	v_dual_mov_b32 v13, v2 :: v_dual_mov_b32 v20, v4
	;; [unrolled: 1-line block ×4, first 2 shown]
	v_mov_b32_e32 v22, v6
	v_mov_b32_e32 v18, v2
.LBB86_60:                              ;   in Loop: Header=BB86_53 Depth=1
	s_or_b32 exec_lo, exec_lo, s3
	v_add_co_u32 v3, vcc_lo, v55, 1
	v_add_co_ci_u32_e32 v4, vcc_lo, 0, v56, vcc_lo
	s_mov_b32 s3, exec_lo
	s_delay_alu instid0(VALU_DEP_1)
	v_cmpx_gt_i64_e64 s[16:17], v[3:4]
	s_cbranch_execz .LBB86_62
; %bb.61:                               ;   in Loop: Header=BB86_53 Depth=1
	v_add_co_u32 v3, vcc_lo, v90, v27
	v_add_co_ci_u32_e32 v4, vcc_lo, v91, v28, vcc_lo
	v_add_co_u32 v5, vcc_lo, v92, v27
	v_add_co_ci_u32_e32 v6, vcc_lo, v93, v28, vcc_lo
	global_load_u16 v1, v[3:4], off
	global_load_u16 v3, v[5:6], off
	s_waitcnt vmcnt(1)
	v_cvt_f32_f16_e32 v18, v1
	s_waitcnt vmcnt(0)
	v_cvt_f32_f16_e32 v10, v3
.LBB86_62:                              ;   in Loop: Header=BB86_53 Depth=1
	s_or_b32 exec_lo, exec_lo, s3
	v_add_co_u32 v3, vcc_lo, v55, 2
	v_add_co_ci_u32_e32 v4, vcc_lo, 0, v56, vcc_lo
	s_mov_b32 s3, exec_lo
	s_delay_alu instid0(VALU_DEP_1)
	v_cmpx_gt_i64_e64 s[16:17], v[3:4]
	s_cbranch_execz .LBB86_64
; %bb.63:                               ;   in Loop: Header=BB86_53 Depth=1
	v_add_co_u32 v3, vcc_lo, v86, v27
	v_add_co_ci_u32_e32 v4, vcc_lo, v87, v28, vcc_lo
	v_add_co_u32 v5, vcc_lo, v88, v27
	v_add_co_ci_u32_e32 v6, vcc_lo, v89, v28, vcc_lo
	global_load_u16 v1, v[3:4], off
	global_load_u16 v3, v[5:6], off
	s_waitcnt vmcnt(1)
	v_cvt_f32_f16_e32 v19, v1
	s_waitcnt vmcnt(0)
	v_cvt_f32_f16_e32 v11, v3
.LBB86_64:                              ;   in Loop: Header=BB86_53 Depth=1
	;; [unrolled: 19-line block ×7, first 2 shown]
	s_or_b32 exec_lo, exec_lo, s3
	s_waitcnt vmcnt(1)
	ds_bpermute_b32 v1, v2, v96
	ds_bpermute_b32 v3, v2, v96 offset:4
	ds_bpermute_b32 v4, v2, v96 offset:8
	s_waitcnt vmcnt(0)
	ds_bpermute_b32 v5, v2, v61
	ds_bpermute_b32 v8, v2, v61 offset:4
	ds_bpermute_b32 v100, v2, v96 offset:20
	;; [unrolled: 1-line block ×6, first 2 shown]
	s_waitcnt lgkmcnt(7)
	v_dual_sub_f32 v1, v9, v1 :: v_dual_sub_f32 v4, v11, v4
	v_sub_f32_e32 v3, v10, v3
	ds_bpermute_b32 v10, v2, v61 offset:16
	s_waitcnt lgkmcnt(5)
	v_sub_f32_e32 v11, v14, v100
	v_dual_mul_f32 v4, v19, v4 :: v_dual_mul_f32 v3, v18, v3
	v_mul_f32_e32 v1, v17, v1
	s_delay_alu instid0(VALU_DEP_3) | instskip(NEXT) | instid1(VALU_DEP_2)
	v_mul_f32_e32 v11, v22, v11
	v_fma_f32 v6, v1, v5, v94
	ds_bpermute_b32 v1, v2, v61 offset:20
	s_waitcnt lgkmcnt(5)
	v_sub_f32_e32 v7, v12, v7
	ds_bpermute_b32 v5, v2, v96 offset:28
	v_fmac_f32_e32 v6, v3, v8
	v_add_f32_e32 v9, v95, v17
	ds_bpermute_b32 v17, v2, v96 offset:24
	ds_bpermute_b32 v8, v2, v61 offset:24
	s_waitcnt lgkmcnt(7)
	v_fmac_f32_e32 v6, v4, v98
	ds_bpermute_b32 v4, v2, v61 offset:28
	v_mul_f32_e32 v7, v20, v7
	s_waitcnt lgkmcnt(7)
	s_delay_alu instid0(VALU_DEP_1) | instskip(NEXT) | instid1(VALU_DEP_1)
	v_dual_add_f32 v3, v18, v9 :: v_dual_fmac_f32 v6, v7, v99
	v_add_f32_e32 v3, v19, v3
	s_delay_alu instid0(VALU_DEP_1)
	v_add_f32_e32 v3, v20, v3
	s_waitcnt lgkmcnt(3)
	v_sub_f32_e32 v5, v16, v5
	s_waitcnt lgkmcnt(2)
	v_sub_f32_e32 v7, v15, v17
	v_add_f32_e32 v3, v21, v3
	s_delay_alu instid0(VALU_DEP_2) | instskip(SKIP_1) | instid1(VALU_DEP_1)
	v_mul_f32_e32 v7, v23, v7
	v_sub_f32_e32 v9, v13, v97
	v_mul_f32_e32 v9, v21, v9
	s_delay_alu instid0(VALU_DEP_1) | instskip(NEXT) | instid1(VALU_DEP_1)
	v_fmac_f32_e32 v6, v9, v10
	v_dual_fmac_f32 v6, v11, v1 :: v_dual_add_f32 v1, v22, v3
	s_waitcnt lgkmcnt(1)
	s_delay_alu instid0(VALU_DEP_1) | instskip(NEXT) | instid1(VALU_DEP_2)
	v_dual_mul_f32 v3, v24, v5 :: v_dual_fmac_f32 v6, v7, v8
	v_add_f32_e32 v1, v23, v1
	s_waitcnt lgkmcnt(0)
	s_delay_alu instid0(VALU_DEP_1)
	v_dual_fmac_f32 v6, v3, v4 :: v_dual_add_f32 v61, v24, v1
	s_branch .LBB86_81
.LBB86_75:                              ;   in Loop: Header=BB86_53 Depth=1
                                        ; implicit-def: $vgpr61
                                        ; implicit-def: $vgpr6
	s_cbranch_execz .LBB86_81
; %bb.76:                               ;   in Loop: Header=BB86_53 Depth=1
	s_load_b32 s3, s[24:25], 0x0
	v_mov_b32_e32 v5, 0
	s_waitcnt lgkmcnt(0)
	s_cmp_lt_u32 s14, s3
	s_cselect_b32 s3, 12, 18
	s_delay_alu instid0(SALU_CYCLE_1)
	s_add_u32 s6, s24, s3
	s_addc_u32 s7, s25, 0
	s_mov_b32 s3, exec_lo
	global_load_u16 v1, v2, s[6:7]
	s_waitcnt vmcnt(0)
	v_mad_u32_u24 v1, v57, v1, v58
	s_delay_alu instid0(VALU_DEP_1) | instskip(SKIP_1) | instid1(VALU_DEP_2)
	v_and_b32_e32 v3, 31, v1
	v_mov_b32_e32 v1, 0
	v_cmpx_gt_u32_e32 8, v3
	s_cbranch_execz .LBB86_80
; %bb.77:                               ;   in Loop: Header=BB86_53 Depth=1
	v_add_co_u32 v3, vcc_lo, v55, v3
	v_add_co_ci_u32_e32 v4, vcc_lo, 0, v56, vcc_lo
	v_mov_b32_e32 v1, 0
	v_mov_b32_e32 v5, 0
	s_mov_b32 s5, exec_lo
	s_delay_alu instid0(VALU_DEP_3)
	v_cmpx_gt_i64_e64 s[16:17], v[3:4]
	s_cbranch_execz .LBB86_79
; %bb.78:                               ;   in Loop: Header=BB86_53 Depth=1
	v_lshlrev_b64 v[3:4], 2, v[3:4]
	s_delay_alu instid0(VALU_DEP_1) | instskip(NEXT) | instid1(VALU_DEP_2)
	v_add_co_u32 v5, vcc_lo, s36, v3
	v_add_co_ci_u32_e32 v6, vcc_lo, s37, v4, vcc_lo
	v_add_co_u32 v3, vcc_lo, s38, v3
	v_add_co_ci_u32_e32 v4, vcc_lo, s39, v4, vcc_lo
	global_load_b32 v1, v[5:6], off
	global_load_b32 v5, v[3:4], off
.LBB86_79:                              ;   in Loop: Header=BB86_53 Depth=1
	s_or_b32 exec_lo, exec_lo, s5
.LBB86_80:                              ;   in Loop: Header=BB86_53 Depth=1
	s_delay_alu instid0(SALU_CYCLE_1)
	s_or_b32 exec_lo, exec_lo, s3
	v_add_co_u32 v3, vcc_lo, v62, v27
	v_add_co_ci_u32_e32 v4, vcc_lo, v63, v28, vcc_lo
	s_waitcnt vmcnt(1)
	ds_bpermute_b32 v21, v2, v1
	global_load_u16 v3, v[3:4], off
	s_waitcnt vmcnt(0)
	v_cvt_f32_f16_e32 v6, v3
	v_add_co_u32 v3, vcc_lo, v64, v27
	v_add_co_ci_u32_e32 v4, vcc_lo, v65, v28, vcc_lo
	global_load_u16 v3, v[3:4], off
	s_waitcnt vmcnt(0)
	v_cvt_f32_f16_e32 v7, v3
	v_add_co_u32 v3, vcc_lo, v25, v27
	v_add_co_ci_u32_e32 v4, vcc_lo, v26, v28, vcc_lo
	;; [unrolled: 5-line block ×3, first 2 shown]
	s_waitcnt lgkmcnt(0)
	v_sub_f32_e32 v7, v7, v21
	global_load_u16 v3, v[3:4], off
	s_waitcnt vmcnt(0)
	v_cvt_f32_f16_e32 v9, v3
	v_add_co_u32 v3, vcc_lo, v29, v27
	v_add_co_ci_u32_e32 v4, vcc_lo, v30, v28, vcc_lo
	global_load_u16 v3, v[3:4], off
	s_waitcnt vmcnt(0)
	v_cvt_f32_f16_e32 v10, v3
	v_add_co_u32 v3, vcc_lo, v43, v27
	v_add_co_ci_u32_e32 v4, vcc_lo, v44, v28, vcc_lo
	;; [unrolled: 5-line block ×4, first 2 shown]
	v_mul_f32_e32 v7, v7, v6
	global_load_u16 v3, v[3:4], off
	s_waitcnt vmcnt(0)
	v_cvt_f32_f16_e32 v13, v3
	v_add_co_u32 v3, vcc_lo, v33, v27
	v_add_co_ci_u32_e32 v4, vcc_lo, v34, v28, vcc_lo
	global_load_u16 v3, v[3:4], off
	s_waitcnt vmcnt(0)
	v_cvt_f32_f16_e32 v14, v3
	v_add_co_u32 v3, vcc_lo, v47, v27
	v_add_co_ci_u32_e32 v4, vcc_lo, v48, v28, vcc_lo
	;; [unrolled: 5-line block ×8, first 2 shown]
	global_load_u16 v3, v[3:4], off
	ds_bpermute_b32 v4, v2, v5
	s_waitcnt lgkmcnt(0)
	v_fmac_f32_e32 v94, v7, v4
	ds_bpermute_b32 v7, v2, v1 offset:4
	v_add_f32_e32 v4, v95, v6
	ds_bpermute_b32 v6, v2, v5 offset:4
	s_waitcnt lgkmcnt(1)
	v_sub_f32_e32 v7, v9, v7
	s_delay_alu instid0(VALU_DEP_1) | instskip(SKIP_1) | instid1(VALU_DEP_1)
	v_mul_f32_e32 v7, v7, v8
	s_waitcnt lgkmcnt(0)
	v_fmac_f32_e32 v94, v7, v6
	ds_bpermute_b32 v7, v2, v1 offset:8
	ds_bpermute_b32 v6, v2, v5 offset:8
	s_waitcnt lgkmcnt(1)
	v_sub_f32_e32 v7, v11, v7
	s_delay_alu instid0(VALU_DEP_1) | instskip(SKIP_1) | instid1(VALU_DEP_1)
	v_mul_f32_e32 v7, v7, v10
	s_waitcnt lgkmcnt(0)
	v_fmac_f32_e32 v94, v7, v6
	ds_bpermute_b32 v7, v2, v1 offset:12
	ds_bpermute_b32 v6, v2, v5 offset:12
	s_waitcnt lgkmcnt(1)
	v_dual_sub_f32 v7, v13, v7 :: v_dual_add_f32 v4, v4, v8
	s_delay_alu instid0(VALU_DEP_1) | instskip(NEXT) | instid1(VALU_DEP_1)
	v_add_f32_e32 v4, v4, v10
	v_add_f32_e32 v4, v4, v12
	s_delay_alu instid0(VALU_DEP_1) | instskip(NEXT) | instid1(VALU_DEP_1)
	v_add_f32_e32 v4, v4, v14
	v_add_f32_e32 v4, v4, v16
	s_delay_alu instid0(VALU_DEP_1) | instskip(SKIP_1) | instid1(VALU_DEP_1)
	v_dual_mul_f32 v7, v7, v12 :: v_dual_add_f32 v4, v4, v18
	s_waitcnt lgkmcnt(0)
	v_fmac_f32_e32 v94, v7, v6
	ds_bpermute_b32 v7, v2, v1 offset:16
	ds_bpermute_b32 v6, v2, v5 offset:16
	v_add_f32_e32 v61, v4, v20
	s_waitcnt lgkmcnt(1)
	v_sub_f32_e32 v7, v15, v7
	s_delay_alu instid0(VALU_DEP_1) | instskip(SKIP_1) | instid1(VALU_DEP_1)
	v_mul_f32_e32 v7, v7, v14
	s_waitcnt lgkmcnt(0)
	v_fmac_f32_e32 v94, v7, v6
	ds_bpermute_b32 v7, v2, v1 offset:20
	ds_bpermute_b32 v6, v2, v5 offset:20
	s_waitcnt lgkmcnt(1)
	v_sub_f32_e32 v7, v17, v7
	s_delay_alu instid0(VALU_DEP_1) | instskip(SKIP_1) | instid1(VALU_DEP_1)
	v_mul_f32_e32 v7, v7, v16
	s_waitcnt lgkmcnt(0)
	v_fmac_f32_e32 v94, v7, v6
	ds_bpermute_b32 v7, v2, v1 offset:24
	ds_bpermute_b32 v1, v2, v1 offset:28
	;; [unrolled: 1-line block ×4, first 2 shown]
	s_waitcnt lgkmcnt(3)
	v_sub_f32_e32 v7, v19, v7
	s_delay_alu instid0(VALU_DEP_1) | instskip(SKIP_1) | instid1(VALU_DEP_1)
	v_mul_f32_e32 v7, v7, v18
	s_waitcnt lgkmcnt(1)
	v_fmac_f32_e32 v94, v7, v6
	s_waitcnt vmcnt(0)
	v_cvt_f32_f16_e32 v3, v3
	s_delay_alu instid0(VALU_DEP_1) | instskip(NEXT) | instid1(VALU_DEP_1)
	v_sub_f32_e32 v1, v3, v1
	v_mul_f32_e32 v1, v1, v20
	s_waitcnt lgkmcnt(0)
	s_delay_alu instid0(VALU_DEP_1) | instskip(NEXT) | instid1(VALU_DEP_1)
	v_fmac_f32_e32 v94, v1, v5
	v_mov_b32_e32 v6, v94
.LBB86_81:                              ;   in Loop: Header=BB86_53 Depth=1
	v_add_co_u32 v59, vcc_lo, v59, s15
	v_add_co_ci_u32_e32 v60, vcc_lo, 0, v60, vcc_lo
	v_add_co_u32 v25, vcc_lo, v25, s20
	v_add_co_ci_u32_e32 v26, vcc_lo, s21, v26, vcc_lo
	;; [unrolled: 2-line block ×28, first 2 shown]
	v_add_co_u32 v88, vcc_lo, v88, s20
	s_add_u32 s26, s26, s15
	v_add_co_ci_u32_e32 v89, vcc_lo, s21, v89, vcc_lo
	s_addc_u32 s27, s27, 0
	v_add_co_u32 v90, vcc_lo, v90, s20
	v_add_co_ci_u32_e32 v91, vcc_lo, s21, v91, vcc_lo
	v_cmp_ge_i64_e64 s3, s[26:27], s[16:17]
	v_add_co_u32 v92, vcc_lo, v92, s20
	v_add_co_ci_u32_e32 v93, vcc_lo, s21, v93, vcc_lo
	s_add_u32 s22, s22, s15
	s_addc_u32 s23, s23, 0
	s_delay_alu instid0(VALU_DEP_3)
	s_and_b32 vcc_lo, exec_lo, s3
	s_cbranch_vccnz .LBB86_83
; %bb.82:                               ;   in Loop: Header=BB86_53 Depth=1
	v_dual_mov_b32 v95, v61 :: v_dual_mov_b32 v94, v6
	s_branch .LBB86_53
.LBB86_83:
	v_and_b32_e32 v1, 0x3ff, v0
	s_mov_b32 s15, 0
	s_mov_b32 s3, exec_lo
	s_lshl_b64 s[4:5], s[14:15], 5
	s_delay_alu instid0(SALU_CYCLE_1) | instskip(SKIP_1) | instid1(VALU_DEP_1)
	v_mov_b32_e32 v5, s5
	v_or_b32_e32 v4, s4, v1
	v_cmpx_gt_i64_e64 s[18:19], v[4:5]
	s_cbranch_execz .LBB86_88
; %bb.84:
	s_clause 0x1
	s_load_b32 s3, s[0:1], 0x4c
	s_load_b128 s[4:7], s[0:1], 0x30
	v_bfe_u32 v0, v0, 10, 10
	v_mov_b32_e32 v1, 0
	s_waitcnt lgkmcnt(0)
	s_lshr_b32 s0, s3, 16
	s_cmp_eq_u64 s[4:5], 0
	s_delay_alu instid0(VALU_DEP_1) | instskip(SKIP_1) | instid1(VALU_DEP_2)
	v_mad_u64_u32 v[2:3], null, s0, s2, v[0:1]
	v_lshlrev_b64 v[0:1], 1, v[4:5]
	v_mul_lo_u32 v3, v3, s18
	s_delay_alu instid0(VALU_DEP_3)
	v_mul_lo_u32 v7, v2, s19
	s_cbranch_scc1 .LBB86_86
; %bb.85:
	v_mad_u64_u32 v[4:5], null, v2, s18, 0
	v_cvt_f16_f32_e32 v6, v6
	s_delay_alu instid0(VALU_DEP_2) | instskip(NEXT) | instid1(VALU_DEP_1)
	v_add3_u32 v5, v5, v7, v3
	v_lshlrev_b64 v[4:5], 1, v[4:5]
	s_delay_alu instid0(VALU_DEP_1) | instskip(NEXT) | instid1(VALU_DEP_2)
	v_add_co_u32 v4, vcc_lo, s4, v4
	v_add_co_ci_u32_e32 v5, vcc_lo, s5, v5, vcc_lo
	s_delay_alu instid0(VALU_DEP_2) | instskip(NEXT) | instid1(VALU_DEP_2)
	v_add_co_u32 v4, vcc_lo, v4, v0
	v_add_co_ci_u32_e32 v5, vcc_lo, v5, v1, vcc_lo
	global_store_b16 v[4:5], v6, off
.LBB86_86:
	s_cmp_eq_u64 s[6:7], 0
	s_cbranch_scc1 .LBB86_88
; %bb.87:
	v_mad_u64_u32 v[4:5], null, v2, s18, 0
	s_delay_alu instid0(VALU_DEP_1) | instskip(NEXT) | instid1(VALU_DEP_1)
	v_add3_u32 v5, v5, v7, v3
	v_lshlrev_b64 v[2:3], 1, v[4:5]
	v_cvt_f16_f32_e32 v4, v61
	s_delay_alu instid0(VALU_DEP_2) | instskip(NEXT) | instid1(VALU_DEP_3)
	v_add_co_u32 v2, vcc_lo, s6, v2
	v_add_co_ci_u32_e32 v3, vcc_lo, s7, v3, vcc_lo
	s_delay_alu instid0(VALU_DEP_2) | instskip(NEXT) | instid1(VALU_DEP_2)
	v_add_co_u32 v0, vcc_lo, v2, v0
	v_add_co_ci_u32_e32 v1, vcc_lo, v3, v1, vcc_lo
	global_store_b16 v[0:1], v4, off
.LBB86_88:
	s_nop 0
	s_sendmsg sendmsg(MSG_DEALLOC_VGPRS)
	s_endpgm
	.section	.rodata,"a",@progbits
	.p2align	6, 0x0
	.amdhsa_kernel _ZN2at6native12_GLOBAL__N_135GammaBetaBackwardCUDAKernelTemplateIN3c104HalfEfLj32ELj1ELj8ELb1ELb0ELb0EEEvllPKT_S7_PKT0_SA_PS5_SB_
		.amdhsa_group_segment_fixed_size 0
		.amdhsa_private_segment_fixed_size 0
		.amdhsa_kernarg_size 320
		.amdhsa_user_sgpr_count 14
		.amdhsa_user_sgpr_dispatch_ptr 0
		.amdhsa_user_sgpr_queue_ptr 0
		.amdhsa_user_sgpr_kernarg_segment_ptr 1
		.amdhsa_user_sgpr_dispatch_id 0
		.amdhsa_user_sgpr_private_segment_size 0
		.amdhsa_wavefront_size32 1
		.amdhsa_uses_dynamic_stack 0
		.amdhsa_enable_private_segment 0
		.amdhsa_system_sgpr_workgroup_id_x 1
		.amdhsa_system_sgpr_workgroup_id_y 1
		.amdhsa_system_sgpr_workgroup_id_z 0
		.amdhsa_system_sgpr_workgroup_info 0
		.amdhsa_system_vgpr_workitem_id 1
		.amdhsa_next_free_vgpr 101
		.amdhsa_next_free_sgpr 41
		.amdhsa_reserve_vcc 1
		.amdhsa_float_round_mode_32 0
		.amdhsa_float_round_mode_16_64 0
		.amdhsa_float_denorm_mode_32 3
		.amdhsa_float_denorm_mode_16_64 3
		.amdhsa_dx10_clamp 1
		.amdhsa_ieee_mode 1
		.amdhsa_fp16_overflow 0
		.amdhsa_workgroup_processor_mode 1
		.amdhsa_memory_ordered 1
		.amdhsa_forward_progress 0
		.amdhsa_shared_vgpr_count 0
		.amdhsa_exception_fp_ieee_invalid_op 0
		.amdhsa_exception_fp_denorm_src 0
		.amdhsa_exception_fp_ieee_div_zero 0
		.amdhsa_exception_fp_ieee_overflow 0
		.amdhsa_exception_fp_ieee_underflow 0
		.amdhsa_exception_fp_ieee_inexact 0
		.amdhsa_exception_int_div_zero 0
	.end_amdhsa_kernel
	.section	.text._ZN2at6native12_GLOBAL__N_135GammaBetaBackwardCUDAKernelTemplateIN3c104HalfEfLj32ELj1ELj8ELb1ELb0ELb0EEEvllPKT_S7_PKT0_SA_PS5_SB_,"axG",@progbits,_ZN2at6native12_GLOBAL__N_135GammaBetaBackwardCUDAKernelTemplateIN3c104HalfEfLj32ELj1ELj8ELb1ELb0ELb0EEEvllPKT_S7_PKT0_SA_PS5_SB_,comdat
.Lfunc_end86:
	.size	_ZN2at6native12_GLOBAL__N_135GammaBetaBackwardCUDAKernelTemplateIN3c104HalfEfLj32ELj1ELj8ELb1ELb0ELb0EEEvllPKT_S7_PKT0_SA_PS5_SB_, .Lfunc_end86-_ZN2at6native12_GLOBAL__N_135GammaBetaBackwardCUDAKernelTemplateIN3c104HalfEfLj32ELj1ELj8ELb1ELb0ELb0EEEvllPKT_S7_PKT0_SA_PS5_SB_
                                        ; -- End function
	.section	.AMDGPU.csdata,"",@progbits
; Kernel info:
; codeLenInByte = 8232
; NumSgprs: 43
; NumVgprs: 101
; ScratchSize: 0
; MemoryBound: 0
; FloatMode: 240
; IeeeMode: 1
; LDSByteSize: 0 bytes/workgroup (compile time only)
; SGPRBlocks: 5
; VGPRBlocks: 12
; NumSGPRsForWavesPerEU: 43
; NumVGPRsForWavesPerEU: 101
; Occupancy: 12
; WaveLimiterHint : 0
; COMPUTE_PGM_RSRC2:SCRATCH_EN: 0
; COMPUTE_PGM_RSRC2:USER_SGPR: 14
; COMPUTE_PGM_RSRC2:TRAP_HANDLER: 0
; COMPUTE_PGM_RSRC2:TGID_X_EN: 1
; COMPUTE_PGM_RSRC2:TGID_Y_EN: 1
; COMPUTE_PGM_RSRC2:TGID_Z_EN: 0
; COMPUTE_PGM_RSRC2:TIDIG_COMP_CNT: 1
	.section	.text._ZN2at6native12_GLOBAL__N_135GammaBetaBackwardCUDAKernelTemplateIN3c104HalfEfLj32ELj8ELj64ELb0ELb1ELb0EEEvllPKT_S7_PKT0_SA_PS5_SB_,"axG",@progbits,_ZN2at6native12_GLOBAL__N_135GammaBetaBackwardCUDAKernelTemplateIN3c104HalfEfLj32ELj8ELj64ELb0ELb1ELb0EEEvllPKT_S7_PKT0_SA_PS5_SB_,comdat
	.globl	_ZN2at6native12_GLOBAL__N_135GammaBetaBackwardCUDAKernelTemplateIN3c104HalfEfLj32ELj8ELj64ELb0ELb1ELb0EEEvllPKT_S7_PKT0_SA_PS5_SB_ ; -- Begin function _ZN2at6native12_GLOBAL__N_135GammaBetaBackwardCUDAKernelTemplateIN3c104HalfEfLj32ELj8ELj64ELb0ELb1ELb0EEEvllPKT_S7_PKT0_SA_PS5_SB_
	.p2align	8
	.type	_ZN2at6native12_GLOBAL__N_135GammaBetaBackwardCUDAKernelTemplateIN3c104HalfEfLj32ELj8ELj64ELb0ELb1ELb0EEEvllPKT_S7_PKT0_SA_PS5_SB_,@function
_ZN2at6native12_GLOBAL__N_135GammaBetaBackwardCUDAKernelTemplateIN3c104HalfEfLj32ELj8ELj64ELb0ELb1ELb0EEEvllPKT_S7_PKT0_SA_PS5_SB_: ; @_ZN2at6native12_GLOBAL__N_135GammaBetaBackwardCUDAKernelTemplateIN3c104HalfEfLj32ELj8ELj64ELb0ELb1ELb0EEEvllPKT_S7_PKT0_SA_PS5_SB_
; %bb.0:
	s_load_b128 s[20:23], s[0:1], 0x0
	s_mov_b32 s3, 0
	s_lshl_b32 s2, s15, 6
	v_bfe_u32 v7, v0, 10, 10
	s_waitcnt lgkmcnt(0)
	v_cmp_lt_i64_e64 s4, s[2:3], s[20:21]
	s_delay_alu instid0(VALU_DEP_1)
	s_and_b32 vcc_lo, exec_lo, s4
	s_cbranch_vccnz .LBB87_2
; %bb.1:
	v_bfe_u32 v2, v0, 10, 10
	s_mov_b32 s5, 0
	s_mov_b32 s4, s3
	s_branch .LBB87_3
.LBB87_2:
	s_mov_b32 s4, -1
                                        ; implicit-def: $sgpr5
                                        ; implicit-def: $vgpr2
.LBB87_3:
	s_load_b128 s[16:19], s[0:1], 0x30
	v_dual_mov_b32 v13, s5 :: v_dual_and_b32 v6, 0x3ff, v0
	v_mov_b32_e32 v17, s5
	s_and_not1_b32 vcc_lo, exec_lo, s4
	s_cbranch_vccnz .LBB87_11
; %bb.4:
	s_clause 0x2
	s_load_b32 s12, s[0:1], 0x4c
	s_load_b32 s15, s[0:1], 0x44
	s_load_b256 s[4:11], s[0:1], 0x10
	v_dual_mov_b32 v1, 0 :: v_dual_lshlrev_b32 v0, 3, v7
	v_dual_mov_b32 v8, 8 :: v_dual_mov_b32 v9, 4
	v_dual_mov_b32 v10, 12 :: v_dual_mov_b32 v11, 16
	s_delay_alu instid0(VALU_DEP_3) | instskip(NEXT) | instid1(VALU_DEP_1)
	v_add_co_u32 v2, s0, v0, s2
	v_add_co_ci_u32_e64 v3, null, 0, 0, s0
	v_lshl_add_u32 v0, s14, 5, v6
	s_delay_alu instid0(VALU_DEP_3) | instskip(SKIP_1) | instid1(VALU_DEP_4)
	v_mul_lo_u32 v13, s23, v2
	v_mad_u64_u32 v[4:5], null, s22, v2, 0
	v_mul_lo_u32 v18, s22, v3
	v_dual_mov_b32 v12, 20 :: v_dual_mov_b32 v15, 28
	s_waitcnt lgkmcnt(0)
	s_and_b32 s0, s12, 0xffff
	s_lshl_b32 s12, s15, 6
	v_mad_u32_u24 v16, v7, s0, v6
	s_mul_i32 s1, s23, s12
	s_mul_hi_u32 s15, s22, s12
	v_add3_u32 v5, v5, v18, v13
	v_mov_b32_e32 v14, 24
	v_dual_mov_b32 v13, 0 :: v_dual_and_b32 v20, 31, v16
	v_lshlrev_b64 v[16:17], 1, v[0:1]
	s_delay_alu instid0(VALU_DEP_4) | instskip(SKIP_1) | instid1(VALU_DEP_3)
	v_lshlrev_b64 v[18:19], 1, v[4:5]
	s_mov_b32 s13, 0
	v_add_co_u32 v2, vcc_lo, v2, v20
	v_add_co_ci_u32_e32 v3, vcc_lo, 0, v3, vcc_lo
	s_delay_alu instid0(VALU_DEP_3) | instskip(SKIP_1) | instid1(VALU_DEP_3)
	v_add_co_u32 v0, vcc_lo, v18, v16
	v_cmp_gt_u32_e64 s0, 8, v20
	v_lshlrev_b64 v[4:5], 2, v[2:3]
	v_add_co_ci_u32_e32 v16, vcc_lo, v19, v17, vcc_lo
	v_mov_b32_e32 v17, 0
	s_add_i32 s27, s15, s1
	s_mul_i32 s26, s22, s12
	s_lshl_b64 s[24:25], s[12:13], 2
	s_lshl_b64 s[26:27], s[26:27], 1
	;; [unrolled: 1-line block ×3, first 2 shown]
	s_branch .LBB87_7
.LBB87_5:                               ;   in Loop: Header=BB87_7 Depth=1
	s_or_b32 exec_lo, exec_lo, s13
.LBB87_6:                               ;   in Loop: Header=BB87_7 Depth=1
	s_delay_alu instid0(SALU_CYCLE_1) | instskip(SKIP_4) | instid1(VALU_DEP_4)
	s_or_b32 exec_lo, exec_lo, s1
	v_add_co_u32 v20, vcc_lo, s4, v0
	v_add_co_ci_u32_e32 v21, vcc_lo, s5, v16, vcc_lo
	v_add_co_u32 v22, vcc_lo, s6, v0
	v_add_co_ci_u32_e32 v23, vcc_lo, s7, v16, vcc_lo
	v_add_co_u32 v24, vcc_lo, v20, s22
	s_delay_alu instid0(VALU_DEP_4) | instskip(NEXT) | instid1(VALU_DEP_4)
	v_add_co_ci_u32_e32 v25, vcc_lo, s23, v21, vcc_lo
	v_add_co_u32 v26, vcc_lo, v22, s22
	s_delay_alu instid0(VALU_DEP_4) | instskip(NEXT) | instid1(VALU_DEP_4)
	v_add_co_ci_u32_e32 v27, vcc_lo, s23, v23, vcc_lo
	v_add_co_u32 v28, vcc_lo, v24, s22
	s_delay_alu instid0(VALU_DEP_4)
	v_add_co_ci_u32_e32 v29, vcc_lo, s23, v25, vcc_lo
	global_load_u16 v30, v[20:21], off
	global_load_u16 v31, v[22:23], off
	;; [unrolled: 1-line block ×5, first 2 shown]
	v_add_co_u32 v20, vcc_lo, v26, s22
	v_add_co_ci_u32_e32 v21, vcc_lo, s23, v27, vcc_lo
	v_add_co_u32 v22, vcc_lo, v28, s22
	v_add_co_ci_u32_e32 v23, vcc_lo, s23, v29, vcc_lo
	s_delay_alu instid0(VALU_DEP_4) | instskip(NEXT) | instid1(VALU_DEP_4)
	v_add_co_u32 v24, vcc_lo, v20, s22
	v_add_co_ci_u32_e32 v25, vcc_lo, s23, v21, vcc_lo
	s_delay_alu instid0(VALU_DEP_4) | instskip(NEXT) | instid1(VALU_DEP_4)
	;; [unrolled: 3-line block ×3, first 2 shown]
	v_add_co_u32 v28, vcc_lo, v24, s22
	v_add_co_ci_u32_e32 v29, vcc_lo, s23, v25, vcc_lo
	global_load_u16 v35, v[20:21], off
	global_load_u16 v36, v[22:23], off
	;; [unrolled: 1-line block ×5, first 2 shown]
	v_add_co_u32 v20, vcc_lo, v26, s22
	v_add_co_ci_u32_e32 v21, vcc_lo, s23, v27, vcc_lo
	v_add_co_u32 v22, vcc_lo, v28, s22
	v_add_co_ci_u32_e32 v23, vcc_lo, s23, v29, vcc_lo
	s_delay_alu instid0(VALU_DEP_4) | instskip(NEXT) | instid1(VALU_DEP_4)
	v_add_co_u32 v24, vcc_lo, v20, s22
	v_add_co_ci_u32_e32 v25, vcc_lo, s23, v21, vcc_lo
	s_delay_alu instid0(VALU_DEP_4) | instskip(NEXT) | instid1(VALU_DEP_4)
	v_add_co_u32 v26, vcc_lo, v22, s22
	v_add_co_ci_u32_e32 v27, vcc_lo, s23, v23, vcc_lo
	global_load_u16 v28, v[20:21], off
	global_load_u16 v29, v[22:23], off
	;; [unrolled: 1-line block ×4, first 2 shown]
	v_add_co_u32 v20, vcc_lo, v26, s22
	v_add_co_ci_u32_e32 v21, vcc_lo, s23, v27, vcc_lo
	v_add_co_u32 v22, vcc_lo, v24, s22
	v_add_co_ci_u32_e32 v23, vcc_lo, s23, v25, vcc_lo
	global_load_u16 v20, v[20:21], off
	global_load_u16 v21, v[22:23], off
	s_waitcnt vmcnt(17)
	ds_bpermute_b32 v22, v1, v18
	ds_bpermute_b32 v25, v9, v18
	s_waitcnt vmcnt(16)
	ds_bpermute_b32 v23, v1, v19
	ds_bpermute_b32 v27, v8, v18
	;; [unrolled: 1-line block ×14, first 2 shown]
	v_add_co_u32 v4, vcc_lo, v4, s24
	s_add_u32 s2, s2, s12
	v_add_co_ci_u32_e32 v5, vcc_lo, s25, v5, vcc_lo
	s_addc_u32 s3, s3, 0
	v_add_co_u32 v2, vcc_lo, v2, s12
	v_add_co_ci_u32_e32 v3, vcc_lo, 0, v3, vcc_lo
	v_cmp_lt_i64_e64 s1, s[2:3], s[20:21]
	v_add_co_u32 v0, vcc_lo, v0, s26
	v_add_co_ci_u32_e32 v16, vcc_lo, s27, v16, vcc_lo
	s_delay_alu instid0(VALU_DEP_3)
	s_and_b32 vcc_lo, exec_lo, s1
	s_waitcnt vmcnt(15)
	v_cvt_f32_f16_e32 v30, v30
	s_waitcnt vmcnt(14)
	v_cvt_f32_f16_e32 v31, v31
	;; [unrolled: 2-line block ×3, first 2 shown]
	s_waitcnt lgkmcnt(15)
	s_delay_alu instid0(VALU_DEP_2)
	v_sub_f32_e32 v22, v31, v22
	v_cvt_f32_f16_e32 v31, v32
	s_waitcnt lgkmcnt(14)
	v_sub_f32_e32 v25, v33, v25
	s_waitcnt vmcnt(10)
	v_cvt_f32_f16_e32 v32, v35
	v_mul_f32_e32 v22, v22, v30
	s_waitcnt lgkmcnt(13)
	s_delay_alu instid0(VALU_DEP_1)
	v_fmac_f32_e32 v13, v22, v23
	v_mul_f32_e32 v22, v25, v31
	s_waitcnt lgkmcnt(12)
	v_sub_f32_e32 v23, v32, v27
	s_waitcnt vmcnt(8)
	v_cvt_f32_f16_e32 v25, v37
	v_cvt_f32_f16_e32 v27, v36
	v_add_f32_e32 v17, v17, v30
	v_cvt_f32_f16_e32 v30, v34
	s_waitcnt lgkmcnt(11)
	v_fmac_f32_e32 v13, v22, v24
	s_waitcnt vmcnt(6)
	v_cvt_f32_f16_e32 v24, v39
	v_mul_f32_e32 v22, v23, v30
	s_waitcnt lgkmcnt(9)
	s_delay_alu instid0(VALU_DEP_1)
	v_fmac_f32_e32 v13, v22, v26
	s_waitcnt vmcnt(5)
	v_cvt_f32_f16_e32 v26, v28
	s_waitcnt vmcnt(1)
	v_cvt_f32_f16_e32 v20, v20
	v_sub_f32_e32 v23, v25, v43
	v_cvt_f32_f16_e32 v25, v38
	s_waitcnt vmcnt(0)
	v_cvt_f32_f16_e32 v21, v21
	s_waitcnt lgkmcnt(5)
	v_sub_f32_e32 v18, v20, v18
	v_dual_mul_f32 v22, v23, v27 :: v_dual_sub_f32 v23, v24, v45
	v_cvt_f32_f16_e32 v24, v29
	s_delay_alu instid0(VALU_DEP_3) | instskip(SKIP_1) | instid1(VALU_DEP_3)
	v_dual_add_f32 v17, v17, v31 :: v_dual_mul_f32 v18, v18, v21
	s_waitcnt lgkmcnt(4)
	v_dual_fmac_f32 v13, v22, v42 :: v_dual_mul_f32 v22, v23, v25
	s_delay_alu instid0(VALU_DEP_3) | instskip(SKIP_2) | instid1(VALU_DEP_2)
	v_sub_f32_e32 v23, v24, v47
	v_cvt_f32_f16_e32 v24, v41
	s_waitcnt lgkmcnt(3)
	v_dual_fmac_f32 v13, v22, v44 :: v_dual_mul_f32 v22, v23, v26
	s_delay_alu instid0(VALU_DEP_2) | instskip(SKIP_2) | instid1(VALU_DEP_3)
	v_sub_f32_e32 v23, v24, v49
	v_add_f32_e32 v17, v17, v30
	s_waitcnt lgkmcnt(2)
	v_fmac_f32_e32 v13, v22, v46
	s_delay_alu instid0(VALU_DEP_2) | instskip(NEXT) | instid1(VALU_DEP_1)
	v_add_f32_e32 v17, v17, v27
	v_add_f32_e32 v17, v17, v25
	v_cvt_f32_f16_e32 v25, v40
	s_delay_alu instid0(VALU_DEP_1) | instskip(NEXT) | instid1(VALU_DEP_1)
	v_dual_add_f32 v17, v17, v26 :: v_dual_mul_f32 v22, v23, v25
	v_add_f32_e32 v17, v17, v25
	s_waitcnt lgkmcnt(1)
	s_delay_alu instid0(VALU_DEP_2) | instskip(NEXT) | instid1(VALU_DEP_2)
	v_fmac_f32_e32 v13, v22, v48
	v_add_f32_e32 v17, v17, v21
	s_waitcnt lgkmcnt(0)
	s_delay_alu instid0(VALU_DEP_2)
	v_fmac_f32_e32 v13, v18, v19
	s_cbranch_vccz .LBB87_10
.LBB87_7:                               ; =>This Inner Loop Header: Depth=1
	v_dual_mov_b32 v19, 0 :: v_dual_mov_b32 v18, 0
	s_and_saveexec_b32 s1, s0
	s_cbranch_execz .LBB87_6
; %bb.8:                                ;   in Loop: Header=BB87_7 Depth=1
	v_dual_mov_b32 v18, 0 :: v_dual_mov_b32 v19, 0
	s_mov_b32 s13, exec_lo
	v_cmpx_gt_i64_e64 s[20:21], v[2:3]
	s_cbranch_execz .LBB87_5
; %bb.9:                                ;   in Loop: Header=BB87_7 Depth=1
	v_add_co_u32 v18, vcc_lo, s8, v4
	v_add_co_ci_u32_e32 v19, vcc_lo, s9, v5, vcc_lo
	v_add_co_u32 v20, vcc_lo, s10, v4
	v_add_co_ci_u32_e32 v21, vcc_lo, s11, v5, vcc_lo
	global_load_b32 v18, v[18:19], off
	global_load_b32 v19, v[20:21], off
	s_branch .LBB87_5
.LBB87_10:
	v_mov_b32_e32 v2, v7
.LBB87_11:
	s_delay_alu instid0(VALU_DEP_2) | instskip(NEXT) | instid1(VALU_DEP_2)
	v_lshrrev_b32_e32 v3, 5, v6
	v_mad_u32_u24 v1, v2, 33, v6
	s_mov_b32 s15, 0
	s_mov_b32 s0, exec_lo
	s_delay_alu instid0(VALU_DEP_2) | instskip(NEXT) | instid1(VALU_DEP_2)
	v_add_nc_u32_e32 v0, v3, v2
	v_lshl_add_u32 v1, v1, 2, 0
	ds_store_b32 v1, v13
	ds_store_b32 v1, v17 offset:1056
	s_waitcnt lgkmcnt(0)
	s_barrier
	buffer_gl0_inv
	v_cmpx_gt_u32_e32 32, v0
	s_cbranch_execz .LBB87_21
; %bb.12:
	v_mbcnt_lo_u32_b32 v1, -1, 0
	s_lshl_b64 s[4:5], s[14:15], 5
	v_cmp_eq_u32_e64 s0, 0, v6
	s_cmp_lg_u64 s[16:17], 0
	s_cselect_b32 s3, -1, 0
	v_xor_b32_e32 v5, 4, v1
	v_xor_b32_e32 v8, 2, v1
	;; [unrolled: 1-line block ×3, first 2 shown]
	s_cmp_lg_u64 s[18:19], 0
	s_delay_alu instid0(VALU_DEP_3)
	v_cmp_gt_i32_e32 vcc_lo, 32, v5
	v_and_b32_e32 v4, 31, v6
	v_or_b32_e32 v6, s4, v3
	s_cselect_b32 s4, -1, 0
	v_cndmask_b32_e32 v7, v1, v5, vcc_lo
	v_cmp_gt_i32_e32 vcc_lo, 32, v8
	v_cmp_gt_u32_e64 s1, 8, v4
	v_mul_u32_u24_e32 v10, 33, v4
	v_add_co_u32 v4, s2, v6, v2
	s_delay_alu instid0(VALU_DEP_1)
	v_add_co_ci_u32_e64 v5, null, s5, 0, s2
	v_cndmask_b32_e32 v6, v1, v8, vcc_lo
	v_cmp_gt_i32_e32 vcc_lo, 32, v9
	v_add3_u32 v10, v10, v2, v3
	v_cndmask_b32_e32 v1, v1, v9, vcc_lo
	v_lshlrev_b64 v[8:9], 1, v[4:5]
	v_lshlrev_b32_e32 v4, 2, v7
	v_add_nc_u32_e32 v7, -8, v0
	v_lshlrev_b32_e32 v5, 2, v6
	v_lshlrev_b32_e32 v6, 2, v1
	v_add_co_u32 v0, vcc_lo, s18, v8
	v_add_co_ci_u32_e32 v1, vcc_lo, s19, v9, vcc_lo
	v_add_co_u32 v2, vcc_lo, s16, v8
	v_add_co_ci_u32_e32 v3, vcc_lo, s17, v9, vcc_lo
	v_lshl_add_u32 v8, v10, 2, 0
                                        ; implicit-def: $vgpr9
                                        ; implicit-def: $vgpr10
	s_branch .LBB87_14
.LBB87_13:                              ;   in Loop: Header=BB87_14 Depth=1
	s_or_b32 exec_lo, exec_lo, s2
	v_add_nc_u32_e32 v7, 8, v7
	v_add_co_u32 v0, vcc_lo, v0, 16
	v_add_co_ci_u32_e32 v1, vcc_lo, 0, v1, vcc_lo
	s_delay_alu instid0(VALU_DEP_3) | instskip(SKIP_1) | instid1(VALU_DEP_1)
	v_cmp_lt_u32_e32 vcc_lo, 23, v7
	v_add_co_u32 v2, s2, v2, 16
	v_add_co_ci_u32_e64 v3, s2, 0, v3, s2
	v_add_nc_u32_e32 v8, 32, v8
	s_or_b32 s15, vcc_lo, s15
	s_delay_alu instid0(SALU_CYCLE_1)
	s_and_not1_b32 exec_lo, exec_lo, s15
	s_cbranch_execz .LBB87_21
.LBB87_14:                              ; =>This Inner Loop Header: Depth=1
	s_and_saveexec_b32 s2, s1
	s_cbranch_execz .LBB87_16
; %bb.15:                               ;   in Loop: Header=BB87_14 Depth=1
	ds_load_b32 v9, v8
	ds_load_b32 v10, v8 offset:1056
.LBB87_16:                              ;   in Loop: Header=BB87_14 Depth=1
	s_or_b32 exec_lo, exec_lo, s2
	s_waitcnt lgkmcnt(1)
	ds_bpermute_b32 v11, v4, v9
	s_waitcnt lgkmcnt(1)
	ds_bpermute_b32 v12, v4, v10
	s_waitcnt lgkmcnt(0)
	v_dual_add_f32 v9, v9, v11 :: v_dual_add_f32 v10, v10, v12
	ds_bpermute_b32 v11, v5, v9
	ds_bpermute_b32 v12, v5, v10
	s_waitcnt lgkmcnt(0)
	v_dual_add_f32 v9, v9, v11 :: v_dual_add_f32 v10, v10, v12
	ds_bpermute_b32 v11, v6, v9
	ds_bpermute_b32 v12, v6, v10
	s_waitcnt lgkmcnt(0)
	v_dual_add_f32 v9, v9, v11 :: v_dual_add_f32 v10, v10, v12
	s_and_saveexec_b32 s2, s0
	s_cbranch_execz .LBB87_13
; %bb.17:                               ;   in Loop: Header=BB87_14 Depth=1
	s_and_not1_b32 vcc_lo, exec_lo, s3
	s_cbranch_vccnz .LBB87_19
; %bb.18:                               ;   in Loop: Header=BB87_14 Depth=1
	v_cvt_f16_f32_e32 v11, v9
	global_store_b16 v[2:3], v11, off
.LBB87_19:                              ;   in Loop: Header=BB87_14 Depth=1
	s_and_not1_b32 vcc_lo, exec_lo, s4
	s_cbranch_vccnz .LBB87_13
; %bb.20:                               ;   in Loop: Header=BB87_14 Depth=1
	v_cvt_f16_f32_e32 v11, v10
	global_store_b16 v[0:1], v11, off
	s_branch .LBB87_13
.LBB87_21:
	s_nop 0
	s_sendmsg sendmsg(MSG_DEALLOC_VGPRS)
	s_endpgm
	.section	.rodata,"a",@progbits
	.p2align	6, 0x0
	.amdhsa_kernel _ZN2at6native12_GLOBAL__N_135GammaBetaBackwardCUDAKernelTemplateIN3c104HalfEfLj32ELj8ELj64ELb0ELb1ELb0EEEvllPKT_S7_PKT0_SA_PS5_SB_
		.amdhsa_group_segment_fixed_size 0
		.amdhsa_private_segment_fixed_size 0
		.amdhsa_kernarg_size 320
		.amdhsa_user_sgpr_count 14
		.amdhsa_user_sgpr_dispatch_ptr 0
		.amdhsa_user_sgpr_queue_ptr 0
		.amdhsa_user_sgpr_kernarg_segment_ptr 1
		.amdhsa_user_sgpr_dispatch_id 0
		.amdhsa_user_sgpr_private_segment_size 0
		.amdhsa_wavefront_size32 1
		.amdhsa_uses_dynamic_stack 0
		.amdhsa_enable_private_segment 0
		.amdhsa_system_sgpr_workgroup_id_x 1
		.amdhsa_system_sgpr_workgroup_id_y 1
		.amdhsa_system_sgpr_workgroup_id_z 0
		.amdhsa_system_sgpr_workgroup_info 0
		.amdhsa_system_vgpr_workitem_id 1
		.amdhsa_next_free_vgpr 50
		.amdhsa_next_free_sgpr 28
		.amdhsa_reserve_vcc 1
		.amdhsa_float_round_mode_32 0
		.amdhsa_float_round_mode_16_64 0
		.amdhsa_float_denorm_mode_32 3
		.amdhsa_float_denorm_mode_16_64 3
		.amdhsa_dx10_clamp 1
		.amdhsa_ieee_mode 1
		.amdhsa_fp16_overflow 0
		.amdhsa_workgroup_processor_mode 1
		.amdhsa_memory_ordered 1
		.amdhsa_forward_progress 0
		.amdhsa_shared_vgpr_count 0
		.amdhsa_exception_fp_ieee_invalid_op 0
		.amdhsa_exception_fp_denorm_src 0
		.amdhsa_exception_fp_ieee_div_zero 0
		.amdhsa_exception_fp_ieee_overflow 0
		.amdhsa_exception_fp_ieee_underflow 0
		.amdhsa_exception_fp_ieee_inexact 0
		.amdhsa_exception_int_div_zero 0
	.end_amdhsa_kernel
	.section	.text._ZN2at6native12_GLOBAL__N_135GammaBetaBackwardCUDAKernelTemplateIN3c104HalfEfLj32ELj8ELj64ELb0ELb1ELb0EEEvllPKT_S7_PKT0_SA_PS5_SB_,"axG",@progbits,_ZN2at6native12_GLOBAL__N_135GammaBetaBackwardCUDAKernelTemplateIN3c104HalfEfLj32ELj8ELj64ELb0ELb1ELb0EEEvllPKT_S7_PKT0_SA_PS5_SB_,comdat
.Lfunc_end87:
	.size	_ZN2at6native12_GLOBAL__N_135GammaBetaBackwardCUDAKernelTemplateIN3c104HalfEfLj32ELj8ELj64ELb0ELb1ELb0EEEvllPKT_S7_PKT0_SA_PS5_SB_, .Lfunc_end87-_ZN2at6native12_GLOBAL__N_135GammaBetaBackwardCUDAKernelTemplateIN3c104HalfEfLj32ELj8ELj64ELb0ELb1ELb0EEEvllPKT_S7_PKT0_SA_PS5_SB_
                                        ; -- End function
	.section	.AMDGPU.csdata,"",@progbits
; Kernel info:
; codeLenInByte = 1848
; NumSgprs: 30
; NumVgprs: 50
; ScratchSize: 0
; MemoryBound: 0
; FloatMode: 240
; IeeeMode: 1
; LDSByteSize: 0 bytes/workgroup (compile time only)
; SGPRBlocks: 3
; VGPRBlocks: 6
; NumSGPRsForWavesPerEU: 30
; NumVGPRsForWavesPerEU: 50
; Occupancy: 16
; WaveLimiterHint : 0
; COMPUTE_PGM_RSRC2:SCRATCH_EN: 0
; COMPUTE_PGM_RSRC2:USER_SGPR: 14
; COMPUTE_PGM_RSRC2:TRAP_HANDLER: 0
; COMPUTE_PGM_RSRC2:TGID_X_EN: 1
; COMPUTE_PGM_RSRC2:TGID_Y_EN: 1
; COMPUTE_PGM_RSRC2:TGID_Z_EN: 0
; COMPUTE_PGM_RSRC2:TIDIG_COMP_CNT: 1
	.section	.text._ZN2at6native12_GLOBAL__N_135GammaBetaBackwardCUDAKernelTemplateIN3c104HalfEfLj32ELj8ELj64ELb0ELb0ELb0EEEvllPKT_S7_PKT0_SA_PS5_SB_,"axG",@progbits,_ZN2at6native12_GLOBAL__N_135GammaBetaBackwardCUDAKernelTemplateIN3c104HalfEfLj32ELj8ELj64ELb0ELb0ELb0EEEvllPKT_S7_PKT0_SA_PS5_SB_,comdat
	.globl	_ZN2at6native12_GLOBAL__N_135GammaBetaBackwardCUDAKernelTemplateIN3c104HalfEfLj32ELj8ELj64ELb0ELb0ELb0EEEvllPKT_S7_PKT0_SA_PS5_SB_ ; -- Begin function _ZN2at6native12_GLOBAL__N_135GammaBetaBackwardCUDAKernelTemplateIN3c104HalfEfLj32ELj8ELj64ELb0ELb0ELb0EEEvllPKT_S7_PKT0_SA_PS5_SB_
	.p2align	8
	.type	_ZN2at6native12_GLOBAL__N_135GammaBetaBackwardCUDAKernelTemplateIN3c104HalfEfLj32ELj8ELj64ELb0ELb0ELb0EEEvllPKT_S7_PKT0_SA_PS5_SB_,@function
_ZN2at6native12_GLOBAL__N_135GammaBetaBackwardCUDAKernelTemplateIN3c104HalfEfLj32ELj8ELj64ELb0ELb0ELb0EEEvllPKT_S7_PKT0_SA_PS5_SB_: ; @_ZN2at6native12_GLOBAL__N_135GammaBetaBackwardCUDAKernelTemplateIN3c104HalfEfLj32ELj8ELj64ELb0ELb0ELb0EEEvllPKT_S7_PKT0_SA_PS5_SB_
; %bb.0:
	s_clause 0x1
	s_load_b256 s[4:11], s[0:1], 0x0
	s_load_b128 s[24:27], s[0:1], 0x20
	s_mov_b32 s29, 0
	s_lshl_b32 s12, s15, 6
	s_mov_b32 s13, s29
	s_lshl_b32 s33, s14, 5
	s_delay_alu instid0(SALU_CYCLE_1) | instskip(SKIP_3) | instid1(VALU_DEP_2)
	s_or_b32 s28, s33, 31
	s_waitcnt lgkmcnt(0)
	v_cmp_lt_i64_e64 s15, s[12:13], s[4:5]
	v_cmp_ge_i64_e64 s2, s[28:29], s[6:7]
	v_cndmask_b32_e64 v1, 0, 1, s15
	s_delay_alu instid0(VALU_DEP_2) | instskip(NEXT) | instid1(VALU_DEP_1)
	s_and_b32 vcc_lo, exec_lo, s2
	v_cmp_ne_u32_e64 s2, 1, v1
	s_cbranch_vccz .LBB88_49
; %bb.1:
	v_dual_mov_b32 v1, 0 :: v_dual_mov_b32 v58, 0
	s_delay_alu instid0(VALU_DEP_2)
	s_and_b32 vcc_lo, exec_lo, s2
	s_cbranch_vccnz .LBB88_50
; %bb.2:
	v_bfe_u32 v27, v0, 10, 10
	s_load_b32 s3, s[0:1], 0x44
	v_dual_mov_b32 v2, 0 :: v_dual_and_b32 v29, 0x3ff, v0
	s_add_u32 s30, s0, 64
	s_delay_alu instid0(VALU_DEP_2) | instskip(NEXT) | instid1(VALU_DEP_2)
	v_dual_mov_b32 v63, 0 :: v_dual_lshlrev_b32 v28, 3, v27
	v_dual_mov_b32 v58, 0 :: v_dual_add_nc_u32 v1, s33, v29
	s_addc_u32 s31, s1, 0
	s_delay_alu instid0(VALU_DEP_2) | instskip(NEXT) | instid1(VALU_DEP_1)
	v_add_co_u32 v9, s2, v28, s12
	v_add_co_ci_u32_e64 v10, null, 0, 0, s2
	s_delay_alu instid0(VALU_DEP_3) | instskip(NEXT) | instid1(VALU_DEP_3)
	v_cmp_gt_i64_e64 s2, s[6:7], v[1:2]
	v_add_co_u32 v5, vcc_lo, v9, 7
	s_delay_alu instid0(VALU_DEP_3) | instskip(SKIP_1) | instid1(VALU_DEP_3)
	v_add_co_ci_u32_e32 v3, vcc_lo, 0, v10, vcc_lo
	v_add_co_u32 v8, vcc_lo, v9, 6
	v_mul_lo_u32 v6, s7, v5
	s_delay_alu instid0(VALU_DEP_3)
	v_mul_lo_u32 v7, s6, v3
	v_mad_u64_u32 v[3:4], null, s6, v5, 0
	v_add_co_ci_u32_e32 v5, vcc_lo, 0, v10, vcc_lo
	v_lshlrev_b64 v[25:26], 1, v[1:2]
	v_mul_lo_u32 v1, s7, v8
	s_waitcnt lgkmcnt(0)
	s_lshl_b32 s28, s3, 6
	s_mov_b32 s16, 0
	s_delay_alu instid0(VALU_DEP_4) | instskip(SKIP_3) | instid1(VALU_DEP_3)
	v_add3_u32 v4, v4, v7, v6
	v_mul_lo_u32 v7, s6, v5
	v_mad_u64_u32 v[5:6], null, s6, v8, 0
	s_mul_i32 s3, s7, s28
	v_lshlrev_b64 v[3:4], 1, v[3:4]
	s_mul_hi_u32 s17, s6, s28
	s_mul_i32 s18, s6, s28
	s_add_i32 s19, s17, s3
	s_mov_b64 s[38:39], s[12:13]
	s_delay_alu instid0(VALU_DEP_2) | instskip(SKIP_4) | instid1(VALU_DEP_1)
	v_add3_u32 v6, v6, v7, v1
	v_add_co_u32 v30, vcc_lo, s8, v3
	v_add_co_ci_u32_e32 v31, vcc_lo, s9, v4, vcc_lo
	v_add_co_u32 v1, vcc_lo, v9, 5
	v_add_co_u32 v32, s3, s10, v3
	v_add_co_ci_u32_e64 v33, s3, s11, v4, s3
	v_lshlrev_b64 v[3:4], 1, v[5:6]
	v_add_co_ci_u32_e32 v5, vcc_lo, 0, v10, vcc_lo
	v_add_co_u32 v12, vcc_lo, v9, 4
	v_mul_lo_u32 v11, s7, v1
	s_delay_alu instid0(VALU_DEP_3) | instskip(SKIP_4) | instid1(VALU_DEP_3)
	v_mul_lo_u32 v13, s6, v5
	v_mad_u64_u32 v[5:6], null, s6, v1, 0
	v_add_co_ci_u32_e32 v7, vcc_lo, 0, v10, vcc_lo
	v_mul_lo_u32 v1, s7, v12
	v_add_co_u32 v34, vcc_lo, s8, v3
	v_mul_lo_u32 v14, s6, v7
	v_mad_u64_u32 v[7:8], null, s6, v12, 0
	v_add3_u32 v6, v6, v13, v11
	v_add_co_ci_u32_e32 v35, vcc_lo, s9, v4, vcc_lo
	v_add_co_u32 v36, vcc_lo, s10, v3
	v_add_co_ci_u32_e32 v37, vcc_lo, s11, v4, vcc_lo
	s_delay_alu instid0(VALU_DEP_4) | instskip(SKIP_3) | instid1(VALU_DEP_4)
	v_lshlrev_b64 v[3:4], 1, v[5:6]
	v_add3_u32 v8, v8, v14, v1
	v_add_co_u32 v1, vcc_lo, v9, 3
	v_add_co_ci_u32_e32 v11, vcc_lo, 0, v10, vcc_lo
	v_add_co_u32 v38, vcc_lo, s8, v3
	s_delay_alu instid0(VALU_DEP_4)
	v_lshlrev_b64 v[5:6], 1, v[7:8]
	v_add_co_ci_u32_e32 v39, vcc_lo, s9, v4, vcc_lo
	v_mul_lo_u32 v12, s7, v1
	v_mul_lo_u32 v11, s6, v11
	v_mad_u64_u32 v[7:8], null, s6, v1, 0
	v_add_co_u32 v40, vcc_lo, s10, v3
	v_add_co_ci_u32_e32 v41, vcc_lo, s11, v4, vcc_lo
	v_add_co_u32 v42, vcc_lo, s8, v5
	v_add_co_ci_u32_e32 v43, vcc_lo, s9, v6, vcc_lo
	v_add_co_u32 v1, vcc_lo, v9, 2
	v_add3_u32 v8, v8, v11, v12
	v_add_co_ci_u32_e32 v11, vcc_lo, 0, v10, vcc_lo
	v_add_co_u32 v44, vcc_lo, s10, v5
	v_add_co_ci_u32_e32 v45, vcc_lo, s11, v6, vcc_lo
	v_mul_lo_u32 v12, s7, v1
	s_delay_alu instid0(VALU_DEP_4)
	v_mul_lo_u32 v11, s6, v11
	v_mad_u64_u32 v[5:6], null, s6, v1, 0
	v_lshlrev_b64 v[3:4], 1, v[7:8]
	v_mul_lo_u32 v1, s7, v9
	v_mul_lo_u32 v10, s6, v10
	v_mad_u64_u32 v[7:8], null, s6, v9, 0
	s_lshl_b64 s[34:35], s[18:19], 1
	s_delay_alu instid0(VALU_DEP_4)
	v_add_co_u32 v46, vcc_lo, s8, v3
	v_add3_u32 v6, v6, v11, v12
	v_add_co_ci_u32_e32 v47, vcc_lo, s9, v4, vcc_lo
	v_add_co_u32 v48, vcc_lo, s10, v3
	v_add3_u32 v8, v8, v10, v1
	v_add_co_ci_u32_e32 v49, vcc_lo, s11, v4, vcc_lo
	v_lshlrev_b64 v[3:4], 1, v[5:6]
	v_add_co_u32 v5, vcc_lo, v7, s6
	s_delay_alu instid0(VALU_DEP_4) | instskip(SKIP_1) | instid1(VALU_DEP_3)
	v_add_co_ci_u32_e32 v6, vcc_lo, s7, v8, vcc_lo
	s_add_u32 s36, s12, 63
	v_add_co_u32 v50, vcc_lo, s8, v3
	s_delay_alu instid0(VALU_DEP_2) | instskip(SKIP_3) | instid1(VALU_DEP_4)
	v_lshlrev_b64 v[5:6], 1, v[5:6]
	v_add_co_ci_u32_e32 v51, vcc_lo, s9, v4, vcc_lo
	v_add_co_u32 v52, vcc_lo, s10, v3
	v_add_co_ci_u32_e32 v53, vcc_lo, s11, v4, vcc_lo
	v_add_co_u32 v54, vcc_lo, s8, v5
	v_lshlrev_b64 v[3:4], 1, v[7:8]
	v_add_co_ci_u32_e32 v55, vcc_lo, s9, v6, vcc_lo
	v_add_co_u32 v56, vcc_lo, s10, v5
	v_add_co_ci_u32_e32 v57, vcc_lo, s11, v6, vcc_lo
	s_delay_alu instid0(VALU_DEP_4)
	v_add_co_u32 v59, vcc_lo, s8, v3
	v_add_co_ci_u32_e32 v60, vcc_lo, s9, v4, vcc_lo
	v_add_co_u32 v61, vcc_lo, s10, v3
	v_add_co_ci_u32_e32 v62, vcc_lo, s11, v4, vcc_lo
	s_addc_u32 s37, 0, 0
.LBB88_3:                               ; =>This Inner Loop Header: Depth=1
	s_delay_alu instid0(SALU_CYCLE_1) | instskip(SKIP_1) | instid1(VALU_DEP_1)
	v_cmp_ge_i64_e64 s3, s[36:37], s[4:5]
	v_add_co_u32 v64, s17, v28, s36
	v_add_co_ci_u32_e64 v65, null, 0, s37, s17
	s_delay_alu instid0(VALU_DEP_3)
	s_and_b32 vcc_lo, exec_lo, s3
	s_cbranch_vccz .LBB88_25
; %bb.4:                                ;   in Loop: Header=BB88_3 Depth=1
	s_load_b32 s3, s[30:31], 0xc
	v_dual_mov_b32 v67, 0 :: v_dual_mov_b32 v66, 0
	s_waitcnt lgkmcnt(0)
	s_and_b32 s3, s3, 0xffff
	s_delay_alu instid0(SALU_CYCLE_1) | instskip(SKIP_1) | instid1(VALU_DEP_1)
	v_mad_u32_u24 v1, v27, s3, v29
	s_mov_b32 s3, exec_lo
	v_and_b32_e32 v1, 31, v1
	s_delay_alu instid0(VALU_DEP_1)
	v_cmpx_gt_u32_e32 8, v1
	s_cbranch_execz .LBB88_8
; %bb.5:                                ;   in Loop: Header=BB88_3 Depth=1
	v_add_co_u32 v1, vcc_lo, v64, v1
	v_add_co_ci_u32_e32 v4, vcc_lo, 0, v65, vcc_lo
	v_dual_mov_b32 v66, 0 :: v_dual_mov_b32 v67, 0
	s_delay_alu instid0(VALU_DEP_3) | instskip(NEXT) | instid1(VALU_DEP_3)
	v_add_co_u32 v3, vcc_lo, 0xffffffc1, v1
	v_add_co_ci_u32_e32 v4, vcc_lo, -1, v4, vcc_lo
	s_mov_b32 s17, exec_lo
	s_delay_alu instid0(VALU_DEP_1)
	v_cmpx_gt_i64_e64 s[4:5], v[3:4]
	s_cbranch_execz .LBB88_7
; %bb.6:                                ;   in Loop: Header=BB88_3 Depth=1
	v_lshlrev_b64 v[3:4], 2, v[3:4]
	s_delay_alu instid0(VALU_DEP_1) | instskip(NEXT) | instid1(VALU_DEP_2)
	v_add_co_u32 v5, vcc_lo, s24, v3
	v_add_co_ci_u32_e32 v6, vcc_lo, s25, v4, vcc_lo
	v_add_co_u32 v3, vcc_lo, s26, v3
	v_add_co_ci_u32_e32 v4, vcc_lo, s27, v4, vcc_lo
	global_load_b32 v66, v[5:6], off
	global_load_b32 v67, v[3:4], off
.LBB88_7:                               ;   in Loop: Header=BB88_3 Depth=1
	s_or_b32 exec_lo, exec_lo, s17
.LBB88_8:                               ;   in Loop: Header=BB88_3 Depth=1
	s_delay_alu instid0(SALU_CYCLE_1)
	s_or_b32 exec_lo, exec_lo, s3
	v_add_co_u32 v3, vcc_lo, 0xffffffc1, v64
	v_add_co_ci_u32_e32 v4, vcc_lo, -1, v65, vcc_lo
	s_mov_b32 s22, s16
	s_mov_b32 s23, s16
	;; [unrolled: 1-line block ×7, first 2 shown]
	v_dual_mov_b32 v9, s16 :: v_dual_mov_b32 v10, s17
	v_dual_mov_b32 v15, s22 :: v_dual_mov_b32 v16, s23
	;; [unrolled: 1-line block ×4, first 2 shown]
	v_cmp_gt_i64_e32 vcc_lo, s[4:5], v[3:4]
	s_delay_alu instid0(VALU_DEP_4) | instskip(NEXT) | instid1(VALU_DEP_3)
	v_dual_mov_b32 v24, v16 :: v_dual_mov_b32 v23, v15
	v_dual_mov_b32 v21, v13 :: v_dual_mov_b32 v22, v14
	;; [unrolled: 1-line block ×4, first 2 shown]
	s_and_b32 s17, s2, vcc_lo
	s_delay_alu instid0(SALU_CYCLE_1)
	s_and_saveexec_b32 s3, s17
	s_cbranch_execz .LBB88_10
; %bb.9:                                ;   in Loop: Header=BB88_3 Depth=1
	v_add_co_u32 v3, vcc_lo, v59, v25
	v_add_co_ci_u32_e32 v4, vcc_lo, v60, v26, vcc_lo
	v_add_co_u32 v5, vcc_lo, v61, v25
	v_add_co_ci_u32_e32 v6, vcc_lo, v62, v26, vcc_lo
	v_mov_b32_e32 v8, v2
	global_load_u16 v1, v[3:4], off
	global_load_u16 v9, v[5:6], off
	v_mov_b32_e32 v3, v2
	v_mov_b32_e32 v4, v2
	v_mov_b32_e32 v5, v2
	v_mov_b32_e32 v6, v2
	v_mov_b32_e32 v7, v2
	v_mov_b32_e32 v15, v2
	s_waitcnt vmcnt(1)
	v_cvt_f32_f16_e32 v1, v1
	v_dual_mov_b32 v11, v2 :: v_dual_mov_b32 v24, v8
	v_dual_mov_b32 v10, v2 :: v_dual_mov_b32 v23, v7
	s_waitcnt vmcnt(0)
	v_cvt_f32_f16_e32 v9, v9
	v_dual_mov_b32 v12, v2 :: v_dual_mov_b32 v21, v5
	v_dual_mov_b32 v13, v2 :: v_dual_mov_b32 v20, v4
	;; [unrolled: 1-line block ×4, first 2 shown]
	v_mov_b32_e32 v22, v6
	v_mov_b32_e32 v18, v2
.LBB88_10:                              ;   in Loop: Header=BB88_3 Depth=1
	s_or_b32 exec_lo, exec_lo, s3
	v_add_co_u32 v3, vcc_lo, 0xffffffc2, v64
	v_add_co_ci_u32_e32 v4, vcc_lo, -1, v65, vcc_lo
	s_delay_alu instid0(VALU_DEP_1) | instskip(SKIP_1) | instid1(SALU_CYCLE_1)
	v_cmp_gt_i64_e32 vcc_lo, s[4:5], v[3:4]
	s_and_b32 s17, s2, vcc_lo
	s_and_saveexec_b32 s3, s17
	s_cbranch_execz .LBB88_12
; %bb.11:                               ;   in Loop: Header=BB88_3 Depth=1
	v_add_co_u32 v3, vcc_lo, v54, v25
	v_add_co_ci_u32_e32 v4, vcc_lo, v55, v26, vcc_lo
	v_add_co_u32 v5, vcc_lo, v56, v25
	v_add_co_ci_u32_e32 v6, vcc_lo, v57, v26, vcc_lo
	global_load_u16 v1, v[3:4], off
	global_load_u16 v3, v[5:6], off
	s_waitcnt vmcnt(1)
	v_cvt_f32_f16_e32 v18, v1
	s_waitcnt vmcnt(0)
	v_cvt_f32_f16_e32 v10, v3
.LBB88_12:                              ;   in Loop: Header=BB88_3 Depth=1
	s_or_b32 exec_lo, exec_lo, s3
	v_add_co_u32 v3, vcc_lo, 0xffffffc3, v64
	v_add_co_ci_u32_e32 v4, vcc_lo, -1, v65, vcc_lo
	s_delay_alu instid0(VALU_DEP_1) | instskip(SKIP_1) | instid1(SALU_CYCLE_1)
	v_cmp_gt_i64_e32 vcc_lo, s[4:5], v[3:4]
	s_and_b32 s17, s2, vcc_lo
	s_and_saveexec_b32 s3, s17
	s_cbranch_execz .LBB88_14
; %bb.13:                               ;   in Loop: Header=BB88_3 Depth=1
	v_add_co_u32 v3, vcc_lo, v50, v25
	v_add_co_ci_u32_e32 v4, vcc_lo, v51, v26, vcc_lo
	v_add_co_u32 v5, vcc_lo, v52, v25
	v_add_co_ci_u32_e32 v6, vcc_lo, v53, v26, vcc_lo
	global_load_u16 v1, v[3:4], off
	global_load_u16 v3, v[5:6], off
	s_waitcnt vmcnt(1)
	v_cvt_f32_f16_e32 v19, v1
	s_waitcnt vmcnt(0)
	v_cvt_f32_f16_e32 v11, v3
.LBB88_14:                              ;   in Loop: Header=BB88_3 Depth=1
	;; [unrolled: 20-line block ×7, first 2 shown]
	s_or_b32 exec_lo, exec_lo, s3
	s_waitcnt vmcnt(1)
	ds_bpermute_b32 v1, v2, v66
	ds_bpermute_b32 v3, v2, v66 offset:4
	ds_bpermute_b32 v4, v2, v66 offset:8
	;; [unrolled: 1-line block ×3, first 2 shown]
	s_waitcnt vmcnt(0)
	ds_bpermute_b32 v5, v2, v67
	ds_bpermute_b32 v7, v2, v67 offset:4
	ds_bpermute_b32 v8, v2, v66 offset:16
	ds_bpermute_b32 v68, v2, v67 offset:8
	ds_bpermute_b32 v69, v2, v67 offset:12
	ds_bpermute_b32 v70, v2, v66 offset:20
	s_waitcnt lgkmcnt(9)
	v_sub_f32_e32 v1, v9, v1
	s_waitcnt lgkmcnt(7)
	v_dual_add_f32 v9, v58, v17 :: v_dual_sub_f32 v4, v11, v4
	s_waitcnt lgkmcnt(6)
	v_dual_sub_f32 v6, v12, v6 :: v_dual_sub_f32 v3, v10, v3
	v_mul_f32_e32 v1, v17, v1
	ds_bpermute_b32 v10, v2, v67 offset:16
	ds_bpermute_b32 v17, v2, v66 offset:24
	v_mul_f32_e32 v6, v20, v6
	v_dual_mul_f32 v4, v19, v4 :: v_dual_mul_f32 v3, v18, v3
	s_waitcnt lgkmcnt(5)
	v_sub_f32_e32 v8, v13, v8
	v_fma_f32 v1, v1, v5, v63
	ds_bpermute_b32 v5, v2, v67 offset:20
	ds_bpermute_b32 v11, v2, v67 offset:24
	v_dual_mul_f32 v8, v21, v8 :: v_dual_fmac_f32 v1, v3, v7
	v_add_f32_e32 v7, v18, v9
	ds_bpermute_b32 v3, v2, v67 offset:28
	s_waitcnt lgkmcnt(7)
	v_fmac_f32_e32 v1, v4, v68
	v_add_f32_e32 v7, v19, v7
	ds_bpermute_b32 v4, v2, v66 offset:28
	s_waitcnt lgkmcnt(6)
	v_sub_f32_e32 v9, v14, v70
	v_dual_fmac_f32 v1, v6, v69 :: v_dual_add_f32 v6, v20, v7
	s_waitcnt lgkmcnt(4)
	v_sub_f32_e32 v7, v15, v17
	s_delay_alu instid0(VALU_DEP_3) | instskip(NEXT) | instid1(VALU_DEP_3)
	v_mul_f32_e32 v9, v22, v9
	v_fmac_f32_e32 v1, v8, v10
	s_delay_alu instid0(VALU_DEP_3) | instskip(SKIP_1) | instid1(VALU_DEP_2)
	v_dual_add_f32 v6, v21, v6 :: v_dual_mul_f32 v7, v23, v7
	s_waitcnt lgkmcnt(3)
	v_fmac_f32_e32 v1, v9, v5
	s_delay_alu instid0(VALU_DEP_2) | instskip(SKIP_1) | instid1(VALU_DEP_2)
	v_add_f32_e32 v5, v22, v6
	s_waitcnt lgkmcnt(2)
	v_fmac_f32_e32 v1, v7, v11
	s_delay_alu instid0(VALU_DEP_2)
	v_add_f32_e32 v5, v23, v5
	s_branch .LBB88_40
.LBB88_25:                              ;   in Loop: Header=BB88_3 Depth=1
                                        ; implicit-def: $vgpr3
                                        ; implicit-def: $vgpr9_vgpr10_vgpr11_vgpr12_vgpr13_vgpr14_vgpr15_vgpr16
                                        ; implicit-def: $vgpr17_vgpr18_vgpr19_vgpr20_vgpr21_vgpr22_vgpr23_vgpr24
                                        ; implicit-def: $vgpr4
                                        ; implicit-def: $vgpr1
                                        ; implicit-def: $vgpr5
	s_cbranch_execz .LBB88_40
; %bb.26:                               ;   in Loop: Header=BB88_3 Depth=1
	s_load_b32 s3, s[30:31], 0x0
	v_dual_mov_b32 v67, 0 :: v_dual_mov_b32 v66, 0
	s_waitcnt lgkmcnt(0)
	s_cmp_lt_u32 s14, s3
	s_cselect_b32 s3, 12, 18
	s_delay_alu instid0(SALU_CYCLE_1)
	s_add_u32 s18, s30, s3
	s_addc_u32 s19, s31, 0
	s_mov_b32 s3, exec_lo
	global_load_u16 v1, v2, s[18:19]
	s_waitcnt vmcnt(0)
	v_mad_u32_u24 v1, v27, v1, v29
	s_delay_alu instid0(VALU_DEP_1) | instskip(NEXT) | instid1(VALU_DEP_1)
	v_and_b32_e32 v1, 31, v1
	v_cmpx_gt_u32_e32 8, v1
	s_cbranch_execz .LBB88_30
; %bb.27:                               ;   in Loop: Header=BB88_3 Depth=1
	v_add_co_u32 v1, vcc_lo, v64, v1
	v_add_co_ci_u32_e32 v4, vcc_lo, 0, v65, vcc_lo
	v_dual_mov_b32 v66, 0 :: v_dual_mov_b32 v67, 0
	s_delay_alu instid0(VALU_DEP_3) | instskip(NEXT) | instid1(VALU_DEP_3)
	v_add_co_u32 v3, vcc_lo, 0xffffffc1, v1
	v_add_co_ci_u32_e32 v4, vcc_lo, -1, v4, vcc_lo
	s_mov_b32 s17, exec_lo
	s_delay_alu instid0(VALU_DEP_1)
	v_cmpx_gt_i64_e64 s[4:5], v[3:4]
	s_cbranch_execz .LBB88_29
; %bb.28:                               ;   in Loop: Header=BB88_3 Depth=1
	v_lshlrev_b64 v[3:4], 2, v[3:4]
	s_delay_alu instid0(VALU_DEP_1) | instskip(NEXT) | instid1(VALU_DEP_2)
	v_add_co_u32 v5, vcc_lo, s24, v3
	v_add_co_ci_u32_e32 v6, vcc_lo, s25, v4, vcc_lo
	v_add_co_u32 v3, vcc_lo, s26, v3
	v_add_co_ci_u32_e32 v4, vcc_lo, s27, v4, vcc_lo
	global_load_b32 v66, v[5:6], off
	global_load_b32 v67, v[3:4], off
.LBB88_29:                              ;   in Loop: Header=BB88_3 Depth=1
	s_or_b32 exec_lo, exec_lo, s17
.LBB88_30:                              ;   in Loop: Header=BB88_3 Depth=1
	s_delay_alu instid0(SALU_CYCLE_1)
	s_or_b32 exec_lo, exec_lo, s3
	s_mov_b32 s22, s16
	s_mov_b32 s23, s16
	;; [unrolled: 1-line block ×7, first 2 shown]
	v_dual_mov_b32 v9, s16 :: v_dual_mov_b32 v10, s17
	v_dual_mov_b32 v15, s22 :: v_dual_mov_b32 v16, s23
	;; [unrolled: 1-line block ×4, first 2 shown]
	s_delay_alu instid0(VALU_DEP_3) | instskip(NEXT) | instid1(VALU_DEP_3)
	v_dual_mov_b32 v24, v16 :: v_dual_mov_b32 v23, v15
	v_dual_mov_b32 v20, v12 :: v_dual_mov_b32 v19, v11
	s_delay_alu instid0(VALU_DEP_3)
	v_dual_mov_b32 v22, v14 :: v_dual_mov_b32 v21, v13
	v_dual_mov_b32 v18, v10 :: v_dual_mov_b32 v17, v9
	s_and_saveexec_b32 s3, s2
	s_cbranch_execnz .LBB88_42
; %bb.31:                               ;   in Loop: Header=BB88_3 Depth=1
	s_or_b32 exec_lo, exec_lo, s3
	s_and_saveexec_b32 s3, s2
	s_cbranch_execnz .LBB88_43
.LBB88_32:                              ;   in Loop: Header=BB88_3 Depth=1
	s_or_b32 exec_lo, exec_lo, s3
	s_and_saveexec_b32 s3, s2
	s_cbranch_execnz .LBB88_44
.LBB88_33:                              ;   in Loop: Header=BB88_3 Depth=1
	s_or_b32 exec_lo, exec_lo, s3
	s_and_saveexec_b32 s3, s2
	s_cbranch_execnz .LBB88_45
.LBB88_34:                              ;   in Loop: Header=BB88_3 Depth=1
	s_or_b32 exec_lo, exec_lo, s3
	s_and_saveexec_b32 s3, s2
	s_cbranch_execnz .LBB88_46
.LBB88_35:                              ;   in Loop: Header=BB88_3 Depth=1
	s_or_b32 exec_lo, exec_lo, s3
	s_and_saveexec_b32 s3, s2
	s_cbranch_execnz .LBB88_47
.LBB88_36:                              ;   in Loop: Header=BB88_3 Depth=1
	s_or_b32 exec_lo, exec_lo, s3
	s_and_saveexec_b32 s3, s2
	s_cbranch_execnz .LBB88_48
.LBB88_37:                              ;   in Loop: Header=BB88_3 Depth=1
	s_or_b32 exec_lo, exec_lo, s3
	s_and_saveexec_b32 s3, s2
	s_cbranch_execz .LBB88_39
.LBB88_38:                              ;   in Loop: Header=BB88_3 Depth=1
	v_add_co_u32 v3, vcc_lo, v30, v25
	v_add_co_ci_u32_e32 v4, vcc_lo, v31, v26, vcc_lo
	v_add_co_u32 v5, vcc_lo, v32, v25
	v_add_co_ci_u32_e32 v6, vcc_lo, v33, v26, vcc_lo
	global_load_u16 v1, v[3:4], off
	global_load_u16 v3, v[5:6], off
	s_waitcnt vmcnt(1)
	v_cvt_f32_f16_e32 v24, v1
	s_waitcnt vmcnt(0)
	v_cvt_f32_f16_e32 v16, v3
.LBB88_39:                              ;   in Loop: Header=BB88_3 Depth=1
	s_or_b32 exec_lo, exec_lo, s3
	s_waitcnt vmcnt(1)
	ds_bpermute_b32 v1, v2, v66
	ds_bpermute_b32 v3, v2, v66 offset:4
	ds_bpermute_b32 v4, v2, v66 offset:8
	;; [unrolled: 1-line block ×3, first 2 shown]
	s_waitcnt vmcnt(0)
	ds_bpermute_b32 v5, v2, v67
	ds_bpermute_b32 v7, v2, v67 offset:4
	ds_bpermute_b32 v8, v2, v66 offset:16
	;; [unrolled: 1-line block ×4, first 2 shown]
	s_waitcnt lgkmcnt(8)
	v_sub_f32_e32 v1, v9, v1
	ds_bpermute_b32 v9, v2, v67 offset:12
	s_waitcnt lgkmcnt(7)
	v_dual_sub_f32 v4, v11, v4 :: v_dual_sub_f32 v3, v10, v3
	s_waitcnt lgkmcnt(6)
	v_dual_sub_f32 v6, v12, v6 :: v_dual_mul_f32 v1, v17, v1
	s_delay_alu instid0(VALU_DEP_2) | instskip(SKIP_1) | instid1(VALU_DEP_2)
	v_dual_mul_f32 v4, v19, v4 :: v_dual_mul_f32 v3, v18, v3
	s_waitcnt lgkmcnt(5)
	v_dual_mul_f32 v6, v20, v6 :: v_dual_fmac_f32 v63, v1, v5
	v_add_f32_e32 v10, v58, v17
	ds_bpermute_b32 v17, v2, v67 offset:16
	ds_bpermute_b32 v1, v2, v66 offset:24
	ds_bpermute_b32 v5, v2, v67 offset:20
	s_waitcnt lgkmcnt(7)
	v_fmac_f32_e32 v63, v3, v7
	v_add_f32_e32 v3, v18, v10
	s_waitcnt lgkmcnt(4)
	v_sub_f32_e32 v11, v14, v65
	s_delay_alu instid0(VALU_DEP_2)
	v_dual_fmac_f32 v63, v4, v64 :: v_dual_add_f32 v10, v19, v3
	v_sub_f32_e32 v7, v13, v8
	ds_bpermute_b32 v8, v2, v67 offset:24
	ds_bpermute_b32 v3, v2, v67 offset:28
	s_waitcnt lgkmcnt(5)
	v_dual_fmac_f32 v63, v6, v9 :: v_dual_add_f32 v6, v20, v10
	v_mul_f32_e32 v7, v21, v7
	v_mul_f32_e32 v9, v22, v11
	ds_bpermute_b32 v4, v2, v66 offset:28
	s_waitcnt lgkmcnt(5)
	v_dual_add_f32 v6, v21, v6 :: v_dual_fmac_f32 v63, v7, v17
	s_waitcnt lgkmcnt(4)
	v_sub_f32_e32 v1, v15, v1
	s_waitcnt lgkmcnt(3)
	s_delay_alu instid0(VALU_DEP_2) | instskip(NEXT) | instid1(VALU_DEP_2)
	v_fmac_f32_e32 v63, v9, v5
	v_mul_f32_e32 v1, v23, v1
	v_add_f32_e32 v5, v22, v6
	s_waitcnt lgkmcnt(2)
	s_delay_alu instid0(VALU_DEP_2) | instskip(NEXT) | instid1(VALU_DEP_2)
	v_fmac_f32_e32 v63, v1, v8
	v_add_f32_e32 v5, v23, v5
	s_delay_alu instid0(VALU_DEP_2)
	v_mov_b32_e32 v1, v63
.LBB88_40:                              ;   in Loop: Header=BB88_3 Depth=1
	v_add_co_u32 v30, vcc_lo, v30, s34
	v_add_co_ci_u32_e32 v31, vcc_lo, s35, v31, vcc_lo
	v_add_co_u32 v32, vcc_lo, v32, s34
	v_add_co_ci_u32_e32 v33, vcc_lo, s35, v33, vcc_lo
	v_add_co_u32 v34, vcc_lo, v34, s34
	v_add_co_ci_u32_e32 v35, vcc_lo, s35, v35, vcc_lo
	v_add_co_u32 v36, vcc_lo, v36, s34
	v_add_co_ci_u32_e32 v37, vcc_lo, s35, v37, vcc_lo
	v_add_co_u32 v38, vcc_lo, v38, s34
	v_add_co_ci_u32_e32 v39, vcc_lo, s35, v39, vcc_lo
	v_add_co_u32 v40, vcc_lo, v40, s34
	v_add_co_ci_u32_e32 v41, vcc_lo, s35, v41, vcc_lo
	v_add_co_u32 v42, vcc_lo, v42, s34
	v_add_co_ci_u32_e32 v43, vcc_lo, s35, v43, vcc_lo
	v_add_co_u32 v44, vcc_lo, v44, s34
	v_add_co_ci_u32_e32 v45, vcc_lo, s35, v45, vcc_lo
	v_add_co_u32 v46, vcc_lo, v46, s34
	v_add_co_ci_u32_e32 v47, vcc_lo, s35, v47, vcc_lo
	v_add_co_u32 v48, vcc_lo, v48, s34
	v_add_co_ci_u32_e32 v49, vcc_lo, s35, v49, vcc_lo
	v_add_co_u32 v50, vcc_lo, v50, s34
	v_add_co_ci_u32_e32 v51, vcc_lo, s35, v51, vcc_lo
	v_add_co_u32 v52, vcc_lo, v52, s34
	v_add_co_ci_u32_e32 v53, vcc_lo, s35, v53, vcc_lo
	v_add_co_u32 v54, vcc_lo, v54, s34
	s_waitcnt lgkmcnt(0)
	v_sub_f32_e32 v4, v16, v4
	v_add_co_ci_u32_e32 v55, vcc_lo, s35, v55, vcc_lo
	v_add_co_u32 v56, vcc_lo, v56, s34
	s_add_u32 s38, s38, s28
	v_add_co_ci_u32_e32 v57, vcc_lo, s35, v57, vcc_lo
	v_mul_f32_e32 v4, v24, v4
	s_addc_u32 s39, s39, 0
	v_add_co_u32 v59, vcc_lo, v59, s34
	v_cmp_lt_i64_e64 s3, s[38:39], s[4:5]
	v_add_co_ci_u32_e32 v60, vcc_lo, s35, v60, vcc_lo
	v_add_co_u32 v61, vcc_lo, v61, s34
	v_dual_add_f32 v58, v5, v24 :: v_dual_fmac_f32 v1, v4, v3
	v_add_co_ci_u32_e32 v62, vcc_lo, s35, v62, vcc_lo
	s_add_u32 s36, s36, s28
	s_addc_u32 s37, s37, 0
	s_and_b32 vcc_lo, exec_lo, s3
	s_cbranch_vccz .LBB88_50
; %bb.41:                               ;   in Loop: Header=BB88_3 Depth=1
	v_mov_b32_e32 v63, v1
	s_branch .LBB88_3
.LBB88_42:                              ;   in Loop: Header=BB88_3 Depth=1
	v_add_co_u32 v3, vcc_lo, v59, v25
	v_add_co_ci_u32_e32 v4, vcc_lo, v60, v26, vcc_lo
	v_add_co_u32 v5, vcc_lo, v61, v25
	v_add_co_ci_u32_e32 v6, vcc_lo, v62, v26, vcc_lo
	v_mov_b32_e32 v8, v2
	global_load_u16 v1, v[3:4], off
	global_load_u16 v9, v[5:6], off
	v_mov_b32_e32 v3, v2
	v_mov_b32_e32 v4, v2
	;; [unrolled: 1-line block ×6, first 2 shown]
	s_waitcnt vmcnt(1)
	v_cvt_f32_f16_e32 v1, v1
	v_dual_mov_b32 v11, v2 :: v_dual_mov_b32 v24, v8
	v_dual_mov_b32 v10, v2 :: v_dual_mov_b32 v23, v7
	s_waitcnt vmcnt(0)
	v_cvt_f32_f16_e32 v9, v9
	v_dual_mov_b32 v12, v2 :: v_dual_mov_b32 v21, v5
	v_dual_mov_b32 v13, v2 :: v_dual_mov_b32 v20, v4
	v_dual_mov_b32 v14, v2 :: v_dual_mov_b32 v19, v3
	v_dual_mov_b32 v16, v2 :: v_dual_mov_b32 v17, v1
	v_mov_b32_e32 v22, v6
	v_mov_b32_e32 v18, v2
	s_or_b32 exec_lo, exec_lo, s3
	s_and_saveexec_b32 s3, s2
	s_cbranch_execz .LBB88_32
.LBB88_43:                              ;   in Loop: Header=BB88_3 Depth=1
	v_add_co_u32 v3, vcc_lo, v54, v25
	v_add_co_ci_u32_e32 v4, vcc_lo, v55, v26, vcc_lo
	v_add_co_u32 v5, vcc_lo, v56, v25
	v_add_co_ci_u32_e32 v6, vcc_lo, v57, v26, vcc_lo
	global_load_u16 v1, v[3:4], off
	global_load_u16 v3, v[5:6], off
	s_waitcnt vmcnt(1)
	v_cvt_f32_f16_e32 v18, v1
	s_waitcnt vmcnt(0)
	v_cvt_f32_f16_e32 v10, v3
	s_or_b32 exec_lo, exec_lo, s3
	s_and_saveexec_b32 s3, s2
	s_cbranch_execz .LBB88_33
.LBB88_44:                              ;   in Loop: Header=BB88_3 Depth=1
	v_add_co_u32 v3, vcc_lo, v50, v25
	v_add_co_ci_u32_e32 v4, vcc_lo, v51, v26, vcc_lo
	v_add_co_u32 v5, vcc_lo, v52, v25
	v_add_co_ci_u32_e32 v6, vcc_lo, v53, v26, vcc_lo
	global_load_u16 v1, v[3:4], off
	global_load_u16 v3, v[5:6], off
	s_waitcnt vmcnt(1)
	v_cvt_f32_f16_e32 v19, v1
	s_waitcnt vmcnt(0)
	v_cvt_f32_f16_e32 v11, v3
	s_or_b32 exec_lo, exec_lo, s3
	s_and_saveexec_b32 s3, s2
	s_cbranch_execz .LBB88_34
.LBB88_45:                              ;   in Loop: Header=BB88_3 Depth=1
	v_add_co_u32 v3, vcc_lo, v46, v25
	v_add_co_ci_u32_e32 v4, vcc_lo, v47, v26, vcc_lo
	v_add_co_u32 v5, vcc_lo, v48, v25
	v_add_co_ci_u32_e32 v6, vcc_lo, v49, v26, vcc_lo
	global_load_u16 v1, v[3:4], off
	global_load_u16 v3, v[5:6], off
	s_waitcnt vmcnt(1)
	v_cvt_f32_f16_e32 v20, v1
	s_waitcnt vmcnt(0)
	v_cvt_f32_f16_e32 v12, v3
	s_or_b32 exec_lo, exec_lo, s3
	s_and_saveexec_b32 s3, s2
	s_cbranch_execz .LBB88_35
.LBB88_46:                              ;   in Loop: Header=BB88_3 Depth=1
	v_add_co_u32 v3, vcc_lo, v42, v25
	v_add_co_ci_u32_e32 v4, vcc_lo, v43, v26, vcc_lo
	v_add_co_u32 v5, vcc_lo, v44, v25
	v_add_co_ci_u32_e32 v6, vcc_lo, v45, v26, vcc_lo
	global_load_u16 v1, v[3:4], off
	global_load_u16 v3, v[5:6], off
	s_waitcnt vmcnt(1)
	v_cvt_f32_f16_e32 v21, v1
	s_waitcnt vmcnt(0)
	v_cvt_f32_f16_e32 v13, v3
	s_or_b32 exec_lo, exec_lo, s3
	s_and_saveexec_b32 s3, s2
	s_cbranch_execz .LBB88_36
.LBB88_47:                              ;   in Loop: Header=BB88_3 Depth=1
	v_add_co_u32 v3, vcc_lo, v38, v25
	v_add_co_ci_u32_e32 v4, vcc_lo, v39, v26, vcc_lo
	v_add_co_u32 v5, vcc_lo, v40, v25
	v_add_co_ci_u32_e32 v6, vcc_lo, v41, v26, vcc_lo
	global_load_u16 v1, v[3:4], off
	global_load_u16 v3, v[5:6], off
	s_waitcnt vmcnt(1)
	v_cvt_f32_f16_e32 v22, v1
	s_waitcnt vmcnt(0)
	v_cvt_f32_f16_e32 v14, v3
	s_or_b32 exec_lo, exec_lo, s3
	s_and_saveexec_b32 s3, s2
	s_cbranch_execz .LBB88_37
.LBB88_48:                              ;   in Loop: Header=BB88_3 Depth=1
	v_add_co_u32 v3, vcc_lo, v34, v25
	v_add_co_ci_u32_e32 v4, vcc_lo, v35, v26, vcc_lo
	v_add_co_u32 v5, vcc_lo, v36, v25
	v_add_co_ci_u32_e32 v6, vcc_lo, v37, v26, vcc_lo
	global_load_u16 v1, v[3:4], off
	global_load_u16 v3, v[5:6], off
	s_waitcnt vmcnt(1)
	v_cvt_f32_f16_e32 v23, v1
	s_waitcnt vmcnt(0)
	v_cvt_f32_f16_e32 v15, v3
	s_or_b32 exec_lo, exec_lo, s3
	s_and_saveexec_b32 s3, s2
	s_cbranch_execnz .LBB88_38
	s_branch .LBB88_39
.LBB88_49:
	s_mov_b32 s29, -1
                                        ; implicit-def: $vgpr1
                                        ; implicit-def: $vgpr58
.LBB88_50:
	s_delay_alu instid0(SALU_CYCLE_1)
	s_and_not1_b32 vcc_lo, exec_lo, s29
	s_cbranch_vccnz .LBB88_83
; %bb.51:
	v_dual_mov_b32 v1, 0 :: v_dual_mov_b32 v58, 0
	s_and_not1_b32 vcc_lo, exec_lo, s15
	s_mov_b32 s16, 0
	s_cbranch_vccnz .LBB88_83
; %bb.52:
	s_load_b32 s2, s[0:1], 0x44
	v_dual_mov_b32 v2, 0 :: v_dual_and_b32 v55, 0x3ff, v0
	v_bfe_u32 v56, v0, 10, 10
	s_add_u32 s28, s0, 64
	s_addc_u32 s29, s1, 0
	s_delay_alu instid0(VALU_DEP_2) | instskip(NEXT) | instid1(VALU_DEP_2)
	v_dual_mov_b32 v92, 0 :: v_dual_add_nc_u32 v1, s33, v55
	v_lshlrev_b32_e32 v3, 4, v56
	v_lshlrev_b32_e32 v57, 3, v56
	v_mov_b32_e32 v91, 0
	s_delay_alu instid0(VALU_DEP_4)
	v_lshlrev_b64 v[25:26], 1, v[1:2]
	s_waitcnt lgkmcnt(0)
	s_lshl_b32 s15, s2, 6
	s_add_u32 s30, s12, 63
	s_addc_u32 s31, 0, 0
	s_lshl_b64 s[2:3], s[12:13], 1
	s_mul_i32 s17, s7, s15
	v_add_co_u32 v1, s2, v3, s2
	s_delay_alu instid0(VALU_DEP_1) | instskip(SKIP_1) | instid1(VALU_DEP_3)
	v_add_co_ci_u32_e64 v3, null, 0, s3, s2
	v_add_co_u32 v58, s3, v57, s12
	v_add_co_u32 v7, vcc_lo, v1, 2
	s_delay_alu instid0(VALU_DEP_3) | instskip(SKIP_3) | instid1(VALU_DEP_4)
	v_add_co_ci_u32_e32 v4, vcc_lo, 0, v3, vcc_lo
	v_add_co_u32 v8, vcc_lo, v1, 4
	v_add_co_ci_u32_e32 v5, vcc_lo, 0, v3, vcc_lo
	v_add_co_u32 v11, vcc_lo, v1, 6
	v_mul_lo_u32 v9, s6, v4
	v_add_co_ci_u32_e32 v4, vcc_lo, 0, v3, vcc_lo
	v_add_co_u32 v14, vcc_lo, v1, 8
	v_mul_lo_u32 v12, s6, v5
	v_add_co_ci_u32_e32 v5, vcc_lo, 0, v3, vcc_lo
	v_add_co_u32 v18, vcc_lo, v1, 10
	v_mul_lo_u32 v15, s6, v4
	v_add_co_ci_u32_e32 v4, vcc_lo, 0, v3, vcc_lo
	v_add_co_u32 v20, vcc_lo, v1, 12
	v_mul_lo_u32 v17, s6, v5
	v_add_co_ci_u32_e32 v5, vcc_lo, 0, v3, vcc_lo
	v_add_co_ci_u32_e64 v75, null, 0, 0, s3
	v_add_co_u32 v1, vcc_lo, v1, 14
	v_mul_lo_u32 v21, s6, v4
	s_delay_alu instid0(VALU_DEP_4) | instskip(SKIP_4) | instid1(VALU_DEP_4)
	v_mul_lo_u32 v23, s6, v5
	v_add_co_ci_u32_e32 v5, vcc_lo, 0, v3, vcc_lo
	v_mul_lo_u32 v6, s7, v58
	v_mul_lo_u32 v41, s6, v75
	v_mad_u64_u32 v[3:4], null, s6, v58, 0
	v_mul_lo_u32 v61, s6, v5
	v_mad_u64_u32 v[27:28], null, s6, v7, s[8:9]
	;; [unrolled: 2-line block ×3, first 2 shown]
	v_add3_u32 v4, v4, v41, v6
	v_mad_u64_u32 v[41:42], null, s6, v7, s[10:11]
	v_mul_lo_u32 v13, s7, v8
	v_mad_u64_u32 v[43:44], null, s6, v8, s[10:11]
	s_delay_alu instid0(VALU_DEP_4)
	v_lshlrev_b64 v[5:6], 1, v[3:4]
	v_add3_u32 v28, v10, v28, v9
	v_mad_u64_u32 v[31:32], null, s6, v11, s[8:9]
	v_add3_u32 v42, v10, v42, v9
	v_add3_u32 v30, v13, v30, v12
	v_add_co_u32 v59, vcc_lo, s8, v5
	v_add_co_ci_u32_e32 v60, vcc_lo, s9, v6, vcc_lo
	v_add_co_u32 v9, vcc_lo, v58, 7
	v_add_co_ci_u32_e32 v7, vcc_lo, 0, v75, vcc_lo
	v_add3_u32 v44, v13, v44, v12
	v_add_co_u32 v12, vcc_lo, v58, 6
	v_mul_lo_u32 v16, s7, v11
	v_mad_u64_u32 v[39:40], null, s6, v1, s[8:9]
	v_mul_lo_u32 v62, s7, v1
	v_mad_u64_u32 v[45:46], null, s6, v11, s[10:11]
	v_mad_u64_u32 v[53:54], null, s6, v1, s[10:11]
	v_mul_lo_u32 v1, s7, v9
	v_mul_lo_u32 v11, s6, v7
	v_mad_u64_u32 v[7:8], null, s6, v9, 0
	v_add_co_ci_u32_e32 v10, vcc_lo, 0, v75, vcc_lo
	v_mad_u64_u32 v[33:34], null, s6, v14, s[8:9]
	v_mul_lo_u32 v19, s7, v14
	v_mad_u64_u32 v[47:48], null, s6, v14, s[10:11]
	v_mul_lo_u32 v13, s7, v12
	v_mul_lo_u32 v14, s6, v10
	v_mad_u64_u32 v[9:10], null, s6, v12, 0
	v_add3_u32 v8, v8, v11, v1
	v_add3_u32 v40, v62, v40, v61
	;; [unrolled: 1-line block ×3, first 2 shown]
	v_add_co_u32 v61, vcc_lo, s10, v5
	v_add_co_ci_u32_e32 v62, vcc_lo, s11, v6, vcc_lo
	v_lshlrev_b64 v[5:6], 1, v[7:8]
	v_add3_u32 v10, v10, v14, v13
	v_add_co_u32 v1, vcc_lo, v58, 5
	v_add_co_ci_u32_e32 v11, vcc_lo, 0, v75, vcc_lo
	s_delay_alu instid0(VALU_DEP_4) | instskip(NEXT) | instid1(VALU_DEP_4)
	v_add_co_u32 v63, vcc_lo, s8, v5
	v_lshlrev_b64 v[7:8], 1, v[9:10]
	v_add_co_ci_u32_e32 v64, vcc_lo, s9, v6, vcc_lo
	v_mul_lo_u32 v12, s7, v1
	v_mul_lo_u32 v11, s6, v11
	v_mad_u64_u32 v[9:10], null, s6, v1, 0
	v_add_co_u32 v65, vcc_lo, s10, v5
	v_add_co_ci_u32_e32 v66, vcc_lo, s11, v6, vcc_lo
	v_add_co_u32 v67, vcc_lo, s8, v7
	v_add_co_ci_u32_e32 v68, vcc_lo, s9, v8, vcc_lo
	s_mul_hi_u32 s2, s6, s15
	v_add_co_u32 v1, vcc_lo, v58, 4
	v_add3_u32 v10, v10, v11, v12
	s_add_i32 s3, s2, s17
	v_add_co_u32 v69, s2, s10, v7
	v_add_co_ci_u32_e32 v7, vcc_lo, 0, v75, vcc_lo
	v_add_co_u32 v12, vcc_lo, v58, 3
	v_lshlrev_b64 v[5:6], 1, v[9:10]
	v_add_co_ci_u32_e32 v9, vcc_lo, 0, v75, vcc_lo
	v_add_co_ci_u32_e64 v70, s2, s11, v8, s2
	v_mul_lo_u32 v11, s7, v1
	v_mul_lo_u32 v13, s6, v7
	v_mad_u64_u32 v[7:8], null, s6, v1, 0
	v_mul_lo_u32 v1, s7, v12
	v_mul_lo_u32 v14, s6, v9
	v_mad_u64_u32 v[9:10], null, s6, v12, 0
	v_add_co_u32 v71, vcc_lo, s8, v5
	v_add_co_ci_u32_e32 v72, vcc_lo, s9, v6, vcc_lo
	v_add3_u32 v8, v8, v13, v11
	v_add_co_u32 v73, vcc_lo, s10, v5
	v_add_co_ci_u32_e32 v74, vcc_lo, s11, v6, vcc_lo
	v_add3_u32 v10, v10, v14, v1
	v_add_co_u32 v1, vcc_lo, v58, 2
	v_lshlrev_b64 v[5:6], 1, v[7:8]
	v_add_co_ci_u32_e32 v11, vcc_lo, 0, v75, vcc_lo
	s_delay_alu instid0(VALU_DEP_4) | instskip(NEXT) | instid1(VALU_DEP_4)
	v_lshlrev_b64 v[7:8], 1, v[9:10]
	v_mul_lo_u32 v12, s7, v1
	v_mad_u64_u32 v[9:10], null, s6, v1, 0
	v_add_co_u32 v75, vcc_lo, s8, v5
	v_mul_lo_u32 v11, s6, v11
	v_add_co_ci_u32_e32 v76, vcc_lo, s9, v6, vcc_lo
	v_add_co_u32 v77, vcc_lo, s10, v5
	v_add_co_ci_u32_e32 v78, vcc_lo, s11, v6, vcc_lo
	v_add_co_u32 v79, vcc_lo, s8, v7
	v_add_co_ci_u32_e32 v80, vcc_lo, s9, v8, vcc_lo
	v_add3_u32 v10, v10, v11, v12
	v_add_co_u32 v81, vcc_lo, s10, v7
	v_add_co_ci_u32_e32 v82, vcc_lo, s11, v8, vcc_lo
	v_add_co_u32 v3, vcc_lo, v3, s6
	s_delay_alu instid0(VALU_DEP_4) | instskip(SKIP_3) | instid1(VALU_DEP_4)
	v_lshlrev_b64 v[5:6], 1, v[9:10]
	v_add_co_ci_u32_e32 v4, vcc_lo, s7, v4, vcc_lo
	v_mad_u64_u32 v[35:36], null, s6, v18, s[8:9]
	v_mul_lo_u32 v22, s7, v18
	v_add_co_u32 v83, vcc_lo, s8, v5
	s_delay_alu instid0(VALU_DEP_4)
	v_lshlrev_b64 v[3:4], 1, v[3:4]
	v_add_co_ci_u32_e32 v84, vcc_lo, s9, v6, vcc_lo
	v_mad_u64_u32 v[37:38], null, s6, v20, s[8:9]
	v_mul_lo_u32 v24, s7, v20
	v_mad_u64_u32 v[49:50], null, s6, v18, s[10:11]
	v_mad_u64_u32 v[51:52], null, s6, v20, s[10:11]
	v_add_co_u32 v85, vcc_lo, s10, v5
	v_add_co_ci_u32_e32 v86, vcc_lo, s11, v6, vcc_lo
	v_add_co_u32 v87, vcc_lo, s8, v3
	v_add_co_ci_u32_e32 v88, vcc_lo, s9, v4, vcc_lo
	v_add_co_u32 v89, vcc_lo, s10, v3
	v_add3_u32 v32, v16, v32, v15
	v_add3_u32 v34, v19, v34, v17
	;; [unrolled: 1-line block ×8, first 2 shown]
	v_add_co_ci_u32_e32 v90, vcc_lo, s11, v4, vcc_lo
	s_mul_i32 s2, s6, s15
	s_delay_alu instid0(SALU_CYCLE_1)
	s_lshl_b64 s[2:3], s[2:3], 1
.LBB88_53:                              ; =>This Inner Loop Header: Depth=1
	v_cmp_ge_i64_e64 s8, s[30:31], s[4:5]
	v_add_co_u32 v93, s9, v57, s30
	s_delay_alu instid0(VALU_DEP_1) | instskip(NEXT) | instid1(VALU_DEP_3)
	v_add_co_ci_u32_e64 v94, null, 0, s31, s9
	s_and_b32 vcc_lo, exec_lo, s8
	s_cbranch_vccz .LBB88_75
; %bb.54:                               ;   in Loop: Header=BB88_53 Depth=1
	s_load_b32 s8, s[28:29], 0xc
	v_dual_mov_b32 v95, 0 :: v_dual_mov_b32 v58, 0
	s_waitcnt lgkmcnt(0)
	s_and_b32 s8, s8, 0xffff
	s_delay_alu instid0(SALU_CYCLE_1) | instskip(SKIP_1) | instid1(VALU_DEP_1)
	v_mad_u32_u24 v1, v56, s8, v55
	s_mov_b32 s8, exec_lo
	v_and_b32_e32 v1, 31, v1
	s_delay_alu instid0(VALU_DEP_1)
	v_cmpx_gt_u32_e32 8, v1
	s_cbranch_execz .LBB88_58
; %bb.55:                               ;   in Loop: Header=BB88_53 Depth=1
	v_add_co_u32 v1, vcc_lo, v93, v1
	v_add_co_ci_u32_e32 v4, vcc_lo, 0, v94, vcc_lo
	v_dual_mov_b32 v58, 0 :: v_dual_mov_b32 v95, 0
	s_delay_alu instid0(VALU_DEP_3) | instskip(NEXT) | instid1(VALU_DEP_3)
	v_add_co_u32 v3, vcc_lo, 0xffffffc1, v1
	v_add_co_ci_u32_e32 v4, vcc_lo, -1, v4, vcc_lo
	s_mov_b32 s9, exec_lo
	s_delay_alu instid0(VALU_DEP_1)
	v_cmpx_gt_i64_e64 s[4:5], v[3:4]
	s_cbranch_execz .LBB88_57
; %bb.56:                               ;   in Loop: Header=BB88_53 Depth=1
	v_lshlrev_b64 v[3:4], 2, v[3:4]
	s_delay_alu instid0(VALU_DEP_1) | instskip(NEXT) | instid1(VALU_DEP_2)
	v_add_co_u32 v5, vcc_lo, s24, v3
	v_add_co_ci_u32_e32 v6, vcc_lo, s25, v4, vcc_lo
	v_add_co_u32 v3, vcc_lo, s26, v3
	v_add_co_ci_u32_e32 v4, vcc_lo, s27, v4, vcc_lo
	global_load_b32 v58, v[5:6], off
	global_load_b32 v95, v[3:4], off
.LBB88_57:                              ;   in Loop: Header=BB88_53 Depth=1
	s_or_b32 exec_lo, exec_lo, s9
.LBB88_58:                              ;   in Loop: Header=BB88_53 Depth=1
	s_delay_alu instid0(SALU_CYCLE_1)
	s_or_b32 exec_lo, exec_lo, s8
	s_mov_b32 s22, s16
	s_mov_b32 s23, s16
	;; [unrolled: 1-line block ×7, first 2 shown]
	v_dual_mov_b32 v9, s16 :: v_dual_mov_b32 v10, s17
	v_dual_mov_b32 v15, s22 :: v_dual_mov_b32 v16, s23
	;; [unrolled: 1-line block ×4, first 2 shown]
	v_add_co_u32 v3, vcc_lo, 0xffffffc1, v93
	s_delay_alu instid0(VALU_DEP_4) | instskip(SKIP_1) | instid1(VALU_DEP_4)
	v_dual_mov_b32 v24, v16 :: v_dual_mov_b32 v23, v15
	v_add_co_ci_u32_e32 v4, vcc_lo, -1, v94, vcc_lo
	v_dual_mov_b32 v22, v14 :: v_dual_mov_b32 v21, v13
	v_dual_mov_b32 v20, v12 :: v_dual_mov_b32 v19, v11
	;; [unrolled: 1-line block ×3, first 2 shown]
	s_mov_b32 s8, exec_lo
	v_cmpx_gt_i64_e64 s[4:5], v[3:4]
	s_cbranch_execz .LBB88_60
; %bb.59:                               ;   in Loop: Header=BB88_53 Depth=1
	v_add_co_u32 v3, vcc_lo, v59, v25
	v_add_co_ci_u32_e32 v4, vcc_lo, v60, v26, vcc_lo
	v_add_co_u32 v5, vcc_lo, v61, v25
	v_add_co_ci_u32_e32 v6, vcc_lo, v62, v26, vcc_lo
	v_mov_b32_e32 v8, v2
	global_load_u16 v1, v[3:4], off
	global_load_u16 v9, v[5:6], off
	v_mov_b32_e32 v3, v2
	v_mov_b32_e32 v4, v2
	;; [unrolled: 1-line block ×6, first 2 shown]
	s_waitcnt vmcnt(1)
	v_cvt_f32_f16_e32 v1, v1
	v_dual_mov_b32 v11, v2 :: v_dual_mov_b32 v24, v8
	v_dual_mov_b32 v10, v2 :: v_dual_mov_b32 v23, v7
	s_waitcnt vmcnt(0)
	v_cvt_f32_f16_e32 v9, v9
	v_dual_mov_b32 v12, v2 :: v_dual_mov_b32 v21, v5
	v_dual_mov_b32 v13, v2 :: v_dual_mov_b32 v20, v4
	;; [unrolled: 1-line block ×4, first 2 shown]
	v_mov_b32_e32 v22, v6
	v_mov_b32_e32 v18, v2
.LBB88_60:                              ;   in Loop: Header=BB88_53 Depth=1
	s_or_b32 exec_lo, exec_lo, s8
	v_add_co_u32 v3, vcc_lo, 0xffffffc2, v93
	v_add_co_ci_u32_e32 v4, vcc_lo, -1, v94, vcc_lo
	s_mov_b32 s8, exec_lo
	s_delay_alu instid0(VALU_DEP_1)
	v_cmpx_gt_i64_e64 s[4:5], v[3:4]
	s_cbranch_execz .LBB88_62
; %bb.61:                               ;   in Loop: Header=BB88_53 Depth=1
	v_add_co_u32 v3, vcc_lo, v87, v25
	v_add_co_ci_u32_e32 v4, vcc_lo, v88, v26, vcc_lo
	v_add_co_u32 v5, vcc_lo, v89, v25
	v_add_co_ci_u32_e32 v6, vcc_lo, v90, v26, vcc_lo
	global_load_u16 v1, v[3:4], off
	global_load_u16 v3, v[5:6], off
	s_waitcnt vmcnt(1)
	v_cvt_f32_f16_e32 v18, v1
	s_waitcnt vmcnt(0)
	v_cvt_f32_f16_e32 v10, v3
.LBB88_62:                              ;   in Loop: Header=BB88_53 Depth=1
	s_or_b32 exec_lo, exec_lo, s8
	v_add_co_u32 v3, vcc_lo, 0xffffffc3, v93
	v_add_co_ci_u32_e32 v4, vcc_lo, -1, v94, vcc_lo
	s_mov_b32 s8, exec_lo
	s_delay_alu instid0(VALU_DEP_1)
	v_cmpx_gt_i64_e64 s[4:5], v[3:4]
	s_cbranch_execz .LBB88_64
; %bb.63:                               ;   in Loop: Header=BB88_53 Depth=1
	v_add_co_u32 v3, vcc_lo, v83, v25
	v_add_co_ci_u32_e32 v4, vcc_lo, v84, v26, vcc_lo
	v_add_co_u32 v5, vcc_lo, v85, v25
	v_add_co_ci_u32_e32 v6, vcc_lo, v86, v26, vcc_lo
	global_load_u16 v1, v[3:4], off
	global_load_u16 v3, v[5:6], off
	s_waitcnt vmcnt(1)
	v_cvt_f32_f16_e32 v19, v1
	s_waitcnt vmcnt(0)
	v_cvt_f32_f16_e32 v11, v3
.LBB88_64:                              ;   in Loop: Header=BB88_53 Depth=1
	;; [unrolled: 19-line block ×7, first 2 shown]
	s_or_b32 exec_lo, exec_lo, s8
	s_waitcnt vmcnt(1)
	ds_bpermute_b32 v3, v2, v58
	s_waitcnt vmcnt(0)
	ds_bpermute_b32 v1, v2, v95
	ds_bpermute_b32 v5, v2, v58 offset:4
	ds_bpermute_b32 v4, v2, v95 offset:4
	s_waitcnt lgkmcnt(3)
	v_sub_f32_e32 v3, v9, v3
	s_delay_alu instid0(VALU_DEP_1) | instskip(SKIP_1) | instid1(VALU_DEP_1)
	v_mul_f32_e32 v3, v17, v3
	s_waitcnt lgkmcnt(2)
	v_fma_f32 v1, v3, v1, v91
	v_add_f32_e32 v3, v92, v17
	s_delay_alu instid0(VALU_DEP_1) | instskip(NEXT) | instid1(VALU_DEP_1)
	v_add_f32_e32 v3, v18, v3
	v_add_f32_e32 v3, v19, v3
	s_delay_alu instid0(VALU_DEP_1) | instskip(NEXT) | instid1(VALU_DEP_1)
	v_add_f32_e32 v3, v20, v3
	;; [unrolled: 3-line block ×3, first 2 shown]
	v_add_f32_e32 v3, v23, v3
	s_waitcnt lgkmcnt(1)
	v_sub_f32_e32 v5, v10, v5
	s_delay_alu instid0(VALU_DEP_1) | instskip(SKIP_1) | instid1(VALU_DEP_1)
	v_mul_f32_e32 v5, v18, v5
	s_waitcnt lgkmcnt(0)
	v_fmac_f32_e32 v1, v5, v4
	ds_bpermute_b32 v5, v2, v58 offset:8
	ds_bpermute_b32 v4, v2, v95 offset:8
	s_waitcnt lgkmcnt(1)
	v_sub_f32_e32 v5, v11, v5
	s_delay_alu instid0(VALU_DEP_1) | instskip(SKIP_1) | instid1(VALU_DEP_1)
	v_mul_f32_e32 v5, v19, v5
	s_waitcnt lgkmcnt(0)
	v_fmac_f32_e32 v1, v5, v4
	ds_bpermute_b32 v5, v2, v58 offset:12
	ds_bpermute_b32 v4, v2, v95 offset:12
	;; [unrolled: 8-line block ×5, first 2 shown]
	s_waitcnt lgkmcnt(1)
	v_sub_f32_e32 v5, v15, v5
	s_delay_alu instid0(VALU_DEP_1) | instskip(SKIP_1) | instid1(VALU_DEP_1)
	v_mul_f32_e32 v5, v23, v5
	s_waitcnt lgkmcnt(0)
	v_fmac_f32_e32 v1, v5, v4
	ds_bpermute_b32 v5, v2, v58 offset:28
	v_add_f32_e32 v58, v24, v3
	ds_bpermute_b32 v4, v2, v95 offset:28
	s_waitcnt lgkmcnt(1)
	v_sub_f32_e32 v5, v16, v5
	s_delay_alu instid0(VALU_DEP_1) | instskip(SKIP_1) | instid1(VALU_DEP_1)
	v_mul_f32_e32 v5, v24, v5
	s_waitcnt lgkmcnt(0)
	v_fmac_f32_e32 v1, v5, v4
	s_branch .LBB88_81
.LBB88_75:                              ;   in Loop: Header=BB88_53 Depth=1
                                        ; implicit-def: $vgpr58
                                        ; implicit-def: $vgpr1
	s_cbranch_execz .LBB88_81
; %bb.76:                               ;   in Loop: Header=BB88_53 Depth=1
	s_load_b32 s8, s[28:29], 0x0
	v_mov_b32_e32 v5, 0
	s_waitcnt lgkmcnt(0)
	s_cmp_lt_u32 s14, s8
	s_cselect_b32 s8, 12, 18
	s_delay_alu instid0(SALU_CYCLE_1)
	s_add_u32 s8, s28, s8
	s_addc_u32 s9, s29, 0
	global_load_u16 v1, v2, s[8:9]
	s_mov_b32 s8, exec_lo
	s_waitcnt vmcnt(0)
	v_mad_u32_u24 v1, v56, v1, v55
	s_delay_alu instid0(VALU_DEP_1) | instskip(SKIP_1) | instid1(VALU_DEP_2)
	v_and_b32_e32 v3, 31, v1
	v_mov_b32_e32 v1, 0
	v_cmpx_gt_u32_e32 8, v3
	s_cbranch_execz .LBB88_80
; %bb.77:                               ;   in Loop: Header=BB88_53 Depth=1
	v_add_co_u32 v1, vcc_lo, v93, v3
	v_add_co_ci_u32_e32 v4, vcc_lo, 0, v94, vcc_lo
	v_mov_b32_e32 v5, 0
	s_delay_alu instid0(VALU_DEP_3) | instskip(NEXT) | instid1(VALU_DEP_3)
	v_add_co_u32 v3, vcc_lo, 0xffffffc1, v1
	v_add_co_ci_u32_e32 v4, vcc_lo, -1, v4, vcc_lo
	v_mov_b32_e32 v1, 0
	s_mov_b32 s9, exec_lo
	s_delay_alu instid0(VALU_DEP_2)
	v_cmpx_gt_i64_e64 s[4:5], v[3:4]
	s_cbranch_execz .LBB88_79
; %bb.78:                               ;   in Loop: Header=BB88_53 Depth=1
	v_lshlrev_b64 v[3:4], 2, v[3:4]
	s_delay_alu instid0(VALU_DEP_1) | instskip(NEXT) | instid1(VALU_DEP_2)
	v_add_co_u32 v5, vcc_lo, s24, v3
	v_add_co_ci_u32_e32 v6, vcc_lo, s25, v4, vcc_lo
	v_add_co_u32 v3, vcc_lo, s26, v3
	v_add_co_ci_u32_e32 v4, vcc_lo, s27, v4, vcc_lo
	global_load_b32 v1, v[5:6], off
	global_load_b32 v5, v[3:4], off
.LBB88_79:                              ;   in Loop: Header=BB88_53 Depth=1
	s_or_b32 exec_lo, exec_lo, s9
.LBB88_80:                              ;   in Loop: Header=BB88_53 Depth=1
	s_delay_alu instid0(SALU_CYCLE_1)
	s_or_b32 exec_lo, exec_lo, s8
	v_add_co_u32 v3, vcc_lo, v59, v25
	v_add_co_ci_u32_e32 v4, vcc_lo, v60, v26, vcc_lo
	s_waitcnt vmcnt(1)
	ds_bpermute_b32 v21, v2, v1
	global_load_u16 v3, v[3:4], off
	s_waitcnt vmcnt(0)
	v_cvt_f32_f16_e32 v6, v3
	v_add_co_u32 v3, vcc_lo, v61, v25
	v_add_co_ci_u32_e32 v4, vcc_lo, v62, v26, vcc_lo
	global_load_u16 v3, v[3:4], off
	s_waitcnt vmcnt(0)
	v_cvt_f32_f16_e32 v7, v3
	v_add_co_u32 v3, vcc_lo, v27, v25
	v_add_co_ci_u32_e32 v4, vcc_lo, v28, v26, vcc_lo
	s_waitcnt lgkmcnt(0)
	s_delay_alu instid0(VALU_DEP_3)
	v_sub_f32_e32 v7, v7, v21
	global_load_u16 v3, v[3:4], off
	s_waitcnt vmcnt(0)
	v_cvt_f32_f16_e32 v8, v3
	v_add_co_u32 v3, vcc_lo, v41, v25
	v_add_co_ci_u32_e32 v4, vcc_lo, v42, v26, vcc_lo
	v_mul_f32_e32 v7, v7, v6
	global_load_u16 v3, v[3:4], off
	s_waitcnt vmcnt(0)
	v_cvt_f32_f16_e32 v9, v3
	v_add_co_u32 v3, vcc_lo, v29, v25
	v_add_co_ci_u32_e32 v4, vcc_lo, v30, v26, vcc_lo
	global_load_u16 v3, v[3:4], off
	s_waitcnt vmcnt(0)
	v_cvt_f32_f16_e32 v10, v3
	v_add_co_u32 v3, vcc_lo, v43, v25
	v_add_co_ci_u32_e32 v4, vcc_lo, v44, v26, vcc_lo
	global_load_u16 v3, v[3:4], off
	s_waitcnt vmcnt(0)
	v_cvt_f32_f16_e32 v11, v3
	v_add_co_u32 v3, vcc_lo, v31, v25
	v_add_co_ci_u32_e32 v4, vcc_lo, v32, v26, vcc_lo
	global_load_u16 v3, v[3:4], off
	s_waitcnt vmcnt(0)
	v_cvt_f32_f16_e32 v12, v3
	v_add_co_u32 v3, vcc_lo, v45, v25
	v_add_co_ci_u32_e32 v4, vcc_lo, v46, v26, vcc_lo
	global_load_u16 v3, v[3:4], off
	s_waitcnt vmcnt(0)
	v_cvt_f32_f16_e32 v13, v3
	v_add_co_u32 v3, vcc_lo, v33, v25
	v_add_co_ci_u32_e32 v4, vcc_lo, v34, v26, vcc_lo
	global_load_u16 v3, v[3:4], off
	s_waitcnt vmcnt(0)
	v_cvt_f32_f16_e32 v14, v3
	v_add_co_u32 v3, vcc_lo, v47, v25
	v_add_co_ci_u32_e32 v4, vcc_lo, v48, v26, vcc_lo
	global_load_u16 v3, v[3:4], off
	s_waitcnt vmcnt(0)
	v_cvt_f32_f16_e32 v15, v3
	v_add_co_u32 v3, vcc_lo, v35, v25
	v_add_co_ci_u32_e32 v4, vcc_lo, v36, v26, vcc_lo
	global_load_u16 v3, v[3:4], off
	s_waitcnt vmcnt(0)
	v_cvt_f32_f16_e32 v16, v3
	v_add_co_u32 v3, vcc_lo, v49, v25
	v_add_co_ci_u32_e32 v4, vcc_lo, v50, v26, vcc_lo
	global_load_u16 v3, v[3:4], off
	s_waitcnt vmcnt(0)
	v_cvt_f32_f16_e32 v17, v3
	v_add_co_u32 v3, vcc_lo, v37, v25
	v_add_co_ci_u32_e32 v4, vcc_lo, v38, v26, vcc_lo
	global_load_u16 v3, v[3:4], off
	s_waitcnt vmcnt(0)
	v_cvt_f32_f16_e32 v18, v3
	v_add_co_u32 v3, vcc_lo, v51, v25
	v_add_co_ci_u32_e32 v4, vcc_lo, v52, v26, vcc_lo
	global_load_u16 v3, v[3:4], off
	s_waitcnt vmcnt(0)
	v_cvt_f32_f16_e32 v19, v3
	v_add_co_u32 v3, vcc_lo, v39, v25
	v_add_co_ci_u32_e32 v4, vcc_lo, v40, v26, vcc_lo
	global_load_u16 v3, v[3:4], off
	s_waitcnt vmcnt(0)
	v_cvt_f32_f16_e32 v20, v3
	v_add_co_u32 v3, vcc_lo, v53, v25
	v_add_co_ci_u32_e32 v4, vcc_lo, v54, v26, vcc_lo
	global_load_u16 v3, v[3:4], off
	ds_bpermute_b32 v4, v2, v5
	s_waitcnt lgkmcnt(0)
	v_fmac_f32_e32 v91, v7, v4
	ds_bpermute_b32 v7, v2, v1 offset:4
	v_add_f32_e32 v4, v92, v6
	ds_bpermute_b32 v6, v2, v5 offset:4
	v_add_f32_e32 v4, v4, v8
	s_delay_alu instid0(VALU_DEP_1) | instskip(SKIP_1) | instid1(VALU_DEP_1)
	v_add_f32_e32 v4, v4, v10
	s_waitcnt lgkmcnt(1)
	v_dual_add_f32 v4, v4, v12 :: v_dual_sub_f32 v7, v9, v7
	s_delay_alu instid0(VALU_DEP_1) | instskip(SKIP_1) | instid1(VALU_DEP_1)
	v_dual_add_f32 v4, v4, v14 :: v_dual_mul_f32 v7, v7, v8
	s_waitcnt lgkmcnt(0)
	v_dual_add_f32 v4, v4, v16 :: v_dual_fmac_f32 v91, v7, v6
	ds_bpermute_b32 v7, v2, v1 offset:8
	ds_bpermute_b32 v6, v2, v5 offset:8
	v_add_f32_e32 v4, v4, v18
	s_waitcnt lgkmcnt(1)
	s_delay_alu instid0(VALU_DEP_1) | instskip(NEXT) | instid1(VALU_DEP_1)
	v_dual_add_f32 v58, v4, v20 :: v_dual_sub_f32 v7, v11, v7
	v_mul_f32_e32 v7, v7, v10
	s_waitcnt lgkmcnt(0)
	s_delay_alu instid0(VALU_DEP_1) | instskip(SKIP_4) | instid1(VALU_DEP_1)
	v_fmac_f32_e32 v91, v7, v6
	ds_bpermute_b32 v7, v2, v1 offset:12
	ds_bpermute_b32 v6, v2, v5 offset:12
	s_waitcnt lgkmcnt(1)
	v_sub_f32_e32 v7, v13, v7
	v_mul_f32_e32 v7, v7, v12
	s_waitcnt lgkmcnt(0)
	s_delay_alu instid0(VALU_DEP_1) | instskip(SKIP_4) | instid1(VALU_DEP_1)
	v_fmac_f32_e32 v91, v7, v6
	ds_bpermute_b32 v7, v2, v1 offset:16
	ds_bpermute_b32 v6, v2, v5 offset:16
	s_waitcnt lgkmcnt(1)
	v_sub_f32_e32 v7, v15, v7
	;; [unrolled: 8-line block ×3, first 2 shown]
	v_mul_f32_e32 v7, v7, v16
	s_waitcnt lgkmcnt(0)
	s_delay_alu instid0(VALU_DEP_1)
	v_fmac_f32_e32 v91, v7, v6
	ds_bpermute_b32 v7, v2, v1 offset:24
	ds_bpermute_b32 v1, v2, v1 offset:28
	;; [unrolled: 1-line block ×4, first 2 shown]
	s_waitcnt lgkmcnt(3)
	v_sub_f32_e32 v7, v19, v7
	s_delay_alu instid0(VALU_DEP_1) | instskip(SKIP_1) | instid1(VALU_DEP_1)
	v_mul_f32_e32 v7, v7, v18
	s_waitcnt lgkmcnt(1)
	v_fmac_f32_e32 v91, v7, v6
	s_waitcnt vmcnt(0)
	v_cvt_f32_f16_e32 v3, v3
	s_delay_alu instid0(VALU_DEP_1) | instskip(NEXT) | instid1(VALU_DEP_1)
	v_sub_f32_e32 v1, v3, v1
	v_mul_f32_e32 v1, v1, v20
	s_waitcnt lgkmcnt(0)
	s_delay_alu instid0(VALU_DEP_1) | instskip(NEXT) | instid1(VALU_DEP_1)
	v_fmac_f32_e32 v91, v1, v5
	v_mov_b32_e32 v1, v91
.LBB88_81:                              ;   in Loop: Header=BB88_53 Depth=1
	v_add_co_u32 v27, vcc_lo, v27, s2
	v_add_co_ci_u32_e32 v28, vcc_lo, s3, v28, vcc_lo
	v_add_co_u32 v29, vcc_lo, v29, s2
	v_add_co_ci_u32_e32 v30, vcc_lo, s3, v30, vcc_lo
	;; [unrolled: 2-line block ×27, first 2 shown]
	v_add_co_u32 v85, vcc_lo, v85, s2
	s_add_u32 s12, s12, s15
	v_add_co_ci_u32_e32 v86, vcc_lo, s3, v86, vcc_lo
	s_addc_u32 s13, s13, 0
	v_add_co_u32 v87, vcc_lo, v87, s2
	v_cmp_ge_i64_e64 s8, s[12:13], s[4:5]
	v_add_co_ci_u32_e32 v88, vcc_lo, s3, v88, vcc_lo
	v_add_co_u32 v89, vcc_lo, v89, s2
	v_add_co_ci_u32_e32 v90, vcc_lo, s3, v90, vcc_lo
	s_add_u32 s30, s30, s15
	s_addc_u32 s31, s31, 0
	s_and_b32 vcc_lo, exec_lo, s8
	s_cbranch_vccnz .LBB88_83
; %bb.82:                               ;   in Loop: Header=BB88_53 Depth=1
	v_dual_mov_b32 v92, v58 :: v_dual_mov_b32 v91, v1
	s_branch .LBB88_53
.LBB88_83:
	v_and_b32_e32 v4, 0x3ff, v0
	v_bfe_u32 v2, v0, 10, 10
	s_mov_b32 s15, 0
	s_mov_b32 s2, exec_lo
	s_delay_alu instid0(VALU_DEP_2) | instskip(NEXT) | instid1(VALU_DEP_2)
	v_lshrrev_b32_e32 v3, 5, v4
	v_mad_u32_u24 v0, v2, 33, v4
	s_delay_alu instid0(VALU_DEP_2) | instskip(NEXT) | instid1(VALU_DEP_2)
	v_add_nc_u32_e32 v5, v3, v2
	v_lshl_add_u32 v0, v0, 2, 0
	ds_store_b32 v0, v1
	ds_store_b32 v0, v58 offset:1056
	s_waitcnt lgkmcnt(0)
	s_barrier
	buffer_gl0_inv
	v_cmpx_gt_u32_e32 32, v5
	s_cbranch_execz .LBB88_93
; %bb.84:
	v_mbcnt_lo_u32_b32 v6, -1, 0
	s_load_b128 s[8:11], s[0:1], 0x30
	v_cmp_eq_u32_e64 s0, 0, v4
	s_lshl_b64 s[4:5], s[14:15], 5
	s_delay_alu instid0(VALU_DEP_2) | instskip(SKIP_2) | instid1(VALU_DEP_1)
	v_xor_b32_e32 v7, 4, v6
	v_and_b32_e32 v0, 31, v4
	v_add_co_u32 v4, s1, v3, v2
	v_add_co_ci_u32_e64 v5, null, 0, 0, s1
	s_delay_alu instid0(VALU_DEP_3) | instskip(SKIP_1) | instid1(VALU_DEP_4)
	v_cmp_gt_u32_e64 s1, 8, v0
	v_mul_u32_u24_e32 v11, 33, v0
	v_add_co_u32 v0, vcc_lo, v4, s4
	s_delay_alu instid0(VALU_DEP_4)
	v_add_co_ci_u32_e32 v1, vcc_lo, s5, v5, vcc_lo
	v_xor_b32_e32 v8, 2, v6
	v_cmp_gt_i32_e32 vcc_lo, 32, v7
	v_xor_b32_e32 v9, 1, v6
	v_add3_u32 v11, v11, v2, v3
	s_waitcnt lgkmcnt(0)
	s_cmp_lg_u64 s[8:9], 0
	v_cndmask_b32_e32 v7, v6, v7, vcc_lo
	v_cmp_gt_i32_e32 vcc_lo, 32, v8
	s_cselect_b32 s3, -1, 0
	s_cmp_lg_u64 s[10:11], 0
	v_cndmask_b32_e32 v8, v6, v8, vcc_lo
	v_cmp_gt_i32_e32 vcc_lo, 32, v9
	v_cndmask_b32_e32 v12, v6, v9, vcc_lo
	v_lshlrev_b64 v[9:10], 1, v[0:1]
	v_lshlrev_b32_e32 v6, 2, v7
	v_lshlrev_b32_e32 v7, 2, v8
	s_delay_alu instid0(VALU_DEP_4) | instskip(NEXT) | instid1(VALU_DEP_4)
	v_lshlrev_b32_e32 v8, 2, v12
	v_add_co_u32 v0, vcc_lo, s10, v9
	v_add_co_ci_u32_e32 v1, vcc_lo, s11, v10, vcc_lo
	v_add_co_u32 v2, vcc_lo, s8, v9
	v_add_co_ci_u32_e32 v3, vcc_lo, s9, v10, vcc_lo
	v_lshl_add_u32 v9, v11, 2, 0
	s_cselect_b32 s8, -1, 0
                                        ; implicit-def: $vgpr10
                                        ; implicit-def: $vgpr11
	s_branch .LBB88_86
.LBB88_85:                              ;   in Loop: Header=BB88_86 Depth=1
	s_or_b32 exec_lo, exec_lo, s2
	v_add_co_u32 v4, vcc_lo, v4, 8
	v_add_co_ci_u32_e32 v5, vcc_lo, 0, v5, vcc_lo
	v_add_co_u32 v0, vcc_lo, v0, 16
	s_delay_alu instid0(VALU_DEP_3) | instskip(SKIP_2) | instid1(VALU_DEP_3)
	v_add_nc_u32_e32 v12, -8, v4
	v_add_co_ci_u32_e32 v1, vcc_lo, 0, v1, vcc_lo
	v_add_co_u32 v2, s2, v2, 16
	v_cmp_lt_u32_e32 vcc_lo, 23, v12
	v_add_co_ci_u32_e64 v3, s2, 0, v3, s2
	v_add_nc_u32_e32 v9, 32, v9
	s_or_b32 s15, vcc_lo, s15
	s_delay_alu instid0(SALU_CYCLE_1)
	s_and_not1_b32 exec_lo, exec_lo, s15
	s_cbranch_execz .LBB88_93
.LBB88_86:                              ; =>This Inner Loop Header: Depth=1
	s_and_saveexec_b32 s2, s1
	s_cbranch_execz .LBB88_88
; %bb.87:                               ;   in Loop: Header=BB88_86 Depth=1
	ds_load_b32 v10, v9
	ds_load_b32 v11, v9 offset:1056
.LBB88_88:                              ;   in Loop: Header=BB88_86 Depth=1
	s_or_b32 exec_lo, exec_lo, s2
	s_waitcnt lgkmcnt(1)
	ds_bpermute_b32 v12, v6, v10
	s_waitcnt lgkmcnt(1)
	ds_bpermute_b32 v13, v6, v11
	s_waitcnt lgkmcnt(0)
	v_dual_add_f32 v10, v10, v12 :: v_dual_add_f32 v11, v11, v13
	ds_bpermute_b32 v12, v7, v10
	ds_bpermute_b32 v13, v7, v11
	s_waitcnt lgkmcnt(0)
	v_dual_add_f32 v12, v10, v12 :: v_dual_add_f32 v13, v11, v13
	v_add_co_u32 v10, vcc_lo, s4, v4
	v_add_co_ci_u32_e32 v11, vcc_lo, s5, v5, vcc_lo
	ds_bpermute_b32 v14, v8, v12
	ds_bpermute_b32 v15, v8, v13
	v_cmp_gt_i64_e32 vcc_lo, s[6:7], v[10:11]
	s_and_b32 s9, s0, vcc_lo
	s_waitcnt lgkmcnt(0)
	v_dual_add_f32 v10, v12, v14 :: v_dual_add_f32 v11, v13, v15
	s_and_saveexec_b32 s2, s9
	s_cbranch_execz .LBB88_85
; %bb.89:                               ;   in Loop: Header=BB88_86 Depth=1
	s_and_not1_b32 vcc_lo, exec_lo, s3
	s_cbranch_vccnz .LBB88_91
; %bb.90:                               ;   in Loop: Header=BB88_86 Depth=1
	v_cvt_f16_f32_e32 v12, v10
	global_store_b16 v[2:3], v12, off
.LBB88_91:                              ;   in Loop: Header=BB88_86 Depth=1
	s_and_not1_b32 vcc_lo, exec_lo, s8
	s_cbranch_vccnz .LBB88_85
; %bb.92:                               ;   in Loop: Header=BB88_86 Depth=1
	v_cvt_f16_f32_e32 v12, v11
	global_store_b16 v[0:1], v12, off
	s_branch .LBB88_85
.LBB88_93:
	s_nop 0
	s_sendmsg sendmsg(MSG_DEALLOC_VGPRS)
	s_endpgm
	.section	.rodata,"a",@progbits
	.p2align	6, 0x0
	.amdhsa_kernel _ZN2at6native12_GLOBAL__N_135GammaBetaBackwardCUDAKernelTemplateIN3c104HalfEfLj32ELj8ELj64ELb0ELb0ELb0EEEvllPKT_S7_PKT0_SA_PS5_SB_
		.amdhsa_group_segment_fixed_size 0
		.amdhsa_private_segment_fixed_size 0
		.amdhsa_kernarg_size 320
		.amdhsa_user_sgpr_count 14
		.amdhsa_user_sgpr_dispatch_ptr 0
		.amdhsa_user_sgpr_queue_ptr 0
		.amdhsa_user_sgpr_kernarg_segment_ptr 1
		.amdhsa_user_sgpr_dispatch_id 0
		.amdhsa_user_sgpr_private_segment_size 0
		.amdhsa_wavefront_size32 1
		.amdhsa_uses_dynamic_stack 0
		.amdhsa_enable_private_segment 0
		.amdhsa_system_sgpr_workgroup_id_x 1
		.amdhsa_system_sgpr_workgroup_id_y 1
		.amdhsa_system_sgpr_workgroup_id_z 0
		.amdhsa_system_sgpr_workgroup_info 0
		.amdhsa_system_vgpr_workitem_id 1
		.amdhsa_next_free_vgpr 96
		.amdhsa_next_free_sgpr 40
		.amdhsa_reserve_vcc 1
		.amdhsa_float_round_mode_32 0
		.amdhsa_float_round_mode_16_64 0
		.amdhsa_float_denorm_mode_32 3
		.amdhsa_float_denorm_mode_16_64 3
		.amdhsa_dx10_clamp 1
		.amdhsa_ieee_mode 1
		.amdhsa_fp16_overflow 0
		.amdhsa_workgroup_processor_mode 1
		.amdhsa_memory_ordered 1
		.amdhsa_forward_progress 0
		.amdhsa_shared_vgpr_count 0
		.amdhsa_exception_fp_ieee_invalid_op 0
		.amdhsa_exception_fp_denorm_src 0
		.amdhsa_exception_fp_ieee_div_zero 0
		.amdhsa_exception_fp_ieee_overflow 0
		.amdhsa_exception_fp_ieee_underflow 0
		.amdhsa_exception_fp_ieee_inexact 0
		.amdhsa_exception_int_div_zero 0
	.end_amdhsa_kernel
	.section	.text._ZN2at6native12_GLOBAL__N_135GammaBetaBackwardCUDAKernelTemplateIN3c104HalfEfLj32ELj8ELj64ELb0ELb0ELb0EEEvllPKT_S7_PKT0_SA_PS5_SB_,"axG",@progbits,_ZN2at6native12_GLOBAL__N_135GammaBetaBackwardCUDAKernelTemplateIN3c104HalfEfLj32ELj8ELj64ELb0ELb0ELb0EEEvllPKT_S7_PKT0_SA_PS5_SB_,comdat
.Lfunc_end88:
	.size	_ZN2at6native12_GLOBAL__N_135GammaBetaBackwardCUDAKernelTemplateIN3c104HalfEfLj32ELj8ELj64ELb0ELb0ELb0EEEvllPKT_S7_PKT0_SA_PS5_SB_, .Lfunc_end88-_ZN2at6native12_GLOBAL__N_135GammaBetaBackwardCUDAKernelTemplateIN3c104HalfEfLj32ELj8ELj64ELb0ELb0ELb0EEEvllPKT_S7_PKT0_SA_PS5_SB_
                                        ; -- End function
	.section	.AMDGPU.csdata,"",@progbits
; Kernel info:
; codeLenInByte = 8700
; NumSgprs: 42
; NumVgprs: 96
; ScratchSize: 0
; MemoryBound: 0
; FloatMode: 240
; IeeeMode: 1
; LDSByteSize: 0 bytes/workgroup (compile time only)
; SGPRBlocks: 5
; VGPRBlocks: 11
; NumSGPRsForWavesPerEU: 42
; NumVGPRsForWavesPerEU: 96
; Occupancy: 16
; WaveLimiterHint : 0
; COMPUTE_PGM_RSRC2:SCRATCH_EN: 0
; COMPUTE_PGM_RSRC2:USER_SGPR: 14
; COMPUTE_PGM_RSRC2:TRAP_HANDLER: 0
; COMPUTE_PGM_RSRC2:TGID_X_EN: 1
; COMPUTE_PGM_RSRC2:TGID_Y_EN: 1
; COMPUTE_PGM_RSRC2:TGID_Z_EN: 0
; COMPUTE_PGM_RSRC2:TIDIG_COMP_CNT: 1
	.section	.text._ZN2at6native12_GLOBAL__N_135GammaBetaBackwardCUDAKernelTemplateIN3c104HalfEfLj32ELj16ELj128ELb0ELb1ELb0EEEvllPKT_S7_PKT0_SA_PS5_SB_,"axG",@progbits,_ZN2at6native12_GLOBAL__N_135GammaBetaBackwardCUDAKernelTemplateIN3c104HalfEfLj32ELj16ELj128ELb0ELb1ELb0EEEvllPKT_S7_PKT0_SA_PS5_SB_,comdat
	.globl	_ZN2at6native12_GLOBAL__N_135GammaBetaBackwardCUDAKernelTemplateIN3c104HalfEfLj32ELj16ELj128ELb0ELb1ELb0EEEvllPKT_S7_PKT0_SA_PS5_SB_ ; -- Begin function _ZN2at6native12_GLOBAL__N_135GammaBetaBackwardCUDAKernelTemplateIN3c104HalfEfLj32ELj16ELj128ELb0ELb1ELb0EEEvllPKT_S7_PKT0_SA_PS5_SB_
	.p2align	8
	.type	_ZN2at6native12_GLOBAL__N_135GammaBetaBackwardCUDAKernelTemplateIN3c104HalfEfLj32ELj16ELj128ELb0ELb1ELb0EEEvllPKT_S7_PKT0_SA_PS5_SB_,@function
_ZN2at6native12_GLOBAL__N_135GammaBetaBackwardCUDAKernelTemplateIN3c104HalfEfLj32ELj16ELj128ELb0ELb1ELb0EEEvllPKT_S7_PKT0_SA_PS5_SB_: ; @_ZN2at6native12_GLOBAL__N_135GammaBetaBackwardCUDAKernelTemplateIN3c104HalfEfLj32ELj16ELj128ELb0ELb1ELb0EEEvllPKT_S7_PKT0_SA_PS5_SB_
; %bb.0:
	s_load_b128 s[20:23], s[0:1], 0x0
	s_mov_b32 s3, 0
	s_lshl_b32 s2, s15, 7
	v_bfe_u32 v7, v0, 10, 10
	s_waitcnt lgkmcnt(0)
	v_cmp_lt_i64_e64 s4, s[2:3], s[20:21]
	s_delay_alu instid0(VALU_DEP_1)
	s_and_b32 vcc_lo, exec_lo, s4
	s_cbranch_vccnz .LBB89_2
; %bb.1:
	v_bfe_u32 v2, v0, 10, 10
	s_mov_b32 s5, 0
	s_mov_b32 s4, s3
	s_branch .LBB89_3
.LBB89_2:
	s_mov_b32 s4, -1
                                        ; implicit-def: $sgpr5
                                        ; implicit-def: $vgpr2
.LBB89_3:
	s_load_b128 s[16:19], s[0:1], 0x30
	v_dual_mov_b32 v13, s5 :: v_dual_and_b32 v6, 0x3ff, v0
	v_mov_b32_e32 v17, s5
	s_and_not1_b32 vcc_lo, exec_lo, s4
	s_cbranch_vccnz .LBB89_11
; %bb.4:
	s_clause 0x2
	s_load_b32 s12, s[0:1], 0x4c
	s_load_b32 s15, s[0:1], 0x44
	s_load_b256 s[4:11], s[0:1], 0x10
	v_dual_mov_b32 v1, 0 :: v_dual_lshlrev_b32 v0, 3, v7
	v_dual_mov_b32 v8, 8 :: v_dual_mov_b32 v9, 4
	v_dual_mov_b32 v10, 12 :: v_dual_mov_b32 v11, 16
	s_delay_alu instid0(VALU_DEP_3) | instskip(NEXT) | instid1(VALU_DEP_1)
	v_add_co_u32 v2, s0, v0, s2
	v_add_co_ci_u32_e64 v3, null, 0, 0, s0
	v_lshl_add_u32 v0, s14, 5, v6
	s_delay_alu instid0(VALU_DEP_3) | instskip(SKIP_1) | instid1(VALU_DEP_4)
	v_mul_lo_u32 v13, s23, v2
	v_mad_u64_u32 v[4:5], null, s22, v2, 0
	v_mul_lo_u32 v18, s22, v3
	v_dual_mov_b32 v12, 20 :: v_dual_mov_b32 v15, 28
	s_waitcnt lgkmcnt(0)
	s_and_b32 s0, s12, 0xffff
	s_lshl_b32 s12, s15, 7
	v_mad_u32_u24 v16, v7, s0, v6
	s_mul_i32 s1, s23, s12
	s_mul_hi_u32 s15, s22, s12
	v_add3_u32 v5, v5, v18, v13
	v_mov_b32_e32 v14, 24
	v_dual_mov_b32 v13, 0 :: v_dual_and_b32 v20, 31, v16
	v_lshlrev_b64 v[16:17], 1, v[0:1]
	s_delay_alu instid0(VALU_DEP_4) | instskip(SKIP_1) | instid1(VALU_DEP_3)
	v_lshlrev_b64 v[18:19], 1, v[4:5]
	s_mov_b32 s13, 0
	v_add_co_u32 v2, vcc_lo, v2, v20
	v_add_co_ci_u32_e32 v3, vcc_lo, 0, v3, vcc_lo
	s_delay_alu instid0(VALU_DEP_3) | instskip(SKIP_1) | instid1(VALU_DEP_3)
	v_add_co_u32 v0, vcc_lo, v18, v16
	v_cmp_gt_u32_e64 s0, 8, v20
	v_lshlrev_b64 v[4:5], 2, v[2:3]
	v_add_co_ci_u32_e32 v16, vcc_lo, v19, v17, vcc_lo
	v_mov_b32_e32 v17, 0
	s_add_i32 s27, s15, s1
	s_mul_i32 s26, s22, s12
	s_lshl_b64 s[24:25], s[12:13], 2
	s_lshl_b64 s[26:27], s[26:27], 1
	;; [unrolled: 1-line block ×3, first 2 shown]
	s_branch .LBB89_7
.LBB89_5:                               ;   in Loop: Header=BB89_7 Depth=1
	s_or_b32 exec_lo, exec_lo, s13
.LBB89_6:                               ;   in Loop: Header=BB89_7 Depth=1
	s_delay_alu instid0(SALU_CYCLE_1) | instskip(SKIP_4) | instid1(VALU_DEP_4)
	s_or_b32 exec_lo, exec_lo, s1
	v_add_co_u32 v20, vcc_lo, s4, v0
	v_add_co_ci_u32_e32 v21, vcc_lo, s5, v16, vcc_lo
	v_add_co_u32 v22, vcc_lo, s6, v0
	v_add_co_ci_u32_e32 v23, vcc_lo, s7, v16, vcc_lo
	v_add_co_u32 v24, vcc_lo, v20, s22
	s_delay_alu instid0(VALU_DEP_4) | instskip(NEXT) | instid1(VALU_DEP_4)
	v_add_co_ci_u32_e32 v25, vcc_lo, s23, v21, vcc_lo
	v_add_co_u32 v26, vcc_lo, v22, s22
	s_delay_alu instid0(VALU_DEP_4) | instskip(NEXT) | instid1(VALU_DEP_4)
	v_add_co_ci_u32_e32 v27, vcc_lo, s23, v23, vcc_lo
	v_add_co_u32 v28, vcc_lo, v24, s22
	s_delay_alu instid0(VALU_DEP_4)
	v_add_co_ci_u32_e32 v29, vcc_lo, s23, v25, vcc_lo
	global_load_u16 v30, v[20:21], off
	global_load_u16 v31, v[22:23], off
	;; [unrolled: 1-line block ×5, first 2 shown]
	v_add_co_u32 v20, vcc_lo, v26, s22
	v_add_co_ci_u32_e32 v21, vcc_lo, s23, v27, vcc_lo
	v_add_co_u32 v22, vcc_lo, v28, s22
	v_add_co_ci_u32_e32 v23, vcc_lo, s23, v29, vcc_lo
	s_delay_alu instid0(VALU_DEP_4) | instskip(NEXT) | instid1(VALU_DEP_4)
	v_add_co_u32 v24, vcc_lo, v20, s22
	v_add_co_ci_u32_e32 v25, vcc_lo, s23, v21, vcc_lo
	s_delay_alu instid0(VALU_DEP_4) | instskip(NEXT) | instid1(VALU_DEP_4)
	;; [unrolled: 3-line block ×3, first 2 shown]
	v_add_co_u32 v28, vcc_lo, v24, s22
	v_add_co_ci_u32_e32 v29, vcc_lo, s23, v25, vcc_lo
	global_load_u16 v35, v[20:21], off
	global_load_u16 v36, v[22:23], off
	;; [unrolled: 1-line block ×5, first 2 shown]
	v_add_co_u32 v20, vcc_lo, v26, s22
	v_add_co_ci_u32_e32 v21, vcc_lo, s23, v27, vcc_lo
	v_add_co_u32 v22, vcc_lo, v28, s22
	v_add_co_ci_u32_e32 v23, vcc_lo, s23, v29, vcc_lo
	s_delay_alu instid0(VALU_DEP_4) | instskip(NEXT) | instid1(VALU_DEP_4)
	v_add_co_u32 v24, vcc_lo, v20, s22
	v_add_co_ci_u32_e32 v25, vcc_lo, s23, v21, vcc_lo
	s_delay_alu instid0(VALU_DEP_4) | instskip(NEXT) | instid1(VALU_DEP_4)
	v_add_co_u32 v26, vcc_lo, v22, s22
	v_add_co_ci_u32_e32 v27, vcc_lo, s23, v23, vcc_lo
	global_load_u16 v28, v[20:21], off
	global_load_u16 v29, v[22:23], off
	;; [unrolled: 1-line block ×4, first 2 shown]
	v_add_co_u32 v20, vcc_lo, v26, s22
	v_add_co_ci_u32_e32 v21, vcc_lo, s23, v27, vcc_lo
	v_add_co_u32 v22, vcc_lo, v24, s22
	v_add_co_ci_u32_e32 v23, vcc_lo, s23, v25, vcc_lo
	global_load_u16 v20, v[20:21], off
	global_load_u16 v21, v[22:23], off
	s_waitcnt vmcnt(17)
	ds_bpermute_b32 v22, v1, v18
	ds_bpermute_b32 v25, v9, v18
	s_waitcnt vmcnt(16)
	ds_bpermute_b32 v23, v1, v19
	ds_bpermute_b32 v27, v8, v18
	;; [unrolled: 1-line block ×14, first 2 shown]
	v_add_co_u32 v4, vcc_lo, v4, s24
	s_add_u32 s2, s2, s12
	v_add_co_ci_u32_e32 v5, vcc_lo, s25, v5, vcc_lo
	s_addc_u32 s3, s3, 0
	v_add_co_u32 v2, vcc_lo, v2, s12
	v_add_co_ci_u32_e32 v3, vcc_lo, 0, v3, vcc_lo
	v_cmp_lt_i64_e64 s1, s[2:3], s[20:21]
	v_add_co_u32 v0, vcc_lo, v0, s26
	v_add_co_ci_u32_e32 v16, vcc_lo, s27, v16, vcc_lo
	s_delay_alu instid0(VALU_DEP_3)
	s_and_b32 vcc_lo, exec_lo, s1
	s_waitcnt vmcnt(15)
	v_cvt_f32_f16_e32 v30, v30
	s_waitcnt vmcnt(14)
	v_cvt_f32_f16_e32 v31, v31
	;; [unrolled: 2-line block ×3, first 2 shown]
	s_waitcnt lgkmcnt(15)
	s_delay_alu instid0(VALU_DEP_2)
	v_sub_f32_e32 v22, v31, v22
	v_cvt_f32_f16_e32 v31, v32
	s_waitcnt lgkmcnt(14)
	v_sub_f32_e32 v25, v33, v25
	s_waitcnt vmcnt(10)
	v_cvt_f32_f16_e32 v32, v35
	v_mul_f32_e32 v22, v22, v30
	s_waitcnt lgkmcnt(13)
	s_delay_alu instid0(VALU_DEP_1)
	v_fmac_f32_e32 v13, v22, v23
	v_mul_f32_e32 v22, v25, v31
	s_waitcnt lgkmcnt(12)
	v_sub_f32_e32 v23, v32, v27
	s_waitcnt vmcnt(8)
	v_cvt_f32_f16_e32 v25, v37
	v_cvt_f32_f16_e32 v27, v36
	v_add_f32_e32 v17, v17, v30
	v_cvt_f32_f16_e32 v30, v34
	s_waitcnt lgkmcnt(11)
	v_fmac_f32_e32 v13, v22, v24
	s_waitcnt vmcnt(6)
	v_cvt_f32_f16_e32 v24, v39
	v_mul_f32_e32 v22, v23, v30
	s_waitcnt lgkmcnt(9)
	s_delay_alu instid0(VALU_DEP_1)
	v_fmac_f32_e32 v13, v22, v26
	s_waitcnt vmcnt(5)
	v_cvt_f32_f16_e32 v26, v28
	s_waitcnt vmcnt(1)
	v_cvt_f32_f16_e32 v20, v20
	v_sub_f32_e32 v23, v25, v43
	v_cvt_f32_f16_e32 v25, v38
	s_waitcnt vmcnt(0)
	v_cvt_f32_f16_e32 v21, v21
	s_waitcnt lgkmcnt(5)
	v_sub_f32_e32 v18, v20, v18
	v_dual_mul_f32 v22, v23, v27 :: v_dual_sub_f32 v23, v24, v45
	v_cvt_f32_f16_e32 v24, v29
	s_delay_alu instid0(VALU_DEP_3) | instskip(SKIP_1) | instid1(VALU_DEP_3)
	v_dual_add_f32 v17, v17, v31 :: v_dual_mul_f32 v18, v18, v21
	s_waitcnt lgkmcnt(4)
	v_dual_fmac_f32 v13, v22, v42 :: v_dual_mul_f32 v22, v23, v25
	s_delay_alu instid0(VALU_DEP_3) | instskip(SKIP_2) | instid1(VALU_DEP_2)
	v_sub_f32_e32 v23, v24, v47
	v_cvt_f32_f16_e32 v24, v41
	s_waitcnt lgkmcnt(3)
	v_dual_fmac_f32 v13, v22, v44 :: v_dual_mul_f32 v22, v23, v26
	s_delay_alu instid0(VALU_DEP_2) | instskip(SKIP_2) | instid1(VALU_DEP_3)
	v_sub_f32_e32 v23, v24, v49
	v_add_f32_e32 v17, v17, v30
	s_waitcnt lgkmcnt(2)
	v_fmac_f32_e32 v13, v22, v46
	s_delay_alu instid0(VALU_DEP_2) | instskip(NEXT) | instid1(VALU_DEP_1)
	v_add_f32_e32 v17, v17, v27
	v_add_f32_e32 v17, v17, v25
	v_cvt_f32_f16_e32 v25, v40
	s_delay_alu instid0(VALU_DEP_1) | instskip(NEXT) | instid1(VALU_DEP_1)
	v_dual_add_f32 v17, v17, v26 :: v_dual_mul_f32 v22, v23, v25
	v_add_f32_e32 v17, v17, v25
	s_waitcnt lgkmcnt(1)
	s_delay_alu instid0(VALU_DEP_2) | instskip(NEXT) | instid1(VALU_DEP_2)
	v_fmac_f32_e32 v13, v22, v48
	v_add_f32_e32 v17, v17, v21
	s_waitcnt lgkmcnt(0)
	s_delay_alu instid0(VALU_DEP_2)
	v_fmac_f32_e32 v13, v18, v19
	s_cbranch_vccz .LBB89_10
.LBB89_7:                               ; =>This Inner Loop Header: Depth=1
	v_dual_mov_b32 v19, 0 :: v_dual_mov_b32 v18, 0
	s_and_saveexec_b32 s1, s0
	s_cbranch_execz .LBB89_6
; %bb.8:                                ;   in Loop: Header=BB89_7 Depth=1
	v_dual_mov_b32 v18, 0 :: v_dual_mov_b32 v19, 0
	s_mov_b32 s13, exec_lo
	v_cmpx_gt_i64_e64 s[20:21], v[2:3]
	s_cbranch_execz .LBB89_5
; %bb.9:                                ;   in Loop: Header=BB89_7 Depth=1
	v_add_co_u32 v18, vcc_lo, s8, v4
	v_add_co_ci_u32_e32 v19, vcc_lo, s9, v5, vcc_lo
	v_add_co_u32 v20, vcc_lo, s10, v4
	v_add_co_ci_u32_e32 v21, vcc_lo, s11, v5, vcc_lo
	global_load_b32 v18, v[18:19], off
	global_load_b32 v19, v[20:21], off
	s_branch .LBB89_5
.LBB89_10:
	v_mov_b32_e32 v2, v7
.LBB89_11:
	s_delay_alu instid0(VALU_DEP_2) | instskip(NEXT) | instid1(VALU_DEP_2)
	v_lshrrev_b32_e32 v3, 5, v6
	v_mad_u32_u24 v1, v2, 33, v6
	s_mov_b32 s15, 0
	s_mov_b32 s0, exec_lo
	s_delay_alu instid0(VALU_DEP_2) | instskip(NEXT) | instid1(VALU_DEP_2)
	v_add_nc_u32_e32 v0, v3, v2
	v_lshl_add_u32 v1, v1, 2, 0
	ds_store_b32 v1, v13
	ds_store_b32 v1, v17 offset:2112
	s_waitcnt lgkmcnt(0)
	s_barrier
	buffer_gl0_inv
	v_cmpx_gt_u32_e32 32, v0
	s_cbranch_execz .LBB89_21
; %bb.12:
	v_mbcnt_lo_u32_b32 v4, -1, 0
	s_lshl_b64 s[4:5], s[14:15], 5
	v_cmp_eq_u32_e64 s1, 0, v6
	s_cmp_lg_u64 s[16:17], 0
	s_cselect_b32 s2, -1, 0
	v_xor_b32_e32 v8, 2, v4
	v_and_b32_e32 v1, 31, v6
	v_xor_b32_e32 v5, 4, v4
	v_or_b32_e32 v6, s4, v3
	v_xor_b32_e32 v9, 1, v4
	s_cmp_lg_u64 s[18:19], 0
	v_cmp_gt_u32_e64 s0, 16, v1
	v_mul_u32_u24_e32 v11, 33, v1
	v_xor_b32_e32 v1, 8, v4
	s_delay_alu instid0(VALU_DEP_2) | instskip(NEXT) | instid1(VALU_DEP_2)
	v_add3_u32 v11, v11, v2, v3
	v_cmp_gt_i32_e32 vcc_lo, 32, v1
	v_cndmask_b32_e32 v1, v4, v1, vcc_lo
	v_cmp_gt_i32_e32 vcc_lo, 32, v5
	v_cndmask_b32_e32 v7, v4, v5, vcc_lo
	v_cmp_gt_i32_e32 vcc_lo, 32, v8
	v_add_co_u32 v5, s3, v6, v2
	s_delay_alu instid0(VALU_DEP_1)
	v_add_co_ci_u32_e64 v6, null, s5, 0, s3
	v_cndmask_b32_e32 v8, v4, v8, vcc_lo
	v_cmp_gt_i32_e32 vcc_lo, 32, v9
	s_cselect_b32 s3, -1, 0
	v_cndmask_b32_e32 v12, v4, v9, vcc_lo
	v_lshlrev_b64 v[9:10], 1, v[5:6]
	v_lshlrev_b32_e32 v6, 2, v8
	v_add_nc_u32_e32 v8, -16, v0
	v_lshlrev_b32_e32 v5, 2, v7
	v_lshlrev_b32_e32 v4, 2, v1
	;; [unrolled: 1-line block ×3, first 2 shown]
	v_add_co_u32 v0, vcc_lo, s18, v9
	v_add_co_ci_u32_e32 v1, vcc_lo, s19, v10, vcc_lo
	v_add_co_u32 v2, vcc_lo, s16, v9
	v_add_co_ci_u32_e32 v3, vcc_lo, s17, v10, vcc_lo
	v_lshl_add_u32 v9, v11, 2, 0
                                        ; implicit-def: $vgpr10
                                        ; implicit-def: $vgpr11
	s_branch .LBB89_14
.LBB89_13:                              ;   in Loop: Header=BB89_14 Depth=1
	s_or_b32 exec_lo, exec_lo, s4
	v_add_co_u32 v0, vcc_lo, v0, 32
	v_add_co_u32 v8, s4, v8, 16
	v_add_co_ci_u32_e32 v1, vcc_lo, 0, v1, vcc_lo
	v_add_co_u32 v2, vcc_lo, v2, 32
	s_xor_b32 s4, s4, -1
	v_add_co_ci_u32_e32 v3, vcc_lo, 0, v3, vcc_lo
	v_add_nc_u32_e32 v9, 64, v9
	s_and_b32 s4, exec_lo, s4
	s_delay_alu instid0(SALU_CYCLE_1) | instskip(NEXT) | instid1(SALU_CYCLE_1)
	s_or_b32 s15, s4, s15
	s_and_not1_b32 exec_lo, exec_lo, s15
	s_cbranch_execz .LBB89_21
.LBB89_14:                              ; =>This Inner Loop Header: Depth=1
	s_and_saveexec_b32 s4, s0
	s_cbranch_execz .LBB89_16
; %bb.15:                               ;   in Loop: Header=BB89_14 Depth=1
	ds_load_b32 v10, v9
	ds_load_b32 v11, v9 offset:2112
.LBB89_16:                              ;   in Loop: Header=BB89_14 Depth=1
	s_or_b32 exec_lo, exec_lo, s4
	s_waitcnt lgkmcnt(1)
	ds_bpermute_b32 v12, v4, v10
	s_waitcnt lgkmcnt(1)
	ds_bpermute_b32 v13, v4, v11
	s_waitcnt lgkmcnt(0)
	v_dual_add_f32 v10, v10, v12 :: v_dual_add_f32 v11, v11, v13
	ds_bpermute_b32 v12, v5, v10
	ds_bpermute_b32 v13, v5, v11
	s_waitcnt lgkmcnt(0)
	v_dual_add_f32 v10, v10, v12 :: v_dual_add_f32 v11, v11, v13
	ds_bpermute_b32 v12, v6, v10
	;; [unrolled: 4-line block ×3, first 2 shown]
	ds_bpermute_b32 v13, v7, v11
	s_waitcnt lgkmcnt(0)
	v_dual_add_f32 v10, v10, v12 :: v_dual_add_f32 v11, v11, v13
	s_and_saveexec_b32 s4, s1
	s_cbranch_execz .LBB89_13
; %bb.17:                               ;   in Loop: Header=BB89_14 Depth=1
	s_and_not1_b32 vcc_lo, exec_lo, s2
	s_cbranch_vccnz .LBB89_19
; %bb.18:                               ;   in Loop: Header=BB89_14 Depth=1
	v_cvt_f16_f32_e32 v12, v10
	global_store_b16 v[2:3], v12, off
.LBB89_19:                              ;   in Loop: Header=BB89_14 Depth=1
	s_and_not1_b32 vcc_lo, exec_lo, s3
	s_cbranch_vccnz .LBB89_13
; %bb.20:                               ;   in Loop: Header=BB89_14 Depth=1
	v_cvt_f16_f32_e32 v12, v11
	global_store_b16 v[0:1], v12, off
	s_branch .LBB89_13
.LBB89_21:
	s_nop 0
	s_sendmsg sendmsg(MSG_DEALLOC_VGPRS)
	s_endpgm
	.section	.rodata,"a",@progbits
	.p2align	6, 0x0
	.amdhsa_kernel _ZN2at6native12_GLOBAL__N_135GammaBetaBackwardCUDAKernelTemplateIN3c104HalfEfLj32ELj16ELj128ELb0ELb1ELb0EEEvllPKT_S7_PKT0_SA_PS5_SB_
		.amdhsa_group_segment_fixed_size 0
		.amdhsa_private_segment_fixed_size 0
		.amdhsa_kernarg_size 320
		.amdhsa_user_sgpr_count 14
		.amdhsa_user_sgpr_dispatch_ptr 0
		.amdhsa_user_sgpr_queue_ptr 0
		.amdhsa_user_sgpr_kernarg_segment_ptr 1
		.amdhsa_user_sgpr_dispatch_id 0
		.amdhsa_user_sgpr_private_segment_size 0
		.amdhsa_wavefront_size32 1
		.amdhsa_uses_dynamic_stack 0
		.amdhsa_enable_private_segment 0
		.amdhsa_system_sgpr_workgroup_id_x 1
		.amdhsa_system_sgpr_workgroup_id_y 1
		.amdhsa_system_sgpr_workgroup_id_z 0
		.amdhsa_system_sgpr_workgroup_info 0
		.amdhsa_system_vgpr_workitem_id 1
		.amdhsa_next_free_vgpr 50
		.amdhsa_next_free_sgpr 28
		.amdhsa_reserve_vcc 1
		.amdhsa_float_round_mode_32 0
		.amdhsa_float_round_mode_16_64 0
		.amdhsa_float_denorm_mode_32 3
		.amdhsa_float_denorm_mode_16_64 3
		.amdhsa_dx10_clamp 1
		.amdhsa_ieee_mode 1
		.amdhsa_fp16_overflow 0
		.amdhsa_workgroup_processor_mode 1
		.amdhsa_memory_ordered 1
		.amdhsa_forward_progress 0
		.amdhsa_shared_vgpr_count 0
		.amdhsa_exception_fp_ieee_invalid_op 0
		.amdhsa_exception_fp_denorm_src 0
		.amdhsa_exception_fp_ieee_div_zero 0
		.amdhsa_exception_fp_ieee_overflow 0
		.amdhsa_exception_fp_ieee_underflow 0
		.amdhsa_exception_fp_ieee_inexact 0
		.amdhsa_exception_int_div_zero 0
	.end_amdhsa_kernel
	.section	.text._ZN2at6native12_GLOBAL__N_135GammaBetaBackwardCUDAKernelTemplateIN3c104HalfEfLj32ELj16ELj128ELb0ELb1ELb0EEEvllPKT_S7_PKT0_SA_PS5_SB_,"axG",@progbits,_ZN2at6native12_GLOBAL__N_135GammaBetaBackwardCUDAKernelTemplateIN3c104HalfEfLj32ELj16ELj128ELb0ELb1ELb0EEEvllPKT_S7_PKT0_SA_PS5_SB_,comdat
.Lfunc_end89:
	.size	_ZN2at6native12_GLOBAL__N_135GammaBetaBackwardCUDAKernelTemplateIN3c104HalfEfLj32ELj16ELj128ELb0ELb1ELb0EEEvllPKT_S7_PKT0_SA_PS5_SB_, .Lfunc_end89-_ZN2at6native12_GLOBAL__N_135GammaBetaBackwardCUDAKernelTemplateIN3c104HalfEfLj32ELj16ELj128ELb0ELb1ELb0EEEvllPKT_S7_PKT0_SA_PS5_SB_
                                        ; -- End function
	.section	.AMDGPU.csdata,"",@progbits
; Kernel info:
; codeLenInByte = 1892
; NumSgprs: 30
; NumVgprs: 50
; ScratchSize: 0
; MemoryBound: 0
; FloatMode: 240
; IeeeMode: 1
; LDSByteSize: 0 bytes/workgroup (compile time only)
; SGPRBlocks: 3
; VGPRBlocks: 6
; NumSGPRsForWavesPerEU: 30
; NumVGPRsForWavesPerEU: 50
; Occupancy: 16
; WaveLimiterHint : 0
; COMPUTE_PGM_RSRC2:SCRATCH_EN: 0
; COMPUTE_PGM_RSRC2:USER_SGPR: 14
; COMPUTE_PGM_RSRC2:TRAP_HANDLER: 0
; COMPUTE_PGM_RSRC2:TGID_X_EN: 1
; COMPUTE_PGM_RSRC2:TGID_Y_EN: 1
; COMPUTE_PGM_RSRC2:TGID_Z_EN: 0
; COMPUTE_PGM_RSRC2:TIDIG_COMP_CNT: 1
	.section	.text._ZN2at6native12_GLOBAL__N_135GammaBetaBackwardCUDAKernelTemplateIN3c104HalfEfLj32ELj16ELj128ELb0ELb0ELb0EEEvllPKT_S7_PKT0_SA_PS5_SB_,"axG",@progbits,_ZN2at6native12_GLOBAL__N_135GammaBetaBackwardCUDAKernelTemplateIN3c104HalfEfLj32ELj16ELj128ELb0ELb0ELb0EEEvllPKT_S7_PKT0_SA_PS5_SB_,comdat
	.globl	_ZN2at6native12_GLOBAL__N_135GammaBetaBackwardCUDAKernelTemplateIN3c104HalfEfLj32ELj16ELj128ELb0ELb0ELb0EEEvllPKT_S7_PKT0_SA_PS5_SB_ ; -- Begin function _ZN2at6native12_GLOBAL__N_135GammaBetaBackwardCUDAKernelTemplateIN3c104HalfEfLj32ELj16ELj128ELb0ELb0ELb0EEEvllPKT_S7_PKT0_SA_PS5_SB_
	.p2align	8
	.type	_ZN2at6native12_GLOBAL__N_135GammaBetaBackwardCUDAKernelTemplateIN3c104HalfEfLj32ELj16ELj128ELb0ELb0ELb0EEEvllPKT_S7_PKT0_SA_PS5_SB_,@function
_ZN2at6native12_GLOBAL__N_135GammaBetaBackwardCUDAKernelTemplateIN3c104HalfEfLj32ELj16ELj128ELb0ELb0ELb0EEEvllPKT_S7_PKT0_SA_PS5_SB_: ; @_ZN2at6native12_GLOBAL__N_135GammaBetaBackwardCUDAKernelTemplateIN3c104HalfEfLj32ELj16ELj128ELb0ELb0ELb0EEEvllPKT_S7_PKT0_SA_PS5_SB_
; %bb.0:
	s_clause 0x1
	s_load_b256 s[4:11], s[0:1], 0x0
	s_load_b128 s[24:27], s[0:1], 0x20
	s_mov_b32 s29, 0
	s_lshl_b32 s12, s15, 7
	s_mov_b32 s13, s29
	s_lshl_b32 s33, s14, 5
	s_delay_alu instid0(SALU_CYCLE_1) | instskip(SKIP_3) | instid1(VALU_DEP_2)
	s_or_b32 s28, s33, 31
	s_waitcnt lgkmcnt(0)
	v_cmp_lt_i64_e64 s15, s[12:13], s[4:5]
	v_cmp_ge_i64_e64 s2, s[28:29], s[6:7]
	v_cndmask_b32_e64 v1, 0, 1, s15
	s_delay_alu instid0(VALU_DEP_2) | instskip(NEXT) | instid1(VALU_DEP_1)
	s_and_b32 vcc_lo, exec_lo, s2
	v_cmp_ne_u32_e64 s2, 1, v1
	s_cbranch_vccz .LBB90_49
; %bb.1:
	v_dual_mov_b32 v1, 0 :: v_dual_mov_b32 v58, 0
	s_delay_alu instid0(VALU_DEP_2)
	s_and_b32 vcc_lo, exec_lo, s2
	s_cbranch_vccnz .LBB90_50
; %bb.2:
	v_bfe_u32 v27, v0, 10, 10
	s_load_b32 s3, s[0:1], 0x44
	v_dual_mov_b32 v2, 0 :: v_dual_and_b32 v29, 0x3ff, v0
	s_add_u32 s30, s0, 64
	s_delay_alu instid0(VALU_DEP_2) | instskip(NEXT) | instid1(VALU_DEP_2)
	v_dual_mov_b32 v63, 0 :: v_dual_lshlrev_b32 v28, 3, v27
	v_dual_mov_b32 v58, 0 :: v_dual_add_nc_u32 v1, s33, v29
	s_addc_u32 s31, s1, 0
	s_delay_alu instid0(VALU_DEP_2) | instskip(NEXT) | instid1(VALU_DEP_1)
	v_add_co_u32 v9, s2, v28, s12
	v_add_co_ci_u32_e64 v10, null, 0, 0, s2
	s_delay_alu instid0(VALU_DEP_3) | instskip(NEXT) | instid1(VALU_DEP_3)
	v_cmp_gt_i64_e64 s2, s[6:7], v[1:2]
	v_add_co_u32 v5, vcc_lo, v9, 7
	s_delay_alu instid0(VALU_DEP_3) | instskip(SKIP_1) | instid1(VALU_DEP_3)
	v_add_co_ci_u32_e32 v3, vcc_lo, 0, v10, vcc_lo
	v_add_co_u32 v8, vcc_lo, v9, 6
	v_mul_lo_u32 v6, s7, v5
	s_delay_alu instid0(VALU_DEP_3)
	v_mul_lo_u32 v7, s6, v3
	v_mad_u64_u32 v[3:4], null, s6, v5, 0
	v_add_co_ci_u32_e32 v5, vcc_lo, 0, v10, vcc_lo
	v_lshlrev_b64 v[25:26], 1, v[1:2]
	v_mul_lo_u32 v1, s7, v8
	s_waitcnt lgkmcnt(0)
	s_lshl_b32 s28, s3, 7
	s_mov_b32 s16, 0
	s_delay_alu instid0(VALU_DEP_4) | instskip(SKIP_3) | instid1(VALU_DEP_3)
	v_add3_u32 v4, v4, v7, v6
	v_mul_lo_u32 v7, s6, v5
	v_mad_u64_u32 v[5:6], null, s6, v8, 0
	s_mul_i32 s3, s7, s28
	v_lshlrev_b64 v[3:4], 1, v[3:4]
	s_mul_hi_u32 s17, s6, s28
	s_mul_i32 s18, s6, s28
	s_add_i32 s19, s17, s3
	s_mov_b64 s[38:39], s[12:13]
	s_delay_alu instid0(VALU_DEP_2) | instskip(SKIP_4) | instid1(VALU_DEP_1)
	v_add3_u32 v6, v6, v7, v1
	v_add_co_u32 v30, vcc_lo, s8, v3
	v_add_co_ci_u32_e32 v31, vcc_lo, s9, v4, vcc_lo
	v_add_co_u32 v1, vcc_lo, v9, 5
	v_add_co_u32 v32, s3, s10, v3
	v_add_co_ci_u32_e64 v33, s3, s11, v4, s3
	v_lshlrev_b64 v[3:4], 1, v[5:6]
	v_add_co_ci_u32_e32 v5, vcc_lo, 0, v10, vcc_lo
	v_add_co_u32 v12, vcc_lo, v9, 4
	v_mul_lo_u32 v11, s7, v1
	s_delay_alu instid0(VALU_DEP_3) | instskip(SKIP_4) | instid1(VALU_DEP_3)
	v_mul_lo_u32 v13, s6, v5
	v_mad_u64_u32 v[5:6], null, s6, v1, 0
	v_add_co_ci_u32_e32 v7, vcc_lo, 0, v10, vcc_lo
	v_mul_lo_u32 v1, s7, v12
	v_add_co_u32 v34, vcc_lo, s8, v3
	v_mul_lo_u32 v14, s6, v7
	v_mad_u64_u32 v[7:8], null, s6, v12, 0
	v_add3_u32 v6, v6, v13, v11
	v_add_co_ci_u32_e32 v35, vcc_lo, s9, v4, vcc_lo
	v_add_co_u32 v36, vcc_lo, s10, v3
	v_add_co_ci_u32_e32 v37, vcc_lo, s11, v4, vcc_lo
	s_delay_alu instid0(VALU_DEP_4) | instskip(SKIP_3) | instid1(VALU_DEP_4)
	v_lshlrev_b64 v[3:4], 1, v[5:6]
	v_add3_u32 v8, v8, v14, v1
	v_add_co_u32 v1, vcc_lo, v9, 3
	v_add_co_ci_u32_e32 v11, vcc_lo, 0, v10, vcc_lo
	v_add_co_u32 v38, vcc_lo, s8, v3
	s_delay_alu instid0(VALU_DEP_4)
	v_lshlrev_b64 v[5:6], 1, v[7:8]
	v_add_co_ci_u32_e32 v39, vcc_lo, s9, v4, vcc_lo
	v_mul_lo_u32 v12, s7, v1
	v_mul_lo_u32 v11, s6, v11
	v_mad_u64_u32 v[7:8], null, s6, v1, 0
	v_add_co_u32 v40, vcc_lo, s10, v3
	v_add_co_ci_u32_e32 v41, vcc_lo, s11, v4, vcc_lo
	v_add_co_u32 v42, vcc_lo, s8, v5
	v_add_co_ci_u32_e32 v43, vcc_lo, s9, v6, vcc_lo
	v_add_co_u32 v1, vcc_lo, v9, 2
	v_add3_u32 v8, v8, v11, v12
	v_add_co_ci_u32_e32 v11, vcc_lo, 0, v10, vcc_lo
	v_add_co_u32 v44, vcc_lo, s10, v5
	v_add_co_ci_u32_e32 v45, vcc_lo, s11, v6, vcc_lo
	v_mul_lo_u32 v12, s7, v1
	s_delay_alu instid0(VALU_DEP_4)
	v_mul_lo_u32 v11, s6, v11
	v_mad_u64_u32 v[5:6], null, s6, v1, 0
	v_lshlrev_b64 v[3:4], 1, v[7:8]
	v_mul_lo_u32 v1, s7, v9
	v_mul_lo_u32 v10, s6, v10
	v_mad_u64_u32 v[7:8], null, s6, v9, 0
	s_lshl_b64 s[34:35], s[18:19], 1
	s_delay_alu instid0(VALU_DEP_4)
	v_add_co_u32 v46, vcc_lo, s8, v3
	v_add3_u32 v6, v6, v11, v12
	v_add_co_ci_u32_e32 v47, vcc_lo, s9, v4, vcc_lo
	v_add_co_u32 v48, vcc_lo, s10, v3
	v_add3_u32 v8, v8, v10, v1
	v_add_co_ci_u32_e32 v49, vcc_lo, s11, v4, vcc_lo
	v_lshlrev_b64 v[3:4], 1, v[5:6]
	v_add_co_u32 v5, vcc_lo, v7, s6
	s_delay_alu instid0(VALU_DEP_4) | instskip(SKIP_1) | instid1(VALU_DEP_3)
	v_add_co_ci_u32_e32 v6, vcc_lo, s7, v8, vcc_lo
	s_add_u32 s36, s12, 0x7f
	v_add_co_u32 v50, vcc_lo, s8, v3
	s_delay_alu instid0(VALU_DEP_2) | instskip(SKIP_3) | instid1(VALU_DEP_4)
	v_lshlrev_b64 v[5:6], 1, v[5:6]
	v_add_co_ci_u32_e32 v51, vcc_lo, s9, v4, vcc_lo
	v_add_co_u32 v52, vcc_lo, s10, v3
	v_add_co_ci_u32_e32 v53, vcc_lo, s11, v4, vcc_lo
	v_add_co_u32 v54, vcc_lo, s8, v5
	v_lshlrev_b64 v[3:4], 1, v[7:8]
	v_add_co_ci_u32_e32 v55, vcc_lo, s9, v6, vcc_lo
	v_add_co_u32 v56, vcc_lo, s10, v5
	v_add_co_ci_u32_e32 v57, vcc_lo, s11, v6, vcc_lo
	s_delay_alu instid0(VALU_DEP_4)
	v_add_co_u32 v59, vcc_lo, s8, v3
	v_add_co_ci_u32_e32 v60, vcc_lo, s9, v4, vcc_lo
	v_add_co_u32 v61, vcc_lo, s10, v3
	v_add_co_ci_u32_e32 v62, vcc_lo, s11, v4, vcc_lo
	s_addc_u32 s37, 0, 0
.LBB90_3:                               ; =>This Inner Loop Header: Depth=1
	s_delay_alu instid0(SALU_CYCLE_1) | instskip(SKIP_1) | instid1(VALU_DEP_1)
	v_cmp_ge_i64_e64 s3, s[36:37], s[4:5]
	v_add_co_u32 v64, s17, v28, s36
	v_add_co_ci_u32_e64 v65, null, 0, s37, s17
	s_delay_alu instid0(VALU_DEP_3)
	s_and_b32 vcc_lo, exec_lo, s3
	s_cbranch_vccz .LBB90_25
; %bb.4:                                ;   in Loop: Header=BB90_3 Depth=1
	s_load_b32 s3, s[30:31], 0xc
	v_dual_mov_b32 v67, 0 :: v_dual_mov_b32 v66, 0
	s_waitcnt lgkmcnt(0)
	s_and_b32 s3, s3, 0xffff
	s_delay_alu instid0(SALU_CYCLE_1) | instskip(SKIP_1) | instid1(VALU_DEP_1)
	v_mad_u32_u24 v1, v27, s3, v29
	s_mov_b32 s3, exec_lo
	v_and_b32_e32 v1, 31, v1
	s_delay_alu instid0(VALU_DEP_1)
	v_cmpx_gt_u32_e32 8, v1
	s_cbranch_execz .LBB90_8
; %bb.5:                                ;   in Loop: Header=BB90_3 Depth=1
	v_add_co_u32 v1, vcc_lo, v64, v1
	v_add_co_ci_u32_e32 v4, vcc_lo, 0, v65, vcc_lo
	v_dual_mov_b32 v66, 0 :: v_dual_mov_b32 v67, 0
	s_delay_alu instid0(VALU_DEP_3) | instskip(NEXT) | instid1(VALU_DEP_3)
	v_add_co_u32 v3, vcc_lo, 0xffffff81, v1
	v_add_co_ci_u32_e32 v4, vcc_lo, -1, v4, vcc_lo
	s_mov_b32 s17, exec_lo
	s_delay_alu instid0(VALU_DEP_1)
	v_cmpx_gt_i64_e64 s[4:5], v[3:4]
	s_cbranch_execz .LBB90_7
; %bb.6:                                ;   in Loop: Header=BB90_3 Depth=1
	v_lshlrev_b64 v[3:4], 2, v[3:4]
	s_delay_alu instid0(VALU_DEP_1) | instskip(NEXT) | instid1(VALU_DEP_2)
	v_add_co_u32 v5, vcc_lo, s24, v3
	v_add_co_ci_u32_e32 v6, vcc_lo, s25, v4, vcc_lo
	v_add_co_u32 v3, vcc_lo, s26, v3
	v_add_co_ci_u32_e32 v4, vcc_lo, s27, v4, vcc_lo
	global_load_b32 v66, v[5:6], off
	global_load_b32 v67, v[3:4], off
.LBB90_7:                               ;   in Loop: Header=BB90_3 Depth=1
	s_or_b32 exec_lo, exec_lo, s17
.LBB90_8:                               ;   in Loop: Header=BB90_3 Depth=1
	s_delay_alu instid0(SALU_CYCLE_1)
	s_or_b32 exec_lo, exec_lo, s3
	v_add_co_u32 v3, vcc_lo, 0xffffff81, v64
	v_add_co_ci_u32_e32 v4, vcc_lo, -1, v65, vcc_lo
	s_mov_b32 s22, s16
	s_mov_b32 s23, s16
	;; [unrolled: 1-line block ×7, first 2 shown]
	v_dual_mov_b32 v9, s16 :: v_dual_mov_b32 v10, s17
	v_dual_mov_b32 v15, s22 :: v_dual_mov_b32 v16, s23
	;; [unrolled: 1-line block ×4, first 2 shown]
	v_cmp_gt_i64_e32 vcc_lo, s[4:5], v[3:4]
	s_delay_alu instid0(VALU_DEP_4) | instskip(NEXT) | instid1(VALU_DEP_3)
	v_dual_mov_b32 v24, v16 :: v_dual_mov_b32 v23, v15
	v_dual_mov_b32 v21, v13 :: v_dual_mov_b32 v22, v14
	;; [unrolled: 1-line block ×4, first 2 shown]
	s_and_b32 s17, s2, vcc_lo
	s_delay_alu instid0(SALU_CYCLE_1)
	s_and_saveexec_b32 s3, s17
	s_cbranch_execz .LBB90_10
; %bb.9:                                ;   in Loop: Header=BB90_3 Depth=1
	v_add_co_u32 v3, vcc_lo, v59, v25
	v_add_co_ci_u32_e32 v4, vcc_lo, v60, v26, vcc_lo
	v_add_co_u32 v5, vcc_lo, v61, v25
	v_add_co_ci_u32_e32 v6, vcc_lo, v62, v26, vcc_lo
	v_mov_b32_e32 v8, v2
	global_load_u16 v1, v[3:4], off
	global_load_u16 v9, v[5:6], off
	v_mov_b32_e32 v3, v2
	v_mov_b32_e32 v4, v2
	;; [unrolled: 1-line block ×6, first 2 shown]
	s_waitcnt vmcnt(1)
	v_cvt_f32_f16_e32 v1, v1
	v_dual_mov_b32 v11, v2 :: v_dual_mov_b32 v24, v8
	v_dual_mov_b32 v10, v2 :: v_dual_mov_b32 v23, v7
	s_waitcnt vmcnt(0)
	v_cvt_f32_f16_e32 v9, v9
	v_dual_mov_b32 v12, v2 :: v_dual_mov_b32 v21, v5
	v_dual_mov_b32 v13, v2 :: v_dual_mov_b32 v20, v4
	;; [unrolled: 1-line block ×4, first 2 shown]
	v_mov_b32_e32 v22, v6
	v_mov_b32_e32 v18, v2
.LBB90_10:                              ;   in Loop: Header=BB90_3 Depth=1
	s_or_b32 exec_lo, exec_lo, s3
	v_add_co_u32 v3, vcc_lo, 0xffffff82, v64
	v_add_co_ci_u32_e32 v4, vcc_lo, -1, v65, vcc_lo
	s_delay_alu instid0(VALU_DEP_1) | instskip(SKIP_1) | instid1(SALU_CYCLE_1)
	v_cmp_gt_i64_e32 vcc_lo, s[4:5], v[3:4]
	s_and_b32 s17, s2, vcc_lo
	s_and_saveexec_b32 s3, s17
	s_cbranch_execz .LBB90_12
; %bb.11:                               ;   in Loop: Header=BB90_3 Depth=1
	v_add_co_u32 v3, vcc_lo, v54, v25
	v_add_co_ci_u32_e32 v4, vcc_lo, v55, v26, vcc_lo
	v_add_co_u32 v5, vcc_lo, v56, v25
	v_add_co_ci_u32_e32 v6, vcc_lo, v57, v26, vcc_lo
	global_load_u16 v1, v[3:4], off
	global_load_u16 v3, v[5:6], off
	s_waitcnt vmcnt(1)
	v_cvt_f32_f16_e32 v18, v1
	s_waitcnt vmcnt(0)
	v_cvt_f32_f16_e32 v10, v3
.LBB90_12:                              ;   in Loop: Header=BB90_3 Depth=1
	s_or_b32 exec_lo, exec_lo, s3
	v_add_co_u32 v3, vcc_lo, 0xffffff83, v64
	v_add_co_ci_u32_e32 v4, vcc_lo, -1, v65, vcc_lo
	s_delay_alu instid0(VALU_DEP_1) | instskip(SKIP_1) | instid1(SALU_CYCLE_1)
	v_cmp_gt_i64_e32 vcc_lo, s[4:5], v[3:4]
	s_and_b32 s17, s2, vcc_lo
	s_and_saveexec_b32 s3, s17
	s_cbranch_execz .LBB90_14
; %bb.13:                               ;   in Loop: Header=BB90_3 Depth=1
	v_add_co_u32 v3, vcc_lo, v50, v25
	v_add_co_ci_u32_e32 v4, vcc_lo, v51, v26, vcc_lo
	v_add_co_u32 v5, vcc_lo, v52, v25
	v_add_co_ci_u32_e32 v6, vcc_lo, v53, v26, vcc_lo
	global_load_u16 v1, v[3:4], off
	global_load_u16 v3, v[5:6], off
	s_waitcnt vmcnt(1)
	v_cvt_f32_f16_e32 v19, v1
	s_waitcnt vmcnt(0)
	v_cvt_f32_f16_e32 v11, v3
.LBB90_14:                              ;   in Loop: Header=BB90_3 Depth=1
	;; [unrolled: 20-line block ×7, first 2 shown]
	s_or_b32 exec_lo, exec_lo, s3
	s_waitcnt vmcnt(1)
	ds_bpermute_b32 v1, v2, v66
	ds_bpermute_b32 v3, v2, v66 offset:4
	ds_bpermute_b32 v4, v2, v66 offset:8
	;; [unrolled: 1-line block ×3, first 2 shown]
	s_waitcnt vmcnt(0)
	ds_bpermute_b32 v5, v2, v67
	ds_bpermute_b32 v7, v2, v67 offset:4
	ds_bpermute_b32 v8, v2, v66 offset:16
	;; [unrolled: 1-line block ×5, first 2 shown]
	s_waitcnt lgkmcnt(9)
	v_sub_f32_e32 v1, v9, v1
	s_waitcnt lgkmcnt(7)
	v_dual_add_f32 v9, v58, v17 :: v_dual_sub_f32 v4, v11, v4
	s_waitcnt lgkmcnt(6)
	v_dual_sub_f32 v6, v12, v6 :: v_dual_sub_f32 v3, v10, v3
	v_mul_f32_e32 v1, v17, v1
	ds_bpermute_b32 v10, v2, v67 offset:16
	ds_bpermute_b32 v17, v2, v66 offset:24
	v_mul_f32_e32 v6, v20, v6
	v_dual_mul_f32 v4, v19, v4 :: v_dual_mul_f32 v3, v18, v3
	s_waitcnt lgkmcnt(5)
	v_sub_f32_e32 v8, v13, v8
	v_fma_f32 v1, v1, v5, v63
	ds_bpermute_b32 v5, v2, v67 offset:20
	ds_bpermute_b32 v11, v2, v67 offset:24
	v_dual_mul_f32 v8, v21, v8 :: v_dual_fmac_f32 v1, v3, v7
	v_add_f32_e32 v7, v18, v9
	ds_bpermute_b32 v3, v2, v67 offset:28
	s_waitcnt lgkmcnt(7)
	v_fmac_f32_e32 v1, v4, v68
	v_add_f32_e32 v7, v19, v7
	ds_bpermute_b32 v4, v2, v66 offset:28
	s_waitcnt lgkmcnt(6)
	v_sub_f32_e32 v9, v14, v70
	v_dual_fmac_f32 v1, v6, v69 :: v_dual_add_f32 v6, v20, v7
	s_waitcnt lgkmcnt(4)
	v_sub_f32_e32 v7, v15, v17
	s_delay_alu instid0(VALU_DEP_3) | instskip(NEXT) | instid1(VALU_DEP_3)
	v_mul_f32_e32 v9, v22, v9
	v_fmac_f32_e32 v1, v8, v10
	s_delay_alu instid0(VALU_DEP_3) | instskip(SKIP_1) | instid1(VALU_DEP_2)
	v_dual_add_f32 v6, v21, v6 :: v_dual_mul_f32 v7, v23, v7
	s_waitcnt lgkmcnt(3)
	v_fmac_f32_e32 v1, v9, v5
	s_delay_alu instid0(VALU_DEP_2) | instskip(SKIP_1) | instid1(VALU_DEP_2)
	v_add_f32_e32 v5, v22, v6
	s_waitcnt lgkmcnt(2)
	v_fmac_f32_e32 v1, v7, v11
	s_delay_alu instid0(VALU_DEP_2)
	v_add_f32_e32 v5, v23, v5
	s_branch .LBB90_40
.LBB90_25:                              ;   in Loop: Header=BB90_3 Depth=1
                                        ; implicit-def: $vgpr3
                                        ; implicit-def: $vgpr9_vgpr10_vgpr11_vgpr12_vgpr13_vgpr14_vgpr15_vgpr16
                                        ; implicit-def: $vgpr17_vgpr18_vgpr19_vgpr20_vgpr21_vgpr22_vgpr23_vgpr24
                                        ; implicit-def: $vgpr4
                                        ; implicit-def: $vgpr1
                                        ; implicit-def: $vgpr5
	s_cbranch_execz .LBB90_40
; %bb.26:                               ;   in Loop: Header=BB90_3 Depth=1
	s_load_b32 s3, s[30:31], 0x0
	v_dual_mov_b32 v67, 0 :: v_dual_mov_b32 v66, 0
	s_waitcnt lgkmcnt(0)
	s_cmp_lt_u32 s14, s3
	s_cselect_b32 s3, 12, 18
	s_delay_alu instid0(SALU_CYCLE_1)
	s_add_u32 s18, s30, s3
	s_addc_u32 s19, s31, 0
	s_mov_b32 s3, exec_lo
	global_load_u16 v1, v2, s[18:19]
	s_waitcnt vmcnt(0)
	v_mad_u32_u24 v1, v27, v1, v29
	s_delay_alu instid0(VALU_DEP_1) | instskip(NEXT) | instid1(VALU_DEP_1)
	v_and_b32_e32 v1, 31, v1
	v_cmpx_gt_u32_e32 8, v1
	s_cbranch_execz .LBB90_30
; %bb.27:                               ;   in Loop: Header=BB90_3 Depth=1
	v_add_co_u32 v1, vcc_lo, v64, v1
	v_add_co_ci_u32_e32 v4, vcc_lo, 0, v65, vcc_lo
	v_dual_mov_b32 v66, 0 :: v_dual_mov_b32 v67, 0
	s_delay_alu instid0(VALU_DEP_3) | instskip(NEXT) | instid1(VALU_DEP_3)
	v_add_co_u32 v3, vcc_lo, 0xffffff81, v1
	v_add_co_ci_u32_e32 v4, vcc_lo, -1, v4, vcc_lo
	s_mov_b32 s17, exec_lo
	s_delay_alu instid0(VALU_DEP_1)
	v_cmpx_gt_i64_e64 s[4:5], v[3:4]
	s_cbranch_execz .LBB90_29
; %bb.28:                               ;   in Loop: Header=BB90_3 Depth=1
	v_lshlrev_b64 v[3:4], 2, v[3:4]
	s_delay_alu instid0(VALU_DEP_1) | instskip(NEXT) | instid1(VALU_DEP_2)
	v_add_co_u32 v5, vcc_lo, s24, v3
	v_add_co_ci_u32_e32 v6, vcc_lo, s25, v4, vcc_lo
	v_add_co_u32 v3, vcc_lo, s26, v3
	v_add_co_ci_u32_e32 v4, vcc_lo, s27, v4, vcc_lo
	global_load_b32 v66, v[5:6], off
	global_load_b32 v67, v[3:4], off
.LBB90_29:                              ;   in Loop: Header=BB90_3 Depth=1
	s_or_b32 exec_lo, exec_lo, s17
.LBB90_30:                              ;   in Loop: Header=BB90_3 Depth=1
	s_delay_alu instid0(SALU_CYCLE_1)
	s_or_b32 exec_lo, exec_lo, s3
	s_mov_b32 s22, s16
	s_mov_b32 s23, s16
	s_mov_b32 s17, s16
	s_mov_b32 s18, s16
	s_mov_b32 s19, s16
	s_mov_b32 s20, s16
	s_mov_b32 s21, s16
	v_dual_mov_b32 v9, s16 :: v_dual_mov_b32 v10, s17
	v_dual_mov_b32 v15, s22 :: v_dual_mov_b32 v16, s23
	;; [unrolled: 1-line block ×4, first 2 shown]
	s_delay_alu instid0(VALU_DEP_3) | instskip(NEXT) | instid1(VALU_DEP_3)
	v_dual_mov_b32 v24, v16 :: v_dual_mov_b32 v23, v15
	v_dual_mov_b32 v20, v12 :: v_dual_mov_b32 v19, v11
	s_delay_alu instid0(VALU_DEP_3)
	v_dual_mov_b32 v22, v14 :: v_dual_mov_b32 v21, v13
	v_dual_mov_b32 v18, v10 :: v_dual_mov_b32 v17, v9
	s_and_saveexec_b32 s3, s2
	s_cbranch_execnz .LBB90_42
; %bb.31:                               ;   in Loop: Header=BB90_3 Depth=1
	s_or_b32 exec_lo, exec_lo, s3
	s_and_saveexec_b32 s3, s2
	s_cbranch_execnz .LBB90_43
.LBB90_32:                              ;   in Loop: Header=BB90_3 Depth=1
	s_or_b32 exec_lo, exec_lo, s3
	s_and_saveexec_b32 s3, s2
	s_cbranch_execnz .LBB90_44
.LBB90_33:                              ;   in Loop: Header=BB90_3 Depth=1
	s_or_b32 exec_lo, exec_lo, s3
	s_and_saveexec_b32 s3, s2
	s_cbranch_execnz .LBB90_45
.LBB90_34:                              ;   in Loop: Header=BB90_3 Depth=1
	s_or_b32 exec_lo, exec_lo, s3
	s_and_saveexec_b32 s3, s2
	s_cbranch_execnz .LBB90_46
.LBB90_35:                              ;   in Loop: Header=BB90_3 Depth=1
	s_or_b32 exec_lo, exec_lo, s3
	s_and_saveexec_b32 s3, s2
	s_cbranch_execnz .LBB90_47
.LBB90_36:                              ;   in Loop: Header=BB90_3 Depth=1
	s_or_b32 exec_lo, exec_lo, s3
	s_and_saveexec_b32 s3, s2
	s_cbranch_execnz .LBB90_48
.LBB90_37:                              ;   in Loop: Header=BB90_3 Depth=1
	s_or_b32 exec_lo, exec_lo, s3
	s_and_saveexec_b32 s3, s2
	s_cbranch_execz .LBB90_39
.LBB90_38:                              ;   in Loop: Header=BB90_3 Depth=1
	v_add_co_u32 v3, vcc_lo, v30, v25
	v_add_co_ci_u32_e32 v4, vcc_lo, v31, v26, vcc_lo
	v_add_co_u32 v5, vcc_lo, v32, v25
	v_add_co_ci_u32_e32 v6, vcc_lo, v33, v26, vcc_lo
	global_load_u16 v1, v[3:4], off
	global_load_u16 v3, v[5:6], off
	s_waitcnt vmcnt(1)
	v_cvt_f32_f16_e32 v24, v1
	s_waitcnt vmcnt(0)
	v_cvt_f32_f16_e32 v16, v3
.LBB90_39:                              ;   in Loop: Header=BB90_3 Depth=1
	s_or_b32 exec_lo, exec_lo, s3
	s_waitcnt vmcnt(1)
	ds_bpermute_b32 v1, v2, v66
	ds_bpermute_b32 v3, v2, v66 offset:4
	ds_bpermute_b32 v4, v2, v66 offset:8
	;; [unrolled: 1-line block ×3, first 2 shown]
	s_waitcnt vmcnt(0)
	ds_bpermute_b32 v5, v2, v67
	ds_bpermute_b32 v7, v2, v67 offset:4
	ds_bpermute_b32 v8, v2, v66 offset:16
	ds_bpermute_b32 v64, v2, v67 offset:8
	ds_bpermute_b32 v65, v2, v66 offset:20
	s_waitcnt lgkmcnt(8)
	v_sub_f32_e32 v1, v9, v1
	ds_bpermute_b32 v9, v2, v67 offset:12
	s_waitcnt lgkmcnt(7)
	v_dual_sub_f32 v4, v11, v4 :: v_dual_sub_f32 v3, v10, v3
	s_waitcnt lgkmcnt(6)
	v_dual_sub_f32 v6, v12, v6 :: v_dual_mul_f32 v1, v17, v1
	s_delay_alu instid0(VALU_DEP_2) | instskip(SKIP_1) | instid1(VALU_DEP_2)
	v_dual_mul_f32 v4, v19, v4 :: v_dual_mul_f32 v3, v18, v3
	s_waitcnt lgkmcnt(5)
	v_dual_mul_f32 v6, v20, v6 :: v_dual_fmac_f32 v63, v1, v5
	v_add_f32_e32 v10, v58, v17
	ds_bpermute_b32 v17, v2, v67 offset:16
	ds_bpermute_b32 v1, v2, v66 offset:24
	;; [unrolled: 1-line block ×3, first 2 shown]
	s_waitcnt lgkmcnt(7)
	v_fmac_f32_e32 v63, v3, v7
	v_add_f32_e32 v3, v18, v10
	s_waitcnt lgkmcnt(4)
	v_sub_f32_e32 v11, v14, v65
	s_delay_alu instid0(VALU_DEP_2)
	v_dual_fmac_f32 v63, v4, v64 :: v_dual_add_f32 v10, v19, v3
	v_sub_f32_e32 v7, v13, v8
	ds_bpermute_b32 v8, v2, v67 offset:24
	ds_bpermute_b32 v3, v2, v67 offset:28
	s_waitcnt lgkmcnt(5)
	v_dual_fmac_f32 v63, v6, v9 :: v_dual_add_f32 v6, v20, v10
	v_mul_f32_e32 v7, v21, v7
	v_mul_f32_e32 v9, v22, v11
	ds_bpermute_b32 v4, v2, v66 offset:28
	s_waitcnt lgkmcnt(5)
	v_dual_add_f32 v6, v21, v6 :: v_dual_fmac_f32 v63, v7, v17
	s_waitcnt lgkmcnt(4)
	v_sub_f32_e32 v1, v15, v1
	s_waitcnt lgkmcnt(3)
	s_delay_alu instid0(VALU_DEP_2) | instskip(NEXT) | instid1(VALU_DEP_2)
	v_fmac_f32_e32 v63, v9, v5
	v_mul_f32_e32 v1, v23, v1
	v_add_f32_e32 v5, v22, v6
	s_waitcnt lgkmcnt(2)
	s_delay_alu instid0(VALU_DEP_2) | instskip(NEXT) | instid1(VALU_DEP_2)
	v_fmac_f32_e32 v63, v1, v8
	v_add_f32_e32 v5, v23, v5
	s_delay_alu instid0(VALU_DEP_2)
	v_mov_b32_e32 v1, v63
.LBB90_40:                              ;   in Loop: Header=BB90_3 Depth=1
	v_add_co_u32 v30, vcc_lo, v30, s34
	v_add_co_ci_u32_e32 v31, vcc_lo, s35, v31, vcc_lo
	v_add_co_u32 v32, vcc_lo, v32, s34
	v_add_co_ci_u32_e32 v33, vcc_lo, s35, v33, vcc_lo
	;; [unrolled: 2-line block ×12, first 2 shown]
	v_add_co_u32 v54, vcc_lo, v54, s34
	s_waitcnt lgkmcnt(0)
	v_sub_f32_e32 v4, v16, v4
	v_add_co_ci_u32_e32 v55, vcc_lo, s35, v55, vcc_lo
	v_add_co_u32 v56, vcc_lo, v56, s34
	s_add_u32 s38, s38, s28
	v_add_co_ci_u32_e32 v57, vcc_lo, s35, v57, vcc_lo
	v_mul_f32_e32 v4, v24, v4
	s_addc_u32 s39, s39, 0
	v_add_co_u32 v59, vcc_lo, v59, s34
	v_cmp_lt_i64_e64 s3, s[38:39], s[4:5]
	v_add_co_ci_u32_e32 v60, vcc_lo, s35, v60, vcc_lo
	v_add_co_u32 v61, vcc_lo, v61, s34
	v_dual_add_f32 v58, v5, v24 :: v_dual_fmac_f32 v1, v4, v3
	v_add_co_ci_u32_e32 v62, vcc_lo, s35, v62, vcc_lo
	s_add_u32 s36, s36, s28
	s_addc_u32 s37, s37, 0
	s_and_b32 vcc_lo, exec_lo, s3
	s_cbranch_vccz .LBB90_50
; %bb.41:                               ;   in Loop: Header=BB90_3 Depth=1
	v_mov_b32_e32 v63, v1
	s_branch .LBB90_3
.LBB90_42:                              ;   in Loop: Header=BB90_3 Depth=1
	v_add_co_u32 v3, vcc_lo, v59, v25
	v_add_co_ci_u32_e32 v4, vcc_lo, v60, v26, vcc_lo
	v_add_co_u32 v5, vcc_lo, v61, v25
	v_add_co_ci_u32_e32 v6, vcc_lo, v62, v26, vcc_lo
	v_mov_b32_e32 v8, v2
	global_load_u16 v1, v[3:4], off
	global_load_u16 v9, v[5:6], off
	v_mov_b32_e32 v3, v2
	v_mov_b32_e32 v4, v2
	;; [unrolled: 1-line block ×6, first 2 shown]
	s_waitcnt vmcnt(1)
	v_cvt_f32_f16_e32 v1, v1
	v_dual_mov_b32 v11, v2 :: v_dual_mov_b32 v24, v8
	v_dual_mov_b32 v10, v2 :: v_dual_mov_b32 v23, v7
	s_waitcnt vmcnt(0)
	v_cvt_f32_f16_e32 v9, v9
	v_dual_mov_b32 v12, v2 :: v_dual_mov_b32 v21, v5
	v_dual_mov_b32 v13, v2 :: v_dual_mov_b32 v20, v4
	;; [unrolled: 1-line block ×4, first 2 shown]
	v_mov_b32_e32 v22, v6
	v_mov_b32_e32 v18, v2
	s_or_b32 exec_lo, exec_lo, s3
	s_and_saveexec_b32 s3, s2
	s_cbranch_execz .LBB90_32
.LBB90_43:                              ;   in Loop: Header=BB90_3 Depth=1
	v_add_co_u32 v3, vcc_lo, v54, v25
	v_add_co_ci_u32_e32 v4, vcc_lo, v55, v26, vcc_lo
	v_add_co_u32 v5, vcc_lo, v56, v25
	v_add_co_ci_u32_e32 v6, vcc_lo, v57, v26, vcc_lo
	global_load_u16 v1, v[3:4], off
	global_load_u16 v3, v[5:6], off
	s_waitcnt vmcnt(1)
	v_cvt_f32_f16_e32 v18, v1
	s_waitcnt vmcnt(0)
	v_cvt_f32_f16_e32 v10, v3
	s_or_b32 exec_lo, exec_lo, s3
	s_and_saveexec_b32 s3, s2
	s_cbranch_execz .LBB90_33
.LBB90_44:                              ;   in Loop: Header=BB90_3 Depth=1
	v_add_co_u32 v3, vcc_lo, v50, v25
	v_add_co_ci_u32_e32 v4, vcc_lo, v51, v26, vcc_lo
	v_add_co_u32 v5, vcc_lo, v52, v25
	v_add_co_ci_u32_e32 v6, vcc_lo, v53, v26, vcc_lo
	global_load_u16 v1, v[3:4], off
	global_load_u16 v3, v[5:6], off
	s_waitcnt vmcnt(1)
	v_cvt_f32_f16_e32 v19, v1
	s_waitcnt vmcnt(0)
	v_cvt_f32_f16_e32 v11, v3
	s_or_b32 exec_lo, exec_lo, s3
	s_and_saveexec_b32 s3, s2
	s_cbranch_execz .LBB90_34
.LBB90_45:                              ;   in Loop: Header=BB90_3 Depth=1
	v_add_co_u32 v3, vcc_lo, v46, v25
	v_add_co_ci_u32_e32 v4, vcc_lo, v47, v26, vcc_lo
	v_add_co_u32 v5, vcc_lo, v48, v25
	v_add_co_ci_u32_e32 v6, vcc_lo, v49, v26, vcc_lo
	global_load_u16 v1, v[3:4], off
	global_load_u16 v3, v[5:6], off
	s_waitcnt vmcnt(1)
	v_cvt_f32_f16_e32 v20, v1
	s_waitcnt vmcnt(0)
	v_cvt_f32_f16_e32 v12, v3
	s_or_b32 exec_lo, exec_lo, s3
	s_and_saveexec_b32 s3, s2
	s_cbranch_execz .LBB90_35
.LBB90_46:                              ;   in Loop: Header=BB90_3 Depth=1
	v_add_co_u32 v3, vcc_lo, v42, v25
	v_add_co_ci_u32_e32 v4, vcc_lo, v43, v26, vcc_lo
	v_add_co_u32 v5, vcc_lo, v44, v25
	v_add_co_ci_u32_e32 v6, vcc_lo, v45, v26, vcc_lo
	global_load_u16 v1, v[3:4], off
	global_load_u16 v3, v[5:6], off
	s_waitcnt vmcnt(1)
	v_cvt_f32_f16_e32 v21, v1
	s_waitcnt vmcnt(0)
	v_cvt_f32_f16_e32 v13, v3
	s_or_b32 exec_lo, exec_lo, s3
	s_and_saveexec_b32 s3, s2
	s_cbranch_execz .LBB90_36
.LBB90_47:                              ;   in Loop: Header=BB90_3 Depth=1
	v_add_co_u32 v3, vcc_lo, v38, v25
	v_add_co_ci_u32_e32 v4, vcc_lo, v39, v26, vcc_lo
	v_add_co_u32 v5, vcc_lo, v40, v25
	v_add_co_ci_u32_e32 v6, vcc_lo, v41, v26, vcc_lo
	global_load_u16 v1, v[3:4], off
	global_load_u16 v3, v[5:6], off
	s_waitcnt vmcnt(1)
	v_cvt_f32_f16_e32 v22, v1
	s_waitcnt vmcnt(0)
	v_cvt_f32_f16_e32 v14, v3
	s_or_b32 exec_lo, exec_lo, s3
	s_and_saveexec_b32 s3, s2
	s_cbranch_execz .LBB90_37
.LBB90_48:                              ;   in Loop: Header=BB90_3 Depth=1
	v_add_co_u32 v3, vcc_lo, v34, v25
	v_add_co_ci_u32_e32 v4, vcc_lo, v35, v26, vcc_lo
	v_add_co_u32 v5, vcc_lo, v36, v25
	v_add_co_ci_u32_e32 v6, vcc_lo, v37, v26, vcc_lo
	global_load_u16 v1, v[3:4], off
	global_load_u16 v3, v[5:6], off
	s_waitcnt vmcnt(1)
	v_cvt_f32_f16_e32 v23, v1
	s_waitcnt vmcnt(0)
	v_cvt_f32_f16_e32 v15, v3
	s_or_b32 exec_lo, exec_lo, s3
	s_and_saveexec_b32 s3, s2
	s_cbranch_execnz .LBB90_38
	s_branch .LBB90_39
.LBB90_49:
	s_mov_b32 s29, -1
                                        ; implicit-def: $vgpr1
                                        ; implicit-def: $vgpr58
.LBB90_50:
	s_delay_alu instid0(SALU_CYCLE_1)
	s_and_not1_b32 vcc_lo, exec_lo, s29
	s_cbranch_vccnz .LBB90_83
; %bb.51:
	v_dual_mov_b32 v1, 0 :: v_dual_mov_b32 v58, 0
	s_and_not1_b32 vcc_lo, exec_lo, s15
	s_mov_b32 s16, 0
	s_cbranch_vccnz .LBB90_83
; %bb.52:
	s_load_b32 s2, s[0:1], 0x44
	v_dual_mov_b32 v2, 0 :: v_dual_and_b32 v55, 0x3ff, v0
	v_bfe_u32 v56, v0, 10, 10
	s_add_u32 s28, s0, 64
	s_addc_u32 s29, s1, 0
	s_delay_alu instid0(VALU_DEP_2) | instskip(NEXT) | instid1(VALU_DEP_2)
	v_dual_mov_b32 v92, 0 :: v_dual_add_nc_u32 v1, s33, v55
	v_lshlrev_b32_e32 v3, 4, v56
	v_lshlrev_b32_e32 v57, 3, v56
	v_mov_b32_e32 v91, 0
	s_delay_alu instid0(VALU_DEP_4)
	v_lshlrev_b64 v[25:26], 1, v[1:2]
	s_waitcnt lgkmcnt(0)
	s_lshl_b32 s15, s2, 7
	s_add_u32 s30, s12, 0x7f
	s_addc_u32 s31, 0, 0
	s_lshl_b64 s[2:3], s[12:13], 1
	s_mul_i32 s17, s7, s15
	v_add_co_u32 v1, s2, v3, s2
	s_delay_alu instid0(VALU_DEP_1) | instskip(SKIP_1) | instid1(VALU_DEP_3)
	v_add_co_ci_u32_e64 v3, null, 0, s3, s2
	v_add_co_u32 v58, s3, v57, s12
	v_add_co_u32 v7, vcc_lo, v1, 2
	s_delay_alu instid0(VALU_DEP_3) | instskip(SKIP_3) | instid1(VALU_DEP_4)
	v_add_co_ci_u32_e32 v4, vcc_lo, 0, v3, vcc_lo
	v_add_co_u32 v8, vcc_lo, v1, 4
	v_add_co_ci_u32_e32 v5, vcc_lo, 0, v3, vcc_lo
	v_add_co_u32 v11, vcc_lo, v1, 6
	v_mul_lo_u32 v9, s6, v4
	v_add_co_ci_u32_e32 v4, vcc_lo, 0, v3, vcc_lo
	v_add_co_u32 v14, vcc_lo, v1, 8
	v_mul_lo_u32 v12, s6, v5
	v_add_co_ci_u32_e32 v5, vcc_lo, 0, v3, vcc_lo
	v_add_co_u32 v18, vcc_lo, v1, 10
	v_mul_lo_u32 v15, s6, v4
	v_add_co_ci_u32_e32 v4, vcc_lo, 0, v3, vcc_lo
	v_add_co_u32 v20, vcc_lo, v1, 12
	v_mul_lo_u32 v17, s6, v5
	v_add_co_ci_u32_e32 v5, vcc_lo, 0, v3, vcc_lo
	v_add_co_ci_u32_e64 v75, null, 0, 0, s3
	v_add_co_u32 v1, vcc_lo, v1, 14
	v_mul_lo_u32 v21, s6, v4
	s_delay_alu instid0(VALU_DEP_4) | instskip(SKIP_4) | instid1(VALU_DEP_4)
	v_mul_lo_u32 v23, s6, v5
	v_add_co_ci_u32_e32 v5, vcc_lo, 0, v3, vcc_lo
	v_mul_lo_u32 v6, s7, v58
	v_mul_lo_u32 v41, s6, v75
	v_mad_u64_u32 v[3:4], null, s6, v58, 0
	v_mul_lo_u32 v61, s6, v5
	v_mad_u64_u32 v[27:28], null, s6, v7, s[8:9]
	;; [unrolled: 2-line block ×3, first 2 shown]
	v_add3_u32 v4, v4, v41, v6
	v_mad_u64_u32 v[41:42], null, s6, v7, s[10:11]
	v_mul_lo_u32 v13, s7, v8
	v_mad_u64_u32 v[43:44], null, s6, v8, s[10:11]
	s_delay_alu instid0(VALU_DEP_4)
	v_lshlrev_b64 v[5:6], 1, v[3:4]
	v_add3_u32 v28, v10, v28, v9
	v_mad_u64_u32 v[31:32], null, s6, v11, s[8:9]
	v_add3_u32 v42, v10, v42, v9
	v_add3_u32 v30, v13, v30, v12
	v_add_co_u32 v59, vcc_lo, s8, v5
	v_add_co_ci_u32_e32 v60, vcc_lo, s9, v6, vcc_lo
	v_add_co_u32 v9, vcc_lo, v58, 7
	v_add_co_ci_u32_e32 v7, vcc_lo, 0, v75, vcc_lo
	v_add3_u32 v44, v13, v44, v12
	v_add_co_u32 v12, vcc_lo, v58, 6
	v_mul_lo_u32 v16, s7, v11
	v_mad_u64_u32 v[39:40], null, s6, v1, s[8:9]
	v_mul_lo_u32 v62, s7, v1
	v_mad_u64_u32 v[45:46], null, s6, v11, s[10:11]
	v_mad_u64_u32 v[53:54], null, s6, v1, s[10:11]
	v_mul_lo_u32 v1, s7, v9
	v_mul_lo_u32 v11, s6, v7
	v_mad_u64_u32 v[7:8], null, s6, v9, 0
	v_add_co_ci_u32_e32 v10, vcc_lo, 0, v75, vcc_lo
	v_mad_u64_u32 v[33:34], null, s6, v14, s[8:9]
	v_mul_lo_u32 v19, s7, v14
	v_mad_u64_u32 v[47:48], null, s6, v14, s[10:11]
	v_mul_lo_u32 v13, s7, v12
	v_mul_lo_u32 v14, s6, v10
	v_mad_u64_u32 v[9:10], null, s6, v12, 0
	v_add3_u32 v8, v8, v11, v1
	v_add3_u32 v40, v62, v40, v61
	;; [unrolled: 1-line block ×3, first 2 shown]
	v_add_co_u32 v61, vcc_lo, s10, v5
	v_add_co_ci_u32_e32 v62, vcc_lo, s11, v6, vcc_lo
	v_lshlrev_b64 v[5:6], 1, v[7:8]
	v_add3_u32 v10, v10, v14, v13
	v_add_co_u32 v1, vcc_lo, v58, 5
	v_add_co_ci_u32_e32 v11, vcc_lo, 0, v75, vcc_lo
	s_delay_alu instid0(VALU_DEP_4) | instskip(NEXT) | instid1(VALU_DEP_4)
	v_add_co_u32 v63, vcc_lo, s8, v5
	v_lshlrev_b64 v[7:8], 1, v[9:10]
	v_add_co_ci_u32_e32 v64, vcc_lo, s9, v6, vcc_lo
	v_mul_lo_u32 v12, s7, v1
	v_mul_lo_u32 v11, s6, v11
	v_mad_u64_u32 v[9:10], null, s6, v1, 0
	v_add_co_u32 v65, vcc_lo, s10, v5
	v_add_co_ci_u32_e32 v66, vcc_lo, s11, v6, vcc_lo
	v_add_co_u32 v67, vcc_lo, s8, v7
	v_add_co_ci_u32_e32 v68, vcc_lo, s9, v8, vcc_lo
	s_mul_hi_u32 s2, s6, s15
	v_add_co_u32 v1, vcc_lo, v58, 4
	v_add3_u32 v10, v10, v11, v12
	s_add_i32 s3, s2, s17
	v_add_co_u32 v69, s2, s10, v7
	v_add_co_ci_u32_e32 v7, vcc_lo, 0, v75, vcc_lo
	v_add_co_u32 v12, vcc_lo, v58, 3
	v_lshlrev_b64 v[5:6], 1, v[9:10]
	v_add_co_ci_u32_e32 v9, vcc_lo, 0, v75, vcc_lo
	v_add_co_ci_u32_e64 v70, s2, s11, v8, s2
	v_mul_lo_u32 v11, s7, v1
	v_mul_lo_u32 v13, s6, v7
	v_mad_u64_u32 v[7:8], null, s6, v1, 0
	v_mul_lo_u32 v1, s7, v12
	v_mul_lo_u32 v14, s6, v9
	v_mad_u64_u32 v[9:10], null, s6, v12, 0
	v_add_co_u32 v71, vcc_lo, s8, v5
	v_add_co_ci_u32_e32 v72, vcc_lo, s9, v6, vcc_lo
	v_add3_u32 v8, v8, v13, v11
	v_add_co_u32 v73, vcc_lo, s10, v5
	v_add_co_ci_u32_e32 v74, vcc_lo, s11, v6, vcc_lo
	v_add3_u32 v10, v10, v14, v1
	v_add_co_u32 v1, vcc_lo, v58, 2
	v_lshlrev_b64 v[5:6], 1, v[7:8]
	v_add_co_ci_u32_e32 v11, vcc_lo, 0, v75, vcc_lo
	s_delay_alu instid0(VALU_DEP_4) | instskip(NEXT) | instid1(VALU_DEP_4)
	v_lshlrev_b64 v[7:8], 1, v[9:10]
	v_mul_lo_u32 v12, s7, v1
	v_mad_u64_u32 v[9:10], null, s6, v1, 0
	v_add_co_u32 v75, vcc_lo, s8, v5
	v_mul_lo_u32 v11, s6, v11
	v_add_co_ci_u32_e32 v76, vcc_lo, s9, v6, vcc_lo
	v_add_co_u32 v77, vcc_lo, s10, v5
	v_add_co_ci_u32_e32 v78, vcc_lo, s11, v6, vcc_lo
	v_add_co_u32 v79, vcc_lo, s8, v7
	v_add_co_ci_u32_e32 v80, vcc_lo, s9, v8, vcc_lo
	v_add3_u32 v10, v10, v11, v12
	v_add_co_u32 v81, vcc_lo, s10, v7
	v_add_co_ci_u32_e32 v82, vcc_lo, s11, v8, vcc_lo
	v_add_co_u32 v3, vcc_lo, v3, s6
	s_delay_alu instid0(VALU_DEP_4) | instskip(SKIP_3) | instid1(VALU_DEP_4)
	v_lshlrev_b64 v[5:6], 1, v[9:10]
	v_add_co_ci_u32_e32 v4, vcc_lo, s7, v4, vcc_lo
	v_mad_u64_u32 v[35:36], null, s6, v18, s[8:9]
	v_mul_lo_u32 v22, s7, v18
	v_add_co_u32 v83, vcc_lo, s8, v5
	s_delay_alu instid0(VALU_DEP_4)
	v_lshlrev_b64 v[3:4], 1, v[3:4]
	v_add_co_ci_u32_e32 v84, vcc_lo, s9, v6, vcc_lo
	v_mad_u64_u32 v[37:38], null, s6, v20, s[8:9]
	v_mul_lo_u32 v24, s7, v20
	v_mad_u64_u32 v[49:50], null, s6, v18, s[10:11]
	v_mad_u64_u32 v[51:52], null, s6, v20, s[10:11]
	v_add_co_u32 v85, vcc_lo, s10, v5
	v_add_co_ci_u32_e32 v86, vcc_lo, s11, v6, vcc_lo
	v_add_co_u32 v87, vcc_lo, s8, v3
	v_add_co_ci_u32_e32 v88, vcc_lo, s9, v4, vcc_lo
	v_add_co_u32 v89, vcc_lo, s10, v3
	v_add3_u32 v32, v16, v32, v15
	v_add3_u32 v34, v19, v34, v17
	;; [unrolled: 1-line block ×8, first 2 shown]
	v_add_co_ci_u32_e32 v90, vcc_lo, s11, v4, vcc_lo
	s_mul_i32 s2, s6, s15
	s_delay_alu instid0(SALU_CYCLE_1)
	s_lshl_b64 s[2:3], s[2:3], 1
.LBB90_53:                              ; =>This Inner Loop Header: Depth=1
	v_cmp_ge_i64_e64 s8, s[30:31], s[4:5]
	v_add_co_u32 v93, s9, v57, s30
	s_delay_alu instid0(VALU_DEP_1) | instskip(NEXT) | instid1(VALU_DEP_3)
	v_add_co_ci_u32_e64 v94, null, 0, s31, s9
	s_and_b32 vcc_lo, exec_lo, s8
	s_cbranch_vccz .LBB90_75
; %bb.54:                               ;   in Loop: Header=BB90_53 Depth=1
	s_load_b32 s8, s[28:29], 0xc
	v_dual_mov_b32 v95, 0 :: v_dual_mov_b32 v58, 0
	s_waitcnt lgkmcnt(0)
	s_and_b32 s8, s8, 0xffff
	s_delay_alu instid0(SALU_CYCLE_1) | instskip(SKIP_1) | instid1(VALU_DEP_1)
	v_mad_u32_u24 v1, v56, s8, v55
	s_mov_b32 s8, exec_lo
	v_and_b32_e32 v1, 31, v1
	s_delay_alu instid0(VALU_DEP_1)
	v_cmpx_gt_u32_e32 8, v1
	s_cbranch_execz .LBB90_58
; %bb.55:                               ;   in Loop: Header=BB90_53 Depth=1
	v_add_co_u32 v1, vcc_lo, v93, v1
	v_add_co_ci_u32_e32 v4, vcc_lo, 0, v94, vcc_lo
	v_dual_mov_b32 v58, 0 :: v_dual_mov_b32 v95, 0
	s_delay_alu instid0(VALU_DEP_3) | instskip(NEXT) | instid1(VALU_DEP_3)
	v_add_co_u32 v3, vcc_lo, 0xffffff81, v1
	v_add_co_ci_u32_e32 v4, vcc_lo, -1, v4, vcc_lo
	s_mov_b32 s9, exec_lo
	s_delay_alu instid0(VALU_DEP_1)
	v_cmpx_gt_i64_e64 s[4:5], v[3:4]
	s_cbranch_execz .LBB90_57
; %bb.56:                               ;   in Loop: Header=BB90_53 Depth=1
	v_lshlrev_b64 v[3:4], 2, v[3:4]
	s_delay_alu instid0(VALU_DEP_1) | instskip(NEXT) | instid1(VALU_DEP_2)
	v_add_co_u32 v5, vcc_lo, s24, v3
	v_add_co_ci_u32_e32 v6, vcc_lo, s25, v4, vcc_lo
	v_add_co_u32 v3, vcc_lo, s26, v3
	v_add_co_ci_u32_e32 v4, vcc_lo, s27, v4, vcc_lo
	global_load_b32 v58, v[5:6], off
	global_load_b32 v95, v[3:4], off
.LBB90_57:                              ;   in Loop: Header=BB90_53 Depth=1
	s_or_b32 exec_lo, exec_lo, s9
.LBB90_58:                              ;   in Loop: Header=BB90_53 Depth=1
	s_delay_alu instid0(SALU_CYCLE_1)
	s_or_b32 exec_lo, exec_lo, s8
	s_mov_b32 s22, s16
	s_mov_b32 s23, s16
	;; [unrolled: 1-line block ×7, first 2 shown]
	v_dual_mov_b32 v9, s16 :: v_dual_mov_b32 v10, s17
	v_dual_mov_b32 v15, s22 :: v_dual_mov_b32 v16, s23
	;; [unrolled: 1-line block ×4, first 2 shown]
	v_add_co_u32 v3, vcc_lo, 0xffffff81, v93
	s_delay_alu instid0(VALU_DEP_4) | instskip(SKIP_1) | instid1(VALU_DEP_4)
	v_dual_mov_b32 v24, v16 :: v_dual_mov_b32 v23, v15
	v_add_co_ci_u32_e32 v4, vcc_lo, -1, v94, vcc_lo
	v_dual_mov_b32 v22, v14 :: v_dual_mov_b32 v21, v13
	v_dual_mov_b32 v20, v12 :: v_dual_mov_b32 v19, v11
	;; [unrolled: 1-line block ×3, first 2 shown]
	s_mov_b32 s8, exec_lo
	v_cmpx_gt_i64_e64 s[4:5], v[3:4]
	s_cbranch_execz .LBB90_60
; %bb.59:                               ;   in Loop: Header=BB90_53 Depth=1
	v_add_co_u32 v3, vcc_lo, v59, v25
	v_add_co_ci_u32_e32 v4, vcc_lo, v60, v26, vcc_lo
	v_add_co_u32 v5, vcc_lo, v61, v25
	v_add_co_ci_u32_e32 v6, vcc_lo, v62, v26, vcc_lo
	v_mov_b32_e32 v8, v2
	global_load_u16 v1, v[3:4], off
	global_load_u16 v9, v[5:6], off
	v_mov_b32_e32 v3, v2
	v_mov_b32_e32 v4, v2
	;; [unrolled: 1-line block ×6, first 2 shown]
	s_waitcnt vmcnt(1)
	v_cvt_f32_f16_e32 v1, v1
	v_dual_mov_b32 v11, v2 :: v_dual_mov_b32 v24, v8
	v_dual_mov_b32 v10, v2 :: v_dual_mov_b32 v23, v7
	s_waitcnt vmcnt(0)
	v_cvt_f32_f16_e32 v9, v9
	v_dual_mov_b32 v12, v2 :: v_dual_mov_b32 v21, v5
	v_dual_mov_b32 v13, v2 :: v_dual_mov_b32 v20, v4
	;; [unrolled: 1-line block ×4, first 2 shown]
	v_mov_b32_e32 v22, v6
	v_mov_b32_e32 v18, v2
.LBB90_60:                              ;   in Loop: Header=BB90_53 Depth=1
	s_or_b32 exec_lo, exec_lo, s8
	v_add_co_u32 v3, vcc_lo, 0xffffff82, v93
	v_add_co_ci_u32_e32 v4, vcc_lo, -1, v94, vcc_lo
	s_mov_b32 s8, exec_lo
	s_delay_alu instid0(VALU_DEP_1)
	v_cmpx_gt_i64_e64 s[4:5], v[3:4]
	s_cbranch_execz .LBB90_62
; %bb.61:                               ;   in Loop: Header=BB90_53 Depth=1
	v_add_co_u32 v3, vcc_lo, v87, v25
	v_add_co_ci_u32_e32 v4, vcc_lo, v88, v26, vcc_lo
	v_add_co_u32 v5, vcc_lo, v89, v25
	v_add_co_ci_u32_e32 v6, vcc_lo, v90, v26, vcc_lo
	global_load_u16 v1, v[3:4], off
	global_load_u16 v3, v[5:6], off
	s_waitcnt vmcnt(1)
	v_cvt_f32_f16_e32 v18, v1
	s_waitcnt vmcnt(0)
	v_cvt_f32_f16_e32 v10, v3
.LBB90_62:                              ;   in Loop: Header=BB90_53 Depth=1
	s_or_b32 exec_lo, exec_lo, s8
	v_add_co_u32 v3, vcc_lo, 0xffffff83, v93
	v_add_co_ci_u32_e32 v4, vcc_lo, -1, v94, vcc_lo
	s_mov_b32 s8, exec_lo
	s_delay_alu instid0(VALU_DEP_1)
	v_cmpx_gt_i64_e64 s[4:5], v[3:4]
	s_cbranch_execz .LBB90_64
; %bb.63:                               ;   in Loop: Header=BB90_53 Depth=1
	v_add_co_u32 v3, vcc_lo, v83, v25
	v_add_co_ci_u32_e32 v4, vcc_lo, v84, v26, vcc_lo
	v_add_co_u32 v5, vcc_lo, v85, v25
	v_add_co_ci_u32_e32 v6, vcc_lo, v86, v26, vcc_lo
	global_load_u16 v1, v[3:4], off
	global_load_u16 v3, v[5:6], off
	s_waitcnt vmcnt(1)
	v_cvt_f32_f16_e32 v19, v1
	s_waitcnt vmcnt(0)
	v_cvt_f32_f16_e32 v11, v3
.LBB90_64:                              ;   in Loop: Header=BB90_53 Depth=1
	;; [unrolled: 19-line block ×7, first 2 shown]
	s_or_b32 exec_lo, exec_lo, s8
	s_waitcnt vmcnt(1)
	ds_bpermute_b32 v3, v2, v58
	s_waitcnt vmcnt(0)
	ds_bpermute_b32 v1, v2, v95
	ds_bpermute_b32 v5, v2, v58 offset:4
	ds_bpermute_b32 v4, v2, v95 offset:4
	s_waitcnt lgkmcnt(3)
	v_sub_f32_e32 v3, v9, v3
	s_delay_alu instid0(VALU_DEP_1) | instskip(SKIP_1) | instid1(VALU_DEP_1)
	v_mul_f32_e32 v3, v17, v3
	s_waitcnt lgkmcnt(2)
	v_fma_f32 v1, v3, v1, v91
	v_add_f32_e32 v3, v92, v17
	s_delay_alu instid0(VALU_DEP_1) | instskip(NEXT) | instid1(VALU_DEP_1)
	v_add_f32_e32 v3, v18, v3
	v_add_f32_e32 v3, v19, v3
	s_delay_alu instid0(VALU_DEP_1) | instskip(NEXT) | instid1(VALU_DEP_1)
	v_add_f32_e32 v3, v20, v3
	;; [unrolled: 3-line block ×3, first 2 shown]
	v_add_f32_e32 v3, v23, v3
	s_waitcnt lgkmcnt(1)
	v_sub_f32_e32 v5, v10, v5
	s_delay_alu instid0(VALU_DEP_1) | instskip(SKIP_1) | instid1(VALU_DEP_1)
	v_mul_f32_e32 v5, v18, v5
	s_waitcnt lgkmcnt(0)
	v_fmac_f32_e32 v1, v5, v4
	ds_bpermute_b32 v5, v2, v58 offset:8
	ds_bpermute_b32 v4, v2, v95 offset:8
	s_waitcnt lgkmcnt(1)
	v_sub_f32_e32 v5, v11, v5
	s_delay_alu instid0(VALU_DEP_1) | instskip(SKIP_1) | instid1(VALU_DEP_1)
	v_mul_f32_e32 v5, v19, v5
	s_waitcnt lgkmcnt(0)
	v_fmac_f32_e32 v1, v5, v4
	ds_bpermute_b32 v5, v2, v58 offset:12
	ds_bpermute_b32 v4, v2, v95 offset:12
	;; [unrolled: 8-line block ×5, first 2 shown]
	s_waitcnt lgkmcnt(1)
	v_sub_f32_e32 v5, v15, v5
	s_delay_alu instid0(VALU_DEP_1) | instskip(SKIP_1) | instid1(VALU_DEP_1)
	v_mul_f32_e32 v5, v23, v5
	s_waitcnt lgkmcnt(0)
	v_fmac_f32_e32 v1, v5, v4
	ds_bpermute_b32 v5, v2, v58 offset:28
	v_add_f32_e32 v58, v24, v3
	ds_bpermute_b32 v4, v2, v95 offset:28
	s_waitcnt lgkmcnt(1)
	v_sub_f32_e32 v5, v16, v5
	s_delay_alu instid0(VALU_DEP_1) | instskip(SKIP_1) | instid1(VALU_DEP_1)
	v_mul_f32_e32 v5, v24, v5
	s_waitcnt lgkmcnt(0)
	v_fmac_f32_e32 v1, v5, v4
	s_branch .LBB90_81
.LBB90_75:                              ;   in Loop: Header=BB90_53 Depth=1
                                        ; implicit-def: $vgpr58
                                        ; implicit-def: $vgpr1
	s_cbranch_execz .LBB90_81
; %bb.76:                               ;   in Loop: Header=BB90_53 Depth=1
	s_load_b32 s8, s[28:29], 0x0
	v_mov_b32_e32 v5, 0
	s_waitcnt lgkmcnt(0)
	s_cmp_lt_u32 s14, s8
	s_cselect_b32 s8, 12, 18
	s_delay_alu instid0(SALU_CYCLE_1)
	s_add_u32 s8, s28, s8
	s_addc_u32 s9, s29, 0
	global_load_u16 v1, v2, s[8:9]
	s_mov_b32 s8, exec_lo
	s_waitcnt vmcnt(0)
	v_mad_u32_u24 v1, v56, v1, v55
	s_delay_alu instid0(VALU_DEP_1) | instskip(SKIP_1) | instid1(VALU_DEP_2)
	v_and_b32_e32 v3, 31, v1
	v_mov_b32_e32 v1, 0
	v_cmpx_gt_u32_e32 8, v3
	s_cbranch_execz .LBB90_80
; %bb.77:                               ;   in Loop: Header=BB90_53 Depth=1
	v_add_co_u32 v1, vcc_lo, v93, v3
	v_add_co_ci_u32_e32 v4, vcc_lo, 0, v94, vcc_lo
	v_mov_b32_e32 v5, 0
	s_delay_alu instid0(VALU_DEP_3) | instskip(NEXT) | instid1(VALU_DEP_3)
	v_add_co_u32 v3, vcc_lo, 0xffffff81, v1
	v_add_co_ci_u32_e32 v4, vcc_lo, -1, v4, vcc_lo
	v_mov_b32_e32 v1, 0
	s_mov_b32 s9, exec_lo
	s_delay_alu instid0(VALU_DEP_2)
	v_cmpx_gt_i64_e64 s[4:5], v[3:4]
	s_cbranch_execz .LBB90_79
; %bb.78:                               ;   in Loop: Header=BB90_53 Depth=1
	v_lshlrev_b64 v[3:4], 2, v[3:4]
	s_delay_alu instid0(VALU_DEP_1) | instskip(NEXT) | instid1(VALU_DEP_2)
	v_add_co_u32 v5, vcc_lo, s24, v3
	v_add_co_ci_u32_e32 v6, vcc_lo, s25, v4, vcc_lo
	v_add_co_u32 v3, vcc_lo, s26, v3
	v_add_co_ci_u32_e32 v4, vcc_lo, s27, v4, vcc_lo
	global_load_b32 v1, v[5:6], off
	global_load_b32 v5, v[3:4], off
.LBB90_79:                              ;   in Loop: Header=BB90_53 Depth=1
	s_or_b32 exec_lo, exec_lo, s9
.LBB90_80:                              ;   in Loop: Header=BB90_53 Depth=1
	s_delay_alu instid0(SALU_CYCLE_1)
	s_or_b32 exec_lo, exec_lo, s8
	v_add_co_u32 v3, vcc_lo, v59, v25
	v_add_co_ci_u32_e32 v4, vcc_lo, v60, v26, vcc_lo
	s_waitcnt vmcnt(1)
	ds_bpermute_b32 v21, v2, v1
	global_load_u16 v3, v[3:4], off
	s_waitcnt vmcnt(0)
	v_cvt_f32_f16_e32 v6, v3
	v_add_co_u32 v3, vcc_lo, v61, v25
	v_add_co_ci_u32_e32 v4, vcc_lo, v62, v26, vcc_lo
	global_load_u16 v3, v[3:4], off
	s_waitcnt vmcnt(0)
	v_cvt_f32_f16_e32 v7, v3
	v_add_co_u32 v3, vcc_lo, v27, v25
	v_add_co_ci_u32_e32 v4, vcc_lo, v28, v26, vcc_lo
	s_waitcnt lgkmcnt(0)
	s_delay_alu instid0(VALU_DEP_3)
	v_sub_f32_e32 v7, v7, v21
	global_load_u16 v3, v[3:4], off
	s_waitcnt vmcnt(0)
	v_cvt_f32_f16_e32 v8, v3
	v_add_co_u32 v3, vcc_lo, v41, v25
	v_add_co_ci_u32_e32 v4, vcc_lo, v42, v26, vcc_lo
	v_mul_f32_e32 v7, v7, v6
	global_load_u16 v3, v[3:4], off
	s_waitcnt vmcnt(0)
	v_cvt_f32_f16_e32 v9, v3
	v_add_co_u32 v3, vcc_lo, v29, v25
	v_add_co_ci_u32_e32 v4, vcc_lo, v30, v26, vcc_lo
	global_load_u16 v3, v[3:4], off
	s_waitcnt vmcnt(0)
	v_cvt_f32_f16_e32 v10, v3
	v_add_co_u32 v3, vcc_lo, v43, v25
	v_add_co_ci_u32_e32 v4, vcc_lo, v44, v26, vcc_lo
	;; [unrolled: 5-line block ×12, first 2 shown]
	global_load_u16 v3, v[3:4], off
	ds_bpermute_b32 v4, v2, v5
	s_waitcnt lgkmcnt(0)
	v_fmac_f32_e32 v91, v7, v4
	ds_bpermute_b32 v7, v2, v1 offset:4
	v_add_f32_e32 v4, v92, v6
	ds_bpermute_b32 v6, v2, v5 offset:4
	v_add_f32_e32 v4, v4, v8
	s_delay_alu instid0(VALU_DEP_1) | instskip(SKIP_1) | instid1(VALU_DEP_1)
	v_add_f32_e32 v4, v4, v10
	s_waitcnt lgkmcnt(1)
	v_dual_add_f32 v4, v4, v12 :: v_dual_sub_f32 v7, v9, v7
	s_delay_alu instid0(VALU_DEP_1) | instskip(SKIP_1) | instid1(VALU_DEP_1)
	v_dual_add_f32 v4, v4, v14 :: v_dual_mul_f32 v7, v7, v8
	s_waitcnt lgkmcnt(0)
	v_dual_add_f32 v4, v4, v16 :: v_dual_fmac_f32 v91, v7, v6
	ds_bpermute_b32 v7, v2, v1 offset:8
	ds_bpermute_b32 v6, v2, v5 offset:8
	v_add_f32_e32 v4, v4, v18
	s_waitcnt lgkmcnt(1)
	s_delay_alu instid0(VALU_DEP_1) | instskip(NEXT) | instid1(VALU_DEP_1)
	v_dual_add_f32 v58, v4, v20 :: v_dual_sub_f32 v7, v11, v7
	v_mul_f32_e32 v7, v7, v10
	s_waitcnt lgkmcnt(0)
	s_delay_alu instid0(VALU_DEP_1) | instskip(SKIP_4) | instid1(VALU_DEP_1)
	v_fmac_f32_e32 v91, v7, v6
	ds_bpermute_b32 v7, v2, v1 offset:12
	ds_bpermute_b32 v6, v2, v5 offset:12
	s_waitcnt lgkmcnt(1)
	v_sub_f32_e32 v7, v13, v7
	v_mul_f32_e32 v7, v7, v12
	s_waitcnt lgkmcnt(0)
	s_delay_alu instid0(VALU_DEP_1) | instskip(SKIP_4) | instid1(VALU_DEP_1)
	v_fmac_f32_e32 v91, v7, v6
	ds_bpermute_b32 v7, v2, v1 offset:16
	ds_bpermute_b32 v6, v2, v5 offset:16
	s_waitcnt lgkmcnt(1)
	v_sub_f32_e32 v7, v15, v7
	;; [unrolled: 8-line block ×3, first 2 shown]
	v_mul_f32_e32 v7, v7, v16
	s_waitcnt lgkmcnt(0)
	s_delay_alu instid0(VALU_DEP_1)
	v_fmac_f32_e32 v91, v7, v6
	ds_bpermute_b32 v7, v2, v1 offset:24
	ds_bpermute_b32 v1, v2, v1 offset:28
	;; [unrolled: 1-line block ×4, first 2 shown]
	s_waitcnt lgkmcnt(3)
	v_sub_f32_e32 v7, v19, v7
	s_delay_alu instid0(VALU_DEP_1) | instskip(SKIP_1) | instid1(VALU_DEP_1)
	v_mul_f32_e32 v7, v7, v18
	s_waitcnt lgkmcnt(1)
	v_fmac_f32_e32 v91, v7, v6
	s_waitcnt vmcnt(0)
	v_cvt_f32_f16_e32 v3, v3
	s_delay_alu instid0(VALU_DEP_1) | instskip(NEXT) | instid1(VALU_DEP_1)
	v_sub_f32_e32 v1, v3, v1
	v_mul_f32_e32 v1, v1, v20
	s_waitcnt lgkmcnt(0)
	s_delay_alu instid0(VALU_DEP_1) | instskip(NEXT) | instid1(VALU_DEP_1)
	v_fmac_f32_e32 v91, v1, v5
	v_mov_b32_e32 v1, v91
.LBB90_81:                              ;   in Loop: Header=BB90_53 Depth=1
	v_add_co_u32 v27, vcc_lo, v27, s2
	v_add_co_ci_u32_e32 v28, vcc_lo, s3, v28, vcc_lo
	v_add_co_u32 v29, vcc_lo, v29, s2
	v_add_co_ci_u32_e32 v30, vcc_lo, s3, v30, vcc_lo
	;; [unrolled: 2-line block ×27, first 2 shown]
	v_add_co_u32 v85, vcc_lo, v85, s2
	s_add_u32 s12, s12, s15
	v_add_co_ci_u32_e32 v86, vcc_lo, s3, v86, vcc_lo
	s_addc_u32 s13, s13, 0
	v_add_co_u32 v87, vcc_lo, v87, s2
	v_cmp_ge_i64_e64 s8, s[12:13], s[4:5]
	v_add_co_ci_u32_e32 v88, vcc_lo, s3, v88, vcc_lo
	v_add_co_u32 v89, vcc_lo, v89, s2
	v_add_co_ci_u32_e32 v90, vcc_lo, s3, v90, vcc_lo
	s_add_u32 s30, s30, s15
	s_addc_u32 s31, s31, 0
	s_and_b32 vcc_lo, exec_lo, s8
	s_cbranch_vccnz .LBB90_83
; %bb.82:                               ;   in Loop: Header=BB90_53 Depth=1
	v_dual_mov_b32 v92, v58 :: v_dual_mov_b32 v91, v1
	s_branch .LBB90_53
.LBB90_83:
	v_and_b32_e32 v4, 0x3ff, v0
	v_bfe_u32 v2, v0, 10, 10
	s_mov_b32 s15, 0
	s_mov_b32 s2, exec_lo
	s_delay_alu instid0(VALU_DEP_2) | instskip(NEXT) | instid1(VALU_DEP_2)
	v_lshrrev_b32_e32 v3, 5, v4
	v_mad_u32_u24 v0, v2, 33, v4
	s_delay_alu instid0(VALU_DEP_2) | instskip(NEXT) | instid1(VALU_DEP_2)
	v_add_nc_u32_e32 v5, v3, v2
	v_lshl_add_u32 v0, v0, 2, 0
	ds_store_b32 v0, v1
	ds_store_b32 v0, v58 offset:2112
	s_waitcnt lgkmcnt(0)
	s_barrier
	buffer_gl0_inv
	v_cmpx_gt_u32_e32 32, v5
	s_cbranch_execz .LBB90_93
; %bb.84:
	v_mbcnt_lo_u32_b32 v6, -1, 0
	s_load_b128 s[8:11], s[0:1], 0x30
	v_cmp_eq_u32_e64 s0, 0, v4
	s_lshl_b64 s[4:5], s[14:15], 5
	s_delay_alu instid0(VALU_DEP_2) | instskip(SKIP_2) | instid1(VALU_DEP_3)
	v_xor_b32_e32 v1, 8, v6
	v_xor_b32_e32 v7, 2, v6
	;; [unrolled: 1-line block ×3, first 2 shown]
	v_cmp_gt_i32_e32 vcc_lo, 32, v1
	v_and_b32_e32 v0, 31, v4
	v_add_co_u32 v4, s1, v3, v2
	s_delay_alu instid0(VALU_DEP_1) | instskip(SKIP_1) | instid1(VALU_DEP_4)
	v_add_co_ci_u32_e64 v5, null, 0, 0, s1
	v_cndmask_b32_e32 v9, v6, v1, vcc_lo
	v_cmp_gt_u32_e64 s1, 16, v0
	v_mul_u32_u24_e32 v12, 33, v0
	v_xor_b32_e32 v0, 4, v6
	s_waitcnt lgkmcnt(0)
	s_cmp_lg_u64 s[8:9], 0
	s_delay_alu instid0(VALU_DEP_2) | instskip(NEXT) | instid1(VALU_DEP_2)
	v_add3_u32 v12, v12, v2, v3
	v_cmp_gt_i32_e32 vcc_lo, 32, v0
	s_cselect_b32 s3, -1, 0
	s_cmp_lg_u64 s[10:11], 0
	v_cndmask_b32_e32 v13, v6, v0, vcc_lo
	v_add_co_u32 v0, vcc_lo, v4, s4
	v_add_co_ci_u32_e32 v1, vcc_lo, s5, v5, vcc_lo
	v_cmp_gt_i32_e32 vcc_lo, 32, v7
	s_delay_alu instid0(VALU_DEP_2) | instskip(SKIP_3) | instid1(VALU_DEP_4)
	v_lshlrev_b64 v[10:11], 1, v[0:1]
	v_cndmask_b32_e32 v14, v6, v7, vcc_lo
	v_cmp_gt_i32_e32 vcc_lo, 32, v8
	v_cndmask_b32_e32 v15, v6, v8, vcc_lo
	v_add_co_u32 v0, vcc_lo, s10, v10
	v_add_co_ci_u32_e32 v1, vcc_lo, s11, v11, vcc_lo
	v_add_co_u32 v2, vcc_lo, s8, v10
	v_lshlrev_b32_e32 v6, 2, v9
	v_lshlrev_b32_e32 v7, 2, v13
	;; [unrolled: 1-line block ×4, first 2 shown]
	v_add_co_ci_u32_e32 v3, vcc_lo, s9, v11, vcc_lo
	v_lshl_add_u32 v10, v12, 2, 0
	s_cselect_b32 s8, -1, 0
                                        ; implicit-def: $vgpr11
                                        ; implicit-def: $vgpr12
	s_branch .LBB90_86
.LBB90_85:                              ;   in Loop: Header=BB90_86 Depth=1
	s_or_b32 exec_lo, exec_lo, s2
	v_add_co_u32 v4, vcc_lo, v4, 16
	v_add_co_ci_u32_e32 v5, vcc_lo, 0, v5, vcc_lo
	v_add_co_u32 v0, vcc_lo, v0, 32
	s_delay_alu instid0(VALU_DEP_3) | instskip(SKIP_2) | instid1(VALU_DEP_3)
	v_add_nc_u32_e32 v13, -16, v4
	v_add_co_ci_u32_e32 v1, vcc_lo, 0, v1, vcc_lo
	v_add_co_u32 v2, s2, v2, 32
	v_cmp_lt_u32_e32 vcc_lo, 15, v13
	v_add_co_ci_u32_e64 v3, s2, 0, v3, s2
	v_add_nc_u32_e32 v10, 64, v10
	s_or_b32 s15, vcc_lo, s15
	s_delay_alu instid0(SALU_CYCLE_1)
	s_and_not1_b32 exec_lo, exec_lo, s15
	s_cbranch_execz .LBB90_93
.LBB90_86:                              ; =>This Inner Loop Header: Depth=1
	s_and_saveexec_b32 s2, s1
	s_cbranch_execz .LBB90_88
; %bb.87:                               ;   in Loop: Header=BB90_86 Depth=1
	ds_load_b32 v11, v10
	ds_load_b32 v12, v10 offset:2112
.LBB90_88:                              ;   in Loop: Header=BB90_86 Depth=1
	s_or_b32 exec_lo, exec_lo, s2
	s_waitcnt lgkmcnt(1)
	ds_bpermute_b32 v13, v6, v11
	s_waitcnt lgkmcnt(1)
	ds_bpermute_b32 v14, v6, v12
	s_waitcnt lgkmcnt(0)
	v_dual_add_f32 v11, v11, v13 :: v_dual_add_f32 v12, v12, v14
	ds_bpermute_b32 v13, v7, v11
	ds_bpermute_b32 v14, v7, v12
	s_waitcnt lgkmcnt(0)
	v_dual_add_f32 v11, v11, v13 :: v_dual_add_f32 v12, v12, v14
	ds_bpermute_b32 v13, v8, v11
	ds_bpermute_b32 v14, v8, v12
	s_waitcnt lgkmcnt(0)
	v_dual_add_f32 v13, v11, v13 :: v_dual_add_f32 v14, v12, v14
	v_add_co_u32 v11, vcc_lo, s4, v4
	v_add_co_ci_u32_e32 v12, vcc_lo, s5, v5, vcc_lo
	ds_bpermute_b32 v15, v9, v13
	ds_bpermute_b32 v16, v9, v14
	v_cmp_gt_i64_e32 vcc_lo, s[6:7], v[11:12]
	s_and_b32 s9, s0, vcc_lo
	s_waitcnt lgkmcnt(0)
	v_dual_add_f32 v11, v13, v15 :: v_dual_add_f32 v12, v14, v16
	s_and_saveexec_b32 s2, s9
	s_cbranch_execz .LBB90_85
; %bb.89:                               ;   in Loop: Header=BB90_86 Depth=1
	s_and_not1_b32 vcc_lo, exec_lo, s3
	s_cbranch_vccnz .LBB90_91
; %bb.90:                               ;   in Loop: Header=BB90_86 Depth=1
	v_cvt_f16_f32_e32 v13, v11
	global_store_b16 v[2:3], v13, off
.LBB90_91:                              ;   in Loop: Header=BB90_86 Depth=1
	s_and_not1_b32 vcc_lo, exec_lo, s8
	s_cbranch_vccnz .LBB90_85
; %bb.92:                               ;   in Loop: Header=BB90_86 Depth=1
	v_cvt_f16_f32_e32 v13, v12
	global_store_b16 v[0:1], v13, off
	s_branch .LBB90_85
.LBB90_93:
	s_nop 0
	s_sendmsg sendmsg(MSG_DEALLOC_VGPRS)
	s_endpgm
	.section	.rodata,"a",@progbits
	.p2align	6, 0x0
	.amdhsa_kernel _ZN2at6native12_GLOBAL__N_135GammaBetaBackwardCUDAKernelTemplateIN3c104HalfEfLj32ELj16ELj128ELb0ELb0ELb0EEEvllPKT_S7_PKT0_SA_PS5_SB_
		.amdhsa_group_segment_fixed_size 0
		.amdhsa_private_segment_fixed_size 0
		.amdhsa_kernarg_size 320
		.amdhsa_user_sgpr_count 14
		.amdhsa_user_sgpr_dispatch_ptr 0
		.amdhsa_user_sgpr_queue_ptr 0
		.amdhsa_user_sgpr_kernarg_segment_ptr 1
		.amdhsa_user_sgpr_dispatch_id 0
		.amdhsa_user_sgpr_private_segment_size 0
		.amdhsa_wavefront_size32 1
		.amdhsa_uses_dynamic_stack 0
		.amdhsa_enable_private_segment 0
		.amdhsa_system_sgpr_workgroup_id_x 1
		.amdhsa_system_sgpr_workgroup_id_y 1
		.amdhsa_system_sgpr_workgroup_id_z 0
		.amdhsa_system_sgpr_workgroup_info 0
		.amdhsa_system_vgpr_workitem_id 1
		.amdhsa_next_free_vgpr 96
		.amdhsa_next_free_sgpr 40
		.amdhsa_reserve_vcc 1
		.amdhsa_float_round_mode_32 0
		.amdhsa_float_round_mode_16_64 0
		.amdhsa_float_denorm_mode_32 3
		.amdhsa_float_denorm_mode_16_64 3
		.amdhsa_dx10_clamp 1
		.amdhsa_ieee_mode 1
		.amdhsa_fp16_overflow 0
		.amdhsa_workgroup_processor_mode 1
		.amdhsa_memory_ordered 1
		.amdhsa_forward_progress 0
		.amdhsa_shared_vgpr_count 0
		.amdhsa_exception_fp_ieee_invalid_op 0
		.amdhsa_exception_fp_denorm_src 0
		.amdhsa_exception_fp_ieee_div_zero 0
		.amdhsa_exception_fp_ieee_overflow 0
		.amdhsa_exception_fp_ieee_underflow 0
		.amdhsa_exception_fp_ieee_inexact 0
		.amdhsa_exception_int_div_zero 0
	.end_amdhsa_kernel
	.section	.text._ZN2at6native12_GLOBAL__N_135GammaBetaBackwardCUDAKernelTemplateIN3c104HalfEfLj32ELj16ELj128ELb0ELb0ELb0EEEvllPKT_S7_PKT0_SA_PS5_SB_,"axG",@progbits,_ZN2at6native12_GLOBAL__N_135GammaBetaBackwardCUDAKernelTemplateIN3c104HalfEfLj32ELj16ELj128ELb0ELb0ELb0EEEvllPKT_S7_PKT0_SA_PS5_SB_,comdat
.Lfunc_end90:
	.size	_ZN2at6native12_GLOBAL__N_135GammaBetaBackwardCUDAKernelTemplateIN3c104HalfEfLj32ELj16ELj128ELb0ELb0ELb0EEEvllPKT_S7_PKT0_SA_PS5_SB_, .Lfunc_end90-_ZN2at6native12_GLOBAL__N_135GammaBetaBackwardCUDAKernelTemplateIN3c104HalfEfLj32ELj16ELj128ELb0ELb0ELb0EEEvllPKT_S7_PKT0_SA_PS5_SB_
                                        ; -- End function
	.section	.AMDGPU.csdata,"",@progbits
; Kernel info:
; codeLenInByte = 8752
; NumSgprs: 42
; NumVgprs: 96
; ScratchSize: 0
; MemoryBound: 0
; FloatMode: 240
; IeeeMode: 1
; LDSByteSize: 0 bytes/workgroup (compile time only)
; SGPRBlocks: 5
; VGPRBlocks: 11
; NumSGPRsForWavesPerEU: 42
; NumVGPRsForWavesPerEU: 96
; Occupancy: 16
; WaveLimiterHint : 0
; COMPUTE_PGM_RSRC2:SCRATCH_EN: 0
; COMPUTE_PGM_RSRC2:USER_SGPR: 14
; COMPUTE_PGM_RSRC2:TRAP_HANDLER: 0
; COMPUTE_PGM_RSRC2:TGID_X_EN: 1
; COMPUTE_PGM_RSRC2:TGID_Y_EN: 1
; COMPUTE_PGM_RSRC2:TGID_Z_EN: 0
; COMPUTE_PGM_RSRC2:TIDIG_COMP_CNT: 1
	.section	.text._ZN2at6native12_GLOBAL__N_135GammaBetaBackwardCUDAKernelTemplateIN3c104HalfEfLj32ELj32ELj256ELb0ELb1ELb0EEEvllPKT_S7_PKT0_SA_PS5_SB_,"axG",@progbits,_ZN2at6native12_GLOBAL__N_135GammaBetaBackwardCUDAKernelTemplateIN3c104HalfEfLj32ELj32ELj256ELb0ELb1ELb0EEEvllPKT_S7_PKT0_SA_PS5_SB_,comdat
	.globl	_ZN2at6native12_GLOBAL__N_135GammaBetaBackwardCUDAKernelTemplateIN3c104HalfEfLj32ELj32ELj256ELb0ELb1ELb0EEEvllPKT_S7_PKT0_SA_PS5_SB_ ; -- Begin function _ZN2at6native12_GLOBAL__N_135GammaBetaBackwardCUDAKernelTemplateIN3c104HalfEfLj32ELj32ELj256ELb0ELb1ELb0EEEvllPKT_S7_PKT0_SA_PS5_SB_
	.p2align	8
	.type	_ZN2at6native12_GLOBAL__N_135GammaBetaBackwardCUDAKernelTemplateIN3c104HalfEfLj32ELj32ELj256ELb0ELb1ELb0EEEvllPKT_S7_PKT0_SA_PS5_SB_,@function
_ZN2at6native12_GLOBAL__N_135GammaBetaBackwardCUDAKernelTemplateIN3c104HalfEfLj32ELj32ELj256ELb0ELb1ELb0EEEvllPKT_S7_PKT0_SA_PS5_SB_: ; @_ZN2at6native12_GLOBAL__N_135GammaBetaBackwardCUDAKernelTemplateIN3c104HalfEfLj32ELj32ELj256ELb0ELb1ELb0EEEvllPKT_S7_PKT0_SA_PS5_SB_
; %bb.0:
	s_load_b128 s[20:23], s[0:1], 0x0
	s_mov_b32 s3, 0
	s_lshl_b32 s2, s15, 8
	v_bfe_u32 v7, v0, 10, 10
	s_waitcnt lgkmcnt(0)
	v_cmp_lt_i64_e64 s4, s[2:3], s[20:21]
	s_delay_alu instid0(VALU_DEP_1)
	s_and_b32 vcc_lo, exec_lo, s4
	s_cbranch_vccnz .LBB91_2
; %bb.1:
	v_bfe_u32 v1, v0, 10, 10
	s_mov_b32 s5, 0
	s_mov_b32 s4, s3
	s_branch .LBB91_3
.LBB91_2:
	s_mov_b32 s4, -1
                                        ; implicit-def: $sgpr5
                                        ; implicit-def: $vgpr1
.LBB91_3:
	s_load_b128 s[16:19], s[0:1], 0x30
	v_dual_mov_b32 v15, s5 :: v_dual_and_b32 v6, 0x3ff, v0
	v_mov_b32_e32 v17, s5
	s_and_not1_b32 vcc_lo, exec_lo, s4
	s_cbranch_vccnz .LBB91_11
; %bb.4:
	s_clause 0x2
	s_load_b32 s12, s[0:1], 0x4c
	s_load_b32 s15, s[0:1], 0x44
	s_load_b256 s[4:11], s[0:1], 0x10
	v_dual_mov_b32 v1, 0 :: v_dual_lshlrev_b32 v2, 3, v7
	v_lshl_add_u32 v0, s14, 5, v6
	v_dual_mov_b32 v8, 4 :: v_dual_mov_b32 v9, 8
	s_delay_alu instid0(VALU_DEP_3) | instskip(NEXT) | instid1(VALU_DEP_1)
	v_add_co_u32 v2, s0, v2, s2
	v_add_co_ci_u32_e64 v3, null, 0, 0, s0
	v_dual_mov_b32 v10, 12 :: v_dual_mov_b32 v11, 16
	s_delay_alu instid0(VALU_DEP_3) | instskip(NEXT) | instid1(VALU_DEP_3)
	v_mul_lo_u32 v17, s23, v2
	v_mul_lo_u32 v18, s22, v3
	v_mad_u64_u32 v[4:5], null, s22, v2, 0
	v_dual_mov_b32 v12, 20 :: v_dual_mov_b32 v13, 24
	s_waitcnt lgkmcnt(0)
	s_and_b32 s0, s12, 0xffff
	s_lshl_b32 s12, s15, 8
	v_mad_u32_u24 v15, v7, s0, v6
	v_mov_b32_e32 v14, 28
	s_delay_alu instid0(VALU_DEP_4)
	v_add3_u32 v5, v5, v18, v17
	s_mul_i32 s1, s23, s12
	s_mul_hi_u32 s15, s22, s12
	v_and_b32_e32 v19, 31, v15
	v_lshlrev_b64 v[15:16], 1, v[0:1]
	v_lshlrev_b64 v[17:18], 1, v[4:5]
	s_mov_b32 s13, 0
	s_add_i32 s27, s15, s1
	v_add_co_u32 v2, vcc_lo, v2, v19
	v_add_co_ci_u32_e32 v3, vcc_lo, 0, v3, vcc_lo
	s_delay_alu instid0(VALU_DEP_3) | instskip(SKIP_1) | instid1(VALU_DEP_3)
	v_add_co_u32 v0, vcc_lo, v17, v15
	v_cmp_gt_u32_e64 s0, 8, v19
	v_lshlrev_b64 v[4:5], 2, v[2:3]
	v_add_co_ci_u32_e32 v16, vcc_lo, v18, v16, vcc_lo
	v_mov_b32_e32 v17, 0
	v_mov_b32_e32 v15, 0
	s_mul_i32 s26, s22, s12
	s_lshl_b64 s[24:25], s[12:13], 2
	s_lshl_b64 s[26:27], s[26:27], 1
	;; [unrolled: 1-line block ×3, first 2 shown]
	s_branch .LBB91_7
.LBB91_5:                               ;   in Loop: Header=BB91_7 Depth=1
	s_or_b32 exec_lo, exec_lo, s13
.LBB91_6:                               ;   in Loop: Header=BB91_7 Depth=1
	s_delay_alu instid0(SALU_CYCLE_1) | instskip(SKIP_4) | instid1(VALU_DEP_4)
	s_or_b32 exec_lo, exec_lo, s1
	v_add_co_u32 v20, vcc_lo, s4, v0
	v_add_co_ci_u32_e32 v21, vcc_lo, s5, v16, vcc_lo
	v_add_co_u32 v22, vcc_lo, s6, v0
	v_add_co_ci_u32_e32 v23, vcc_lo, s7, v16, vcc_lo
	v_add_co_u32 v24, vcc_lo, v20, s22
	s_delay_alu instid0(VALU_DEP_4) | instskip(NEXT) | instid1(VALU_DEP_4)
	v_add_co_ci_u32_e32 v25, vcc_lo, s23, v21, vcc_lo
	v_add_co_u32 v26, vcc_lo, v22, s22
	s_delay_alu instid0(VALU_DEP_4) | instskip(NEXT) | instid1(VALU_DEP_4)
	v_add_co_ci_u32_e32 v27, vcc_lo, s23, v23, vcc_lo
	v_add_co_u32 v28, vcc_lo, v24, s22
	s_delay_alu instid0(VALU_DEP_4)
	v_add_co_ci_u32_e32 v29, vcc_lo, s23, v25, vcc_lo
	global_load_u16 v30, v[20:21], off
	global_load_u16 v31, v[22:23], off
	;; [unrolled: 1-line block ×5, first 2 shown]
	v_add_co_u32 v20, vcc_lo, v26, s22
	v_add_co_ci_u32_e32 v21, vcc_lo, s23, v27, vcc_lo
	v_add_co_u32 v22, vcc_lo, v28, s22
	v_add_co_ci_u32_e32 v23, vcc_lo, s23, v29, vcc_lo
	s_delay_alu instid0(VALU_DEP_4) | instskip(NEXT) | instid1(VALU_DEP_4)
	v_add_co_u32 v24, vcc_lo, v20, s22
	v_add_co_ci_u32_e32 v25, vcc_lo, s23, v21, vcc_lo
	s_delay_alu instid0(VALU_DEP_4) | instskip(NEXT) | instid1(VALU_DEP_4)
	;; [unrolled: 3-line block ×3, first 2 shown]
	v_add_co_u32 v28, vcc_lo, v24, s22
	v_add_co_ci_u32_e32 v29, vcc_lo, s23, v25, vcc_lo
	global_load_u16 v35, v[20:21], off
	global_load_u16 v36, v[22:23], off
	;; [unrolled: 1-line block ×5, first 2 shown]
	v_add_co_u32 v20, vcc_lo, v26, s22
	v_add_co_ci_u32_e32 v21, vcc_lo, s23, v27, vcc_lo
	v_add_co_u32 v22, vcc_lo, v28, s22
	v_add_co_ci_u32_e32 v23, vcc_lo, s23, v29, vcc_lo
	s_delay_alu instid0(VALU_DEP_4) | instskip(NEXT) | instid1(VALU_DEP_4)
	v_add_co_u32 v24, vcc_lo, v20, s22
	v_add_co_ci_u32_e32 v25, vcc_lo, s23, v21, vcc_lo
	s_delay_alu instid0(VALU_DEP_4) | instskip(NEXT) | instid1(VALU_DEP_4)
	v_add_co_u32 v26, vcc_lo, v22, s22
	v_add_co_ci_u32_e32 v27, vcc_lo, s23, v23, vcc_lo
	global_load_u16 v28, v[20:21], off
	global_load_u16 v29, v[22:23], off
	;; [unrolled: 1-line block ×4, first 2 shown]
	v_add_co_u32 v20, vcc_lo, v26, s22
	v_add_co_ci_u32_e32 v21, vcc_lo, s23, v27, vcc_lo
	v_add_co_u32 v22, vcc_lo, v24, s22
	v_add_co_ci_u32_e32 v23, vcc_lo, s23, v25, vcc_lo
	global_load_u16 v20, v[20:21], off
	global_load_u16 v21, v[22:23], off
	s_waitcnt vmcnt(17)
	ds_bpermute_b32 v22, v1, v18
	ds_bpermute_b32 v25, v8, v18
	s_waitcnt vmcnt(16)
	ds_bpermute_b32 v23, v1, v19
	ds_bpermute_b32 v27, v9, v18
	ds_bpermute_b32 v24, v8, v19
	ds_bpermute_b32 v43, v10, v18
	ds_bpermute_b32 v26, v9, v19
	ds_bpermute_b32 v45, v11, v18
	ds_bpermute_b32 v47, v12, v18
	ds_bpermute_b32 v49, v13, v18
	ds_bpermute_b32 v18, v14, v18
	ds_bpermute_b32 v42, v10, v19
	ds_bpermute_b32 v44, v11, v19
	ds_bpermute_b32 v46, v12, v19
	ds_bpermute_b32 v48, v13, v19
	ds_bpermute_b32 v19, v14, v19
	v_add_co_u32 v4, vcc_lo, v4, s24
	s_add_u32 s2, s2, s12
	v_add_co_ci_u32_e32 v5, vcc_lo, s25, v5, vcc_lo
	s_addc_u32 s3, s3, 0
	v_add_co_u32 v2, vcc_lo, v2, s12
	v_add_co_ci_u32_e32 v3, vcc_lo, 0, v3, vcc_lo
	v_cmp_lt_i64_e64 s1, s[2:3], s[20:21]
	v_add_co_u32 v0, vcc_lo, v0, s26
	v_add_co_ci_u32_e32 v16, vcc_lo, s27, v16, vcc_lo
	s_delay_alu instid0(VALU_DEP_3)
	s_and_b32 vcc_lo, exec_lo, s1
	s_waitcnt vmcnt(15)
	v_cvt_f32_f16_e32 v30, v30
	s_waitcnt vmcnt(14)
	v_cvt_f32_f16_e32 v31, v31
	;; [unrolled: 2-line block ×3, first 2 shown]
	s_waitcnt lgkmcnt(15)
	s_delay_alu instid0(VALU_DEP_2)
	v_sub_f32_e32 v22, v31, v22
	v_cvt_f32_f16_e32 v31, v32
	s_waitcnt lgkmcnt(14)
	v_sub_f32_e32 v25, v33, v25
	s_waitcnt vmcnt(10)
	v_cvt_f32_f16_e32 v32, v35
	v_mul_f32_e32 v22, v22, v30
	s_waitcnt lgkmcnt(13)
	s_delay_alu instid0(VALU_DEP_1)
	v_fmac_f32_e32 v15, v22, v23
	v_mul_f32_e32 v22, v25, v31
	s_waitcnt lgkmcnt(12)
	v_sub_f32_e32 v23, v32, v27
	s_waitcnt vmcnt(8)
	v_cvt_f32_f16_e32 v25, v37
	v_cvt_f32_f16_e32 v27, v36
	v_add_f32_e32 v17, v17, v30
	v_cvt_f32_f16_e32 v30, v34
	s_waitcnt lgkmcnt(11)
	v_fmac_f32_e32 v15, v22, v24
	s_waitcnt vmcnt(6)
	v_cvt_f32_f16_e32 v24, v39
	v_mul_f32_e32 v22, v23, v30
	s_waitcnt lgkmcnt(9)
	s_delay_alu instid0(VALU_DEP_1)
	v_fmac_f32_e32 v15, v22, v26
	s_waitcnt vmcnt(5)
	v_cvt_f32_f16_e32 v26, v28
	s_waitcnt vmcnt(1)
	v_cvt_f32_f16_e32 v20, v20
	v_sub_f32_e32 v23, v25, v43
	v_cvt_f32_f16_e32 v25, v38
	s_waitcnt vmcnt(0)
	v_cvt_f32_f16_e32 v21, v21
	s_waitcnt lgkmcnt(5)
	v_sub_f32_e32 v18, v20, v18
	v_dual_mul_f32 v22, v23, v27 :: v_dual_sub_f32 v23, v24, v45
	v_cvt_f32_f16_e32 v24, v29
	s_delay_alu instid0(VALU_DEP_3) | instskip(SKIP_1) | instid1(VALU_DEP_3)
	v_dual_add_f32 v17, v17, v31 :: v_dual_mul_f32 v18, v18, v21
	s_waitcnt lgkmcnt(4)
	v_dual_fmac_f32 v15, v22, v42 :: v_dual_mul_f32 v22, v23, v25
	s_delay_alu instid0(VALU_DEP_3) | instskip(SKIP_2) | instid1(VALU_DEP_2)
	v_sub_f32_e32 v23, v24, v47
	v_cvt_f32_f16_e32 v24, v41
	s_waitcnt lgkmcnt(3)
	v_dual_fmac_f32 v15, v22, v44 :: v_dual_mul_f32 v22, v23, v26
	s_delay_alu instid0(VALU_DEP_2) | instskip(SKIP_2) | instid1(VALU_DEP_3)
	v_sub_f32_e32 v23, v24, v49
	v_add_f32_e32 v17, v17, v30
	s_waitcnt lgkmcnt(2)
	v_fmac_f32_e32 v15, v22, v46
	s_delay_alu instid0(VALU_DEP_2) | instskip(NEXT) | instid1(VALU_DEP_1)
	v_add_f32_e32 v17, v17, v27
	v_add_f32_e32 v17, v17, v25
	v_cvt_f32_f16_e32 v25, v40
	s_delay_alu instid0(VALU_DEP_1) | instskip(NEXT) | instid1(VALU_DEP_1)
	v_dual_add_f32 v17, v17, v26 :: v_dual_mul_f32 v22, v23, v25
	v_add_f32_e32 v17, v17, v25
	s_waitcnt lgkmcnt(1)
	s_delay_alu instid0(VALU_DEP_2) | instskip(NEXT) | instid1(VALU_DEP_2)
	v_fmac_f32_e32 v15, v22, v48
	v_add_f32_e32 v17, v17, v21
	s_waitcnt lgkmcnt(0)
	s_delay_alu instid0(VALU_DEP_2)
	v_fmac_f32_e32 v15, v18, v19
	s_cbranch_vccz .LBB91_10
.LBB91_7:                               ; =>This Inner Loop Header: Depth=1
	v_dual_mov_b32 v19, 0 :: v_dual_mov_b32 v18, 0
	s_and_saveexec_b32 s1, s0
	s_cbranch_execz .LBB91_6
; %bb.8:                                ;   in Loop: Header=BB91_7 Depth=1
	v_dual_mov_b32 v18, 0 :: v_dual_mov_b32 v19, 0
	s_mov_b32 s13, exec_lo
	v_cmpx_gt_i64_e64 s[20:21], v[2:3]
	s_cbranch_execz .LBB91_5
; %bb.9:                                ;   in Loop: Header=BB91_7 Depth=1
	v_add_co_u32 v18, vcc_lo, s8, v4
	v_add_co_ci_u32_e32 v19, vcc_lo, s9, v5, vcc_lo
	v_add_co_u32 v20, vcc_lo, s10, v4
	v_add_co_ci_u32_e32 v21, vcc_lo, s11, v5, vcc_lo
	global_load_b32 v18, v[18:19], off
	global_load_b32 v19, v[20:21], off
	s_branch .LBB91_5
.LBB91_10:
	v_mov_b32_e32 v1, v7
.LBB91_11:
	s_delay_alu instid0(VALU_DEP_2) | instskip(NEXT) | instid1(VALU_DEP_2)
	v_lshrrev_b32_e32 v0, 5, v6
	v_mad_u32_u24 v2, v1, 33, v6
	s_mov_b32 s0, exec_lo
	s_delay_alu instid0(VALU_DEP_2) | instskip(NEXT) | instid1(VALU_DEP_2)
	v_add_nc_u32_e32 v0, v0, v1
	v_lshl_add_u32 v1, v2, 2, 0
	ds_store_b32 v1, v15
	ds_store_b32 v1, v17 offset:4224
	s_waitcnt lgkmcnt(0)
	s_barrier
	buffer_gl0_inv
	v_cmpx_gt_u32_e32 32, v0
	s_cbranch_execz .LBB91_17
; %bb.12:
	v_mbcnt_lo_u32_b32 v2, -1, 0
	s_delay_alu instid0(VALU_DEP_1) | instskip(SKIP_1) | instid1(VALU_DEP_2)
	v_xor_b32_e32 v4, 16, v2
	v_xor_b32_e32 v7, 8, v2
	v_cmp_gt_i32_e32 vcc_lo, 32, v4
	v_dual_cndmask_b32 v4, v2, v4 :: v_dual_and_b32 v1, 31, v6
	s_delay_alu instid0(VALU_DEP_1) | instskip(NEXT) | instid1(VALU_DEP_4)
	v_mad_u32_u24 v1, v1, 33, v0
	v_cmp_gt_i32_e32 vcc_lo, 32, v7
	s_delay_alu instid0(VALU_DEP_3) | instskip(NEXT) | instid1(VALU_DEP_3)
	v_lshlrev_b32_e32 v4, 2, v4
	v_lshl_add_u32 v1, v1, 2, 0
	v_cndmask_b32_e32 v7, v2, v7, vcc_lo
	ds_load_b32 v3, v1
	ds_load_b32 v1, v1 offset:4224
	v_lshlrev_b32_e32 v7, 2, v7
	s_waitcnt lgkmcnt(1)
	ds_bpermute_b32 v5, v4, v3
	s_waitcnt lgkmcnt(1)
	ds_bpermute_b32 v4, v4, v1
	s_waitcnt lgkmcnt(1)
	v_add_f32_e32 v3, v3, v5
	s_waitcnt lgkmcnt(0)
	v_add_f32_e32 v1, v1, v4
	ds_bpermute_b32 v4, v7, v3
	ds_bpermute_b32 v5, v7, v1
	v_xor_b32_e32 v7, 4, v2
	s_delay_alu instid0(VALU_DEP_1) | instskip(SKIP_1) | instid1(VALU_DEP_1)
	v_cmp_gt_i32_e32 vcc_lo, 32, v7
	v_cndmask_b32_e32 v7, v2, v7, vcc_lo
	v_lshlrev_b32_e32 v7, 2, v7
	s_waitcnt lgkmcnt(1)
	v_add_f32_e32 v3, v3, v4
	s_waitcnt lgkmcnt(0)
	v_add_f32_e32 v1, v1, v5
	ds_bpermute_b32 v4, v7, v3
	ds_bpermute_b32 v5, v7, v1
	v_xor_b32_e32 v7, 2, v2
	s_delay_alu instid0(VALU_DEP_1) | instskip(SKIP_1) | instid1(VALU_DEP_1)
	v_cmp_gt_i32_e32 vcc_lo, 32, v7
	v_cndmask_b32_e32 v7, v2, v7, vcc_lo
	v_lshlrev_b32_e32 v7, 2, v7
	s_waitcnt lgkmcnt(1)
	v_add_f32_e32 v3, v3, v4
	s_waitcnt lgkmcnt(0)
	v_add_f32_e32 v1, v1, v5
	ds_bpermute_b32 v4, v7, v3
	ds_bpermute_b32 v5, v7, v1
	v_xor_b32_e32 v7, 1, v2
	s_delay_alu instid0(VALU_DEP_1) | instskip(SKIP_3) | instid1(VALU_DEP_2)
	v_cmp_gt_i32_e32 vcc_lo, 32, v7
	v_cndmask_b32_e32 v2, v2, v7, vcc_lo
	v_cmp_eq_u32_e32 vcc_lo, 0, v6
	s_waitcnt lgkmcnt(1)
	v_dual_add_f32 v4, v3, v4 :: v_dual_lshlrev_b32 v7, 2, v2
	s_waitcnt lgkmcnt(0)
	v_add_f32_e32 v2, v1, v5
	ds_bpermute_b32 v5, v7, v4
	ds_bpermute_b32 v3, v7, v2
	s_and_b32 exec_lo, exec_lo, vcc_lo
	s_cbranch_execz .LBB91_17
; %bb.13:
	s_mov_b32 s15, 0
	s_delay_alu instid0(SALU_CYCLE_1) | instskip(SKIP_3) | instid1(VALU_DEP_1)
	s_lshl_b64 s[0:1], s[14:15], 5
	s_cmp_eq_u64 s[16:17], 0
	v_or_b32_e32 v0, s0, v0
	v_mov_b32_e32 v1, s1
	v_lshlrev_b64 v[0:1], 1, v[0:1]
	s_cbranch_scc1 .LBB91_15
; %bb.14:
	s_waitcnt lgkmcnt(1)
	v_add_f32_e32 v6, v4, v5
	s_delay_alu instid0(VALU_DEP_2) | instskip(NEXT) | instid1(VALU_DEP_3)
	v_add_co_u32 v4, vcc_lo, s16, v0
	v_add_co_ci_u32_e32 v5, vcc_lo, s17, v1, vcc_lo
	s_delay_alu instid0(VALU_DEP_3)
	v_cvt_f16_f32_e32 v6, v6
	global_store_b16 v[4:5], v6, off
.LBB91_15:
	s_cmp_eq_u64 s[18:19], 0
	s_cbranch_scc1 .LBB91_17
; %bb.16:
	s_waitcnt lgkmcnt(0)
	v_add_f32_e32 v2, v2, v3
	v_add_co_u32 v0, vcc_lo, s18, v0
	v_add_co_ci_u32_e32 v1, vcc_lo, s19, v1, vcc_lo
	s_delay_alu instid0(VALU_DEP_3)
	v_cvt_f16_f32_e32 v2, v2
	global_store_b16 v[0:1], v2, off
.LBB91_17:
	s_nop 0
	s_sendmsg sendmsg(MSG_DEALLOC_VGPRS)
	s_endpgm
	.section	.rodata,"a",@progbits
	.p2align	6, 0x0
	.amdhsa_kernel _ZN2at6native12_GLOBAL__N_135GammaBetaBackwardCUDAKernelTemplateIN3c104HalfEfLj32ELj32ELj256ELb0ELb1ELb0EEEvllPKT_S7_PKT0_SA_PS5_SB_
		.amdhsa_group_segment_fixed_size 0
		.amdhsa_private_segment_fixed_size 0
		.amdhsa_kernarg_size 320
		.amdhsa_user_sgpr_count 14
		.amdhsa_user_sgpr_dispatch_ptr 0
		.amdhsa_user_sgpr_queue_ptr 0
		.amdhsa_user_sgpr_kernarg_segment_ptr 1
		.amdhsa_user_sgpr_dispatch_id 0
		.amdhsa_user_sgpr_private_segment_size 0
		.amdhsa_wavefront_size32 1
		.amdhsa_uses_dynamic_stack 0
		.amdhsa_enable_private_segment 0
		.amdhsa_system_sgpr_workgroup_id_x 1
		.amdhsa_system_sgpr_workgroup_id_y 1
		.amdhsa_system_sgpr_workgroup_id_z 0
		.amdhsa_system_sgpr_workgroup_info 0
		.amdhsa_system_vgpr_workitem_id 1
		.amdhsa_next_free_vgpr 50
		.amdhsa_next_free_sgpr 28
		.amdhsa_reserve_vcc 1
		.amdhsa_float_round_mode_32 0
		.amdhsa_float_round_mode_16_64 0
		.amdhsa_float_denorm_mode_32 3
		.amdhsa_float_denorm_mode_16_64 3
		.amdhsa_dx10_clamp 1
		.amdhsa_ieee_mode 1
		.amdhsa_fp16_overflow 0
		.amdhsa_workgroup_processor_mode 1
		.amdhsa_memory_ordered 1
		.amdhsa_forward_progress 0
		.amdhsa_shared_vgpr_count 0
		.amdhsa_exception_fp_ieee_invalid_op 0
		.amdhsa_exception_fp_denorm_src 0
		.amdhsa_exception_fp_ieee_div_zero 0
		.amdhsa_exception_fp_ieee_overflow 0
		.amdhsa_exception_fp_ieee_underflow 0
		.amdhsa_exception_fp_ieee_inexact 0
		.amdhsa_exception_int_div_zero 0
	.end_amdhsa_kernel
	.section	.text._ZN2at6native12_GLOBAL__N_135GammaBetaBackwardCUDAKernelTemplateIN3c104HalfEfLj32ELj32ELj256ELb0ELb1ELb0EEEvllPKT_S7_PKT0_SA_PS5_SB_,"axG",@progbits,_ZN2at6native12_GLOBAL__N_135GammaBetaBackwardCUDAKernelTemplateIN3c104HalfEfLj32ELj32ELj256ELb0ELb1ELb0EEEvllPKT_S7_PKT0_SA_PS5_SB_,comdat
.Lfunc_end91:
	.size	_ZN2at6native12_GLOBAL__N_135GammaBetaBackwardCUDAKernelTemplateIN3c104HalfEfLj32ELj32ELj256ELb0ELb1ELb0EEEvllPKT_S7_PKT0_SA_PS5_SB_, .Lfunc_end91-_ZN2at6native12_GLOBAL__N_135GammaBetaBackwardCUDAKernelTemplateIN3c104HalfEfLj32ELj32ELj256ELb0ELb1ELb0EEEvllPKT_S7_PKT0_SA_PS5_SB_
                                        ; -- End function
	.section	.AMDGPU.csdata,"",@progbits
; Kernel info:
; codeLenInByte = 1856
; NumSgprs: 30
; NumVgprs: 50
; ScratchSize: 0
; MemoryBound: 0
; FloatMode: 240
; IeeeMode: 1
; LDSByteSize: 0 bytes/workgroup (compile time only)
; SGPRBlocks: 3
; VGPRBlocks: 6
; NumSGPRsForWavesPerEU: 30
; NumVGPRsForWavesPerEU: 50
; Occupancy: 16
; WaveLimiterHint : 0
; COMPUTE_PGM_RSRC2:SCRATCH_EN: 0
; COMPUTE_PGM_RSRC2:USER_SGPR: 14
; COMPUTE_PGM_RSRC2:TRAP_HANDLER: 0
; COMPUTE_PGM_RSRC2:TGID_X_EN: 1
; COMPUTE_PGM_RSRC2:TGID_Y_EN: 1
; COMPUTE_PGM_RSRC2:TGID_Z_EN: 0
; COMPUTE_PGM_RSRC2:TIDIG_COMP_CNT: 1
	.section	.text._ZN2at6native12_GLOBAL__N_135GammaBetaBackwardCUDAKernelTemplateIN3c104HalfEfLj32ELj32ELj256ELb0ELb0ELb0EEEvllPKT_S7_PKT0_SA_PS5_SB_,"axG",@progbits,_ZN2at6native12_GLOBAL__N_135GammaBetaBackwardCUDAKernelTemplateIN3c104HalfEfLj32ELj32ELj256ELb0ELb0ELb0EEEvllPKT_S7_PKT0_SA_PS5_SB_,comdat
	.globl	_ZN2at6native12_GLOBAL__N_135GammaBetaBackwardCUDAKernelTemplateIN3c104HalfEfLj32ELj32ELj256ELb0ELb0ELb0EEEvllPKT_S7_PKT0_SA_PS5_SB_ ; -- Begin function _ZN2at6native12_GLOBAL__N_135GammaBetaBackwardCUDAKernelTemplateIN3c104HalfEfLj32ELj32ELj256ELb0ELb0ELb0EEEvllPKT_S7_PKT0_SA_PS5_SB_
	.p2align	8
	.type	_ZN2at6native12_GLOBAL__N_135GammaBetaBackwardCUDAKernelTemplateIN3c104HalfEfLj32ELj32ELj256ELb0ELb0ELb0EEEvllPKT_S7_PKT0_SA_PS5_SB_,@function
_ZN2at6native12_GLOBAL__N_135GammaBetaBackwardCUDAKernelTemplateIN3c104HalfEfLj32ELj32ELj256ELb0ELb0ELb0EEEvllPKT_S7_PKT0_SA_PS5_SB_: ; @_ZN2at6native12_GLOBAL__N_135GammaBetaBackwardCUDAKernelTemplateIN3c104HalfEfLj32ELj32ELj256ELb0ELb0ELb0EEEvllPKT_S7_PKT0_SA_PS5_SB_
; %bb.0:
	s_clause 0x1
	s_load_b256 s[4:11], s[0:1], 0x0
	s_load_b128 s[24:27], s[0:1], 0x20
	s_mov_b32 s29, 0
	s_lshl_b32 s12, s15, 8
	s_mov_b32 s13, s29
	s_lshl_b32 s33, s14, 5
	s_delay_alu instid0(SALU_CYCLE_1) | instskip(SKIP_3) | instid1(VALU_DEP_2)
	s_or_b32 s28, s33, 31
	s_waitcnt lgkmcnt(0)
	v_cmp_lt_i64_e64 s15, s[12:13], s[4:5]
	v_cmp_ge_i64_e64 s2, s[28:29], s[6:7]
	v_cndmask_b32_e64 v1, 0, 1, s15
	s_delay_alu instid0(VALU_DEP_2) | instskip(NEXT) | instid1(VALU_DEP_1)
	s_and_b32 vcc_lo, exec_lo, s2
	v_cmp_ne_u32_e64 s2, 1, v1
	s_cbranch_vccz .LBB92_49
; %bb.1:
	v_dual_mov_b32 v1, 0 :: v_dual_mov_b32 v58, 0
	s_delay_alu instid0(VALU_DEP_2)
	s_and_b32 vcc_lo, exec_lo, s2
	s_cbranch_vccnz .LBB92_50
; %bb.2:
	v_bfe_u32 v27, v0, 10, 10
	s_load_b32 s3, s[0:1], 0x44
	v_dual_mov_b32 v2, 0 :: v_dual_and_b32 v29, 0x3ff, v0
	s_add_u32 s30, s0, 64
	s_delay_alu instid0(VALU_DEP_2) | instskip(NEXT) | instid1(VALU_DEP_2)
	v_dual_mov_b32 v63, 0 :: v_dual_lshlrev_b32 v28, 3, v27
	v_dual_mov_b32 v58, 0 :: v_dual_add_nc_u32 v1, s33, v29
	s_addc_u32 s31, s1, 0
	s_delay_alu instid0(VALU_DEP_2) | instskip(NEXT) | instid1(VALU_DEP_1)
	v_add_co_u32 v9, s2, v28, s12
	v_add_co_ci_u32_e64 v10, null, 0, 0, s2
	s_delay_alu instid0(VALU_DEP_3) | instskip(NEXT) | instid1(VALU_DEP_3)
	v_cmp_gt_i64_e64 s2, s[6:7], v[1:2]
	v_add_co_u32 v5, vcc_lo, v9, 7
	s_delay_alu instid0(VALU_DEP_3) | instskip(SKIP_1) | instid1(VALU_DEP_3)
	v_add_co_ci_u32_e32 v3, vcc_lo, 0, v10, vcc_lo
	v_add_co_u32 v8, vcc_lo, v9, 6
	v_mul_lo_u32 v6, s7, v5
	s_delay_alu instid0(VALU_DEP_3)
	v_mul_lo_u32 v7, s6, v3
	v_mad_u64_u32 v[3:4], null, s6, v5, 0
	v_add_co_ci_u32_e32 v5, vcc_lo, 0, v10, vcc_lo
	v_lshlrev_b64 v[25:26], 1, v[1:2]
	v_mul_lo_u32 v1, s7, v8
	s_waitcnt lgkmcnt(0)
	s_lshl_b32 s28, s3, 8
	s_mov_b32 s16, 0
	s_delay_alu instid0(VALU_DEP_4) | instskip(SKIP_3) | instid1(VALU_DEP_3)
	v_add3_u32 v4, v4, v7, v6
	v_mul_lo_u32 v7, s6, v5
	v_mad_u64_u32 v[5:6], null, s6, v8, 0
	s_mul_i32 s3, s7, s28
	v_lshlrev_b64 v[3:4], 1, v[3:4]
	s_mul_hi_u32 s17, s6, s28
	s_mul_i32 s18, s6, s28
	s_add_i32 s19, s17, s3
	s_mov_b64 s[38:39], s[12:13]
	s_delay_alu instid0(VALU_DEP_2) | instskip(SKIP_4) | instid1(VALU_DEP_1)
	v_add3_u32 v6, v6, v7, v1
	v_add_co_u32 v30, vcc_lo, s8, v3
	v_add_co_ci_u32_e32 v31, vcc_lo, s9, v4, vcc_lo
	v_add_co_u32 v1, vcc_lo, v9, 5
	v_add_co_u32 v32, s3, s10, v3
	v_add_co_ci_u32_e64 v33, s3, s11, v4, s3
	v_lshlrev_b64 v[3:4], 1, v[5:6]
	v_add_co_ci_u32_e32 v5, vcc_lo, 0, v10, vcc_lo
	v_add_co_u32 v12, vcc_lo, v9, 4
	v_mul_lo_u32 v11, s7, v1
	s_delay_alu instid0(VALU_DEP_3) | instskip(SKIP_4) | instid1(VALU_DEP_3)
	v_mul_lo_u32 v13, s6, v5
	v_mad_u64_u32 v[5:6], null, s6, v1, 0
	v_add_co_ci_u32_e32 v7, vcc_lo, 0, v10, vcc_lo
	v_mul_lo_u32 v1, s7, v12
	v_add_co_u32 v34, vcc_lo, s8, v3
	v_mul_lo_u32 v14, s6, v7
	v_mad_u64_u32 v[7:8], null, s6, v12, 0
	v_add3_u32 v6, v6, v13, v11
	v_add_co_ci_u32_e32 v35, vcc_lo, s9, v4, vcc_lo
	v_add_co_u32 v36, vcc_lo, s10, v3
	v_add_co_ci_u32_e32 v37, vcc_lo, s11, v4, vcc_lo
	s_delay_alu instid0(VALU_DEP_4) | instskip(SKIP_3) | instid1(VALU_DEP_4)
	v_lshlrev_b64 v[3:4], 1, v[5:6]
	v_add3_u32 v8, v8, v14, v1
	v_add_co_u32 v1, vcc_lo, v9, 3
	v_add_co_ci_u32_e32 v11, vcc_lo, 0, v10, vcc_lo
	v_add_co_u32 v38, vcc_lo, s8, v3
	s_delay_alu instid0(VALU_DEP_4)
	v_lshlrev_b64 v[5:6], 1, v[7:8]
	v_add_co_ci_u32_e32 v39, vcc_lo, s9, v4, vcc_lo
	v_mul_lo_u32 v12, s7, v1
	v_mul_lo_u32 v11, s6, v11
	v_mad_u64_u32 v[7:8], null, s6, v1, 0
	v_add_co_u32 v40, vcc_lo, s10, v3
	v_add_co_ci_u32_e32 v41, vcc_lo, s11, v4, vcc_lo
	v_add_co_u32 v42, vcc_lo, s8, v5
	v_add_co_ci_u32_e32 v43, vcc_lo, s9, v6, vcc_lo
	v_add_co_u32 v1, vcc_lo, v9, 2
	v_add3_u32 v8, v8, v11, v12
	v_add_co_ci_u32_e32 v11, vcc_lo, 0, v10, vcc_lo
	v_add_co_u32 v44, vcc_lo, s10, v5
	v_add_co_ci_u32_e32 v45, vcc_lo, s11, v6, vcc_lo
	v_mul_lo_u32 v12, s7, v1
	s_delay_alu instid0(VALU_DEP_4)
	v_mul_lo_u32 v11, s6, v11
	v_mad_u64_u32 v[5:6], null, s6, v1, 0
	v_lshlrev_b64 v[3:4], 1, v[7:8]
	v_mul_lo_u32 v1, s7, v9
	v_mul_lo_u32 v10, s6, v10
	v_mad_u64_u32 v[7:8], null, s6, v9, 0
	s_lshl_b64 s[34:35], s[18:19], 1
	s_delay_alu instid0(VALU_DEP_4)
	v_add_co_u32 v46, vcc_lo, s8, v3
	v_add3_u32 v6, v6, v11, v12
	v_add_co_ci_u32_e32 v47, vcc_lo, s9, v4, vcc_lo
	v_add_co_u32 v48, vcc_lo, s10, v3
	v_add3_u32 v8, v8, v10, v1
	v_add_co_ci_u32_e32 v49, vcc_lo, s11, v4, vcc_lo
	v_lshlrev_b64 v[3:4], 1, v[5:6]
	v_add_co_u32 v5, vcc_lo, v7, s6
	s_delay_alu instid0(VALU_DEP_4) | instskip(SKIP_1) | instid1(VALU_DEP_3)
	v_add_co_ci_u32_e32 v6, vcc_lo, s7, v8, vcc_lo
	s_add_u32 s36, s12, 0xff
	v_add_co_u32 v50, vcc_lo, s8, v3
	s_delay_alu instid0(VALU_DEP_2) | instskip(SKIP_3) | instid1(VALU_DEP_4)
	v_lshlrev_b64 v[5:6], 1, v[5:6]
	v_add_co_ci_u32_e32 v51, vcc_lo, s9, v4, vcc_lo
	v_add_co_u32 v52, vcc_lo, s10, v3
	v_add_co_ci_u32_e32 v53, vcc_lo, s11, v4, vcc_lo
	v_add_co_u32 v54, vcc_lo, s8, v5
	v_lshlrev_b64 v[3:4], 1, v[7:8]
	v_add_co_ci_u32_e32 v55, vcc_lo, s9, v6, vcc_lo
	v_add_co_u32 v56, vcc_lo, s10, v5
	v_add_co_ci_u32_e32 v57, vcc_lo, s11, v6, vcc_lo
	s_delay_alu instid0(VALU_DEP_4)
	v_add_co_u32 v59, vcc_lo, s8, v3
	v_add_co_ci_u32_e32 v60, vcc_lo, s9, v4, vcc_lo
	v_add_co_u32 v61, vcc_lo, s10, v3
	v_add_co_ci_u32_e32 v62, vcc_lo, s11, v4, vcc_lo
	s_addc_u32 s37, 0, 0
.LBB92_3:                               ; =>This Inner Loop Header: Depth=1
	s_delay_alu instid0(SALU_CYCLE_1) | instskip(SKIP_1) | instid1(VALU_DEP_1)
	v_cmp_ge_i64_e64 s3, s[36:37], s[4:5]
	v_add_co_u32 v64, s17, v28, s36
	v_add_co_ci_u32_e64 v65, null, 0, s37, s17
	s_delay_alu instid0(VALU_DEP_3)
	s_and_b32 vcc_lo, exec_lo, s3
	s_cbranch_vccz .LBB92_25
; %bb.4:                                ;   in Loop: Header=BB92_3 Depth=1
	s_load_b32 s3, s[30:31], 0xc
	v_dual_mov_b32 v67, 0 :: v_dual_mov_b32 v66, 0
	s_waitcnt lgkmcnt(0)
	s_and_b32 s3, s3, 0xffff
	s_delay_alu instid0(SALU_CYCLE_1) | instskip(SKIP_1) | instid1(VALU_DEP_1)
	v_mad_u32_u24 v1, v27, s3, v29
	s_mov_b32 s3, exec_lo
	v_and_b32_e32 v1, 31, v1
	s_delay_alu instid0(VALU_DEP_1)
	v_cmpx_gt_u32_e32 8, v1
	s_cbranch_execz .LBB92_8
; %bb.5:                                ;   in Loop: Header=BB92_3 Depth=1
	v_add_co_u32 v1, vcc_lo, v64, v1
	v_add_co_ci_u32_e32 v4, vcc_lo, 0, v65, vcc_lo
	v_dual_mov_b32 v66, 0 :: v_dual_mov_b32 v67, 0
	s_delay_alu instid0(VALU_DEP_3) | instskip(NEXT) | instid1(VALU_DEP_3)
	v_add_co_u32 v3, vcc_lo, 0xffffff01, v1
	v_add_co_ci_u32_e32 v4, vcc_lo, -1, v4, vcc_lo
	s_mov_b32 s17, exec_lo
	s_delay_alu instid0(VALU_DEP_1)
	v_cmpx_gt_i64_e64 s[4:5], v[3:4]
	s_cbranch_execz .LBB92_7
; %bb.6:                                ;   in Loop: Header=BB92_3 Depth=1
	v_lshlrev_b64 v[3:4], 2, v[3:4]
	s_delay_alu instid0(VALU_DEP_1) | instskip(NEXT) | instid1(VALU_DEP_2)
	v_add_co_u32 v5, vcc_lo, s24, v3
	v_add_co_ci_u32_e32 v6, vcc_lo, s25, v4, vcc_lo
	v_add_co_u32 v3, vcc_lo, s26, v3
	v_add_co_ci_u32_e32 v4, vcc_lo, s27, v4, vcc_lo
	global_load_b32 v66, v[5:6], off
	global_load_b32 v67, v[3:4], off
.LBB92_7:                               ;   in Loop: Header=BB92_3 Depth=1
	s_or_b32 exec_lo, exec_lo, s17
.LBB92_8:                               ;   in Loop: Header=BB92_3 Depth=1
	s_delay_alu instid0(SALU_CYCLE_1)
	s_or_b32 exec_lo, exec_lo, s3
	v_add_co_u32 v3, vcc_lo, 0xffffff01, v64
	v_add_co_ci_u32_e32 v4, vcc_lo, -1, v65, vcc_lo
	s_mov_b32 s22, s16
	s_mov_b32 s23, s16
	;; [unrolled: 1-line block ×7, first 2 shown]
	v_dual_mov_b32 v9, s16 :: v_dual_mov_b32 v10, s17
	v_dual_mov_b32 v15, s22 :: v_dual_mov_b32 v16, s23
	;; [unrolled: 1-line block ×4, first 2 shown]
	v_cmp_gt_i64_e32 vcc_lo, s[4:5], v[3:4]
	s_delay_alu instid0(VALU_DEP_4) | instskip(NEXT) | instid1(VALU_DEP_3)
	v_dual_mov_b32 v24, v16 :: v_dual_mov_b32 v23, v15
	v_dual_mov_b32 v21, v13 :: v_dual_mov_b32 v22, v14
	;; [unrolled: 1-line block ×4, first 2 shown]
	s_and_b32 s17, s2, vcc_lo
	s_delay_alu instid0(SALU_CYCLE_1)
	s_and_saveexec_b32 s3, s17
	s_cbranch_execz .LBB92_10
; %bb.9:                                ;   in Loop: Header=BB92_3 Depth=1
	v_add_co_u32 v3, vcc_lo, v59, v25
	v_add_co_ci_u32_e32 v4, vcc_lo, v60, v26, vcc_lo
	v_add_co_u32 v5, vcc_lo, v61, v25
	v_add_co_ci_u32_e32 v6, vcc_lo, v62, v26, vcc_lo
	v_mov_b32_e32 v8, v2
	global_load_u16 v1, v[3:4], off
	global_load_u16 v9, v[5:6], off
	v_mov_b32_e32 v3, v2
	v_mov_b32_e32 v4, v2
	;; [unrolled: 1-line block ×6, first 2 shown]
	s_waitcnt vmcnt(1)
	v_cvt_f32_f16_e32 v1, v1
	v_dual_mov_b32 v11, v2 :: v_dual_mov_b32 v24, v8
	v_dual_mov_b32 v10, v2 :: v_dual_mov_b32 v23, v7
	s_waitcnt vmcnt(0)
	v_cvt_f32_f16_e32 v9, v9
	v_dual_mov_b32 v12, v2 :: v_dual_mov_b32 v21, v5
	v_dual_mov_b32 v13, v2 :: v_dual_mov_b32 v20, v4
	;; [unrolled: 1-line block ×4, first 2 shown]
	v_mov_b32_e32 v22, v6
	v_mov_b32_e32 v18, v2
.LBB92_10:                              ;   in Loop: Header=BB92_3 Depth=1
	s_or_b32 exec_lo, exec_lo, s3
	v_add_co_u32 v3, vcc_lo, 0xffffff02, v64
	v_add_co_ci_u32_e32 v4, vcc_lo, -1, v65, vcc_lo
	s_delay_alu instid0(VALU_DEP_1) | instskip(SKIP_1) | instid1(SALU_CYCLE_1)
	v_cmp_gt_i64_e32 vcc_lo, s[4:5], v[3:4]
	s_and_b32 s17, s2, vcc_lo
	s_and_saveexec_b32 s3, s17
	s_cbranch_execz .LBB92_12
; %bb.11:                               ;   in Loop: Header=BB92_3 Depth=1
	v_add_co_u32 v3, vcc_lo, v54, v25
	v_add_co_ci_u32_e32 v4, vcc_lo, v55, v26, vcc_lo
	v_add_co_u32 v5, vcc_lo, v56, v25
	v_add_co_ci_u32_e32 v6, vcc_lo, v57, v26, vcc_lo
	global_load_u16 v1, v[3:4], off
	global_load_u16 v3, v[5:6], off
	s_waitcnt vmcnt(1)
	v_cvt_f32_f16_e32 v18, v1
	s_waitcnt vmcnt(0)
	v_cvt_f32_f16_e32 v10, v3
.LBB92_12:                              ;   in Loop: Header=BB92_3 Depth=1
	s_or_b32 exec_lo, exec_lo, s3
	v_add_co_u32 v3, vcc_lo, 0xffffff03, v64
	v_add_co_ci_u32_e32 v4, vcc_lo, -1, v65, vcc_lo
	s_delay_alu instid0(VALU_DEP_1) | instskip(SKIP_1) | instid1(SALU_CYCLE_1)
	v_cmp_gt_i64_e32 vcc_lo, s[4:5], v[3:4]
	s_and_b32 s17, s2, vcc_lo
	s_and_saveexec_b32 s3, s17
	s_cbranch_execz .LBB92_14
; %bb.13:                               ;   in Loop: Header=BB92_3 Depth=1
	v_add_co_u32 v3, vcc_lo, v50, v25
	v_add_co_ci_u32_e32 v4, vcc_lo, v51, v26, vcc_lo
	v_add_co_u32 v5, vcc_lo, v52, v25
	v_add_co_ci_u32_e32 v6, vcc_lo, v53, v26, vcc_lo
	global_load_u16 v1, v[3:4], off
	global_load_u16 v3, v[5:6], off
	s_waitcnt vmcnt(1)
	v_cvt_f32_f16_e32 v19, v1
	s_waitcnt vmcnt(0)
	v_cvt_f32_f16_e32 v11, v3
.LBB92_14:                              ;   in Loop: Header=BB92_3 Depth=1
	;; [unrolled: 20-line block ×7, first 2 shown]
	s_or_b32 exec_lo, exec_lo, s3
	s_waitcnt vmcnt(1)
	ds_bpermute_b32 v1, v2, v66
	ds_bpermute_b32 v3, v2, v66 offset:4
	ds_bpermute_b32 v4, v2, v66 offset:8
	;; [unrolled: 1-line block ×3, first 2 shown]
	s_waitcnt vmcnt(0)
	ds_bpermute_b32 v5, v2, v67
	ds_bpermute_b32 v7, v2, v67 offset:4
	ds_bpermute_b32 v8, v2, v66 offset:16
	;; [unrolled: 1-line block ×5, first 2 shown]
	s_waitcnt lgkmcnt(9)
	v_sub_f32_e32 v1, v9, v1
	s_waitcnt lgkmcnt(7)
	v_dual_add_f32 v9, v58, v17 :: v_dual_sub_f32 v4, v11, v4
	s_waitcnt lgkmcnt(6)
	v_dual_sub_f32 v6, v12, v6 :: v_dual_sub_f32 v3, v10, v3
	v_mul_f32_e32 v1, v17, v1
	ds_bpermute_b32 v10, v2, v67 offset:16
	ds_bpermute_b32 v17, v2, v66 offset:24
	v_mul_f32_e32 v6, v20, v6
	v_dual_mul_f32 v4, v19, v4 :: v_dual_mul_f32 v3, v18, v3
	s_waitcnt lgkmcnt(5)
	v_sub_f32_e32 v8, v13, v8
	v_fma_f32 v1, v1, v5, v63
	ds_bpermute_b32 v5, v2, v67 offset:20
	ds_bpermute_b32 v11, v2, v67 offset:24
	v_dual_mul_f32 v8, v21, v8 :: v_dual_fmac_f32 v1, v3, v7
	v_add_f32_e32 v7, v18, v9
	ds_bpermute_b32 v3, v2, v67 offset:28
	s_waitcnt lgkmcnt(7)
	v_fmac_f32_e32 v1, v4, v68
	v_add_f32_e32 v7, v19, v7
	ds_bpermute_b32 v4, v2, v66 offset:28
	s_waitcnt lgkmcnt(6)
	v_sub_f32_e32 v9, v14, v70
	v_dual_fmac_f32 v1, v6, v69 :: v_dual_add_f32 v6, v20, v7
	s_waitcnt lgkmcnt(4)
	v_sub_f32_e32 v7, v15, v17
	s_delay_alu instid0(VALU_DEP_3) | instskip(NEXT) | instid1(VALU_DEP_3)
	v_mul_f32_e32 v9, v22, v9
	v_fmac_f32_e32 v1, v8, v10
	s_delay_alu instid0(VALU_DEP_3) | instskip(SKIP_1) | instid1(VALU_DEP_2)
	v_dual_add_f32 v6, v21, v6 :: v_dual_mul_f32 v7, v23, v7
	s_waitcnt lgkmcnt(3)
	v_fmac_f32_e32 v1, v9, v5
	s_delay_alu instid0(VALU_DEP_2) | instskip(SKIP_1) | instid1(VALU_DEP_2)
	v_add_f32_e32 v5, v22, v6
	s_waitcnt lgkmcnt(2)
	v_fmac_f32_e32 v1, v7, v11
	s_delay_alu instid0(VALU_DEP_2)
	v_add_f32_e32 v5, v23, v5
	s_branch .LBB92_40
.LBB92_25:                              ;   in Loop: Header=BB92_3 Depth=1
                                        ; implicit-def: $vgpr3
                                        ; implicit-def: $vgpr9_vgpr10_vgpr11_vgpr12_vgpr13_vgpr14_vgpr15_vgpr16
                                        ; implicit-def: $vgpr17_vgpr18_vgpr19_vgpr20_vgpr21_vgpr22_vgpr23_vgpr24
                                        ; implicit-def: $vgpr4
                                        ; implicit-def: $vgpr1
                                        ; implicit-def: $vgpr5
	s_cbranch_execz .LBB92_40
; %bb.26:                               ;   in Loop: Header=BB92_3 Depth=1
	s_load_b32 s3, s[30:31], 0x0
	v_dual_mov_b32 v67, 0 :: v_dual_mov_b32 v66, 0
	s_waitcnt lgkmcnt(0)
	s_cmp_lt_u32 s14, s3
	s_cselect_b32 s3, 12, 18
	s_delay_alu instid0(SALU_CYCLE_1)
	s_add_u32 s18, s30, s3
	s_addc_u32 s19, s31, 0
	s_mov_b32 s3, exec_lo
	global_load_u16 v1, v2, s[18:19]
	s_waitcnt vmcnt(0)
	v_mad_u32_u24 v1, v27, v1, v29
	s_delay_alu instid0(VALU_DEP_1) | instskip(NEXT) | instid1(VALU_DEP_1)
	v_and_b32_e32 v1, 31, v1
	v_cmpx_gt_u32_e32 8, v1
	s_cbranch_execz .LBB92_30
; %bb.27:                               ;   in Loop: Header=BB92_3 Depth=1
	v_add_co_u32 v1, vcc_lo, v64, v1
	v_add_co_ci_u32_e32 v4, vcc_lo, 0, v65, vcc_lo
	v_dual_mov_b32 v66, 0 :: v_dual_mov_b32 v67, 0
	s_delay_alu instid0(VALU_DEP_3) | instskip(NEXT) | instid1(VALU_DEP_3)
	v_add_co_u32 v3, vcc_lo, 0xffffff01, v1
	v_add_co_ci_u32_e32 v4, vcc_lo, -1, v4, vcc_lo
	s_mov_b32 s17, exec_lo
	s_delay_alu instid0(VALU_DEP_1)
	v_cmpx_gt_i64_e64 s[4:5], v[3:4]
	s_cbranch_execz .LBB92_29
; %bb.28:                               ;   in Loop: Header=BB92_3 Depth=1
	v_lshlrev_b64 v[3:4], 2, v[3:4]
	s_delay_alu instid0(VALU_DEP_1) | instskip(NEXT) | instid1(VALU_DEP_2)
	v_add_co_u32 v5, vcc_lo, s24, v3
	v_add_co_ci_u32_e32 v6, vcc_lo, s25, v4, vcc_lo
	v_add_co_u32 v3, vcc_lo, s26, v3
	v_add_co_ci_u32_e32 v4, vcc_lo, s27, v4, vcc_lo
	global_load_b32 v66, v[5:6], off
	global_load_b32 v67, v[3:4], off
.LBB92_29:                              ;   in Loop: Header=BB92_3 Depth=1
	s_or_b32 exec_lo, exec_lo, s17
.LBB92_30:                              ;   in Loop: Header=BB92_3 Depth=1
	s_delay_alu instid0(SALU_CYCLE_1)
	s_or_b32 exec_lo, exec_lo, s3
	s_mov_b32 s22, s16
	s_mov_b32 s23, s16
	;; [unrolled: 1-line block ×7, first 2 shown]
	v_dual_mov_b32 v9, s16 :: v_dual_mov_b32 v10, s17
	v_dual_mov_b32 v15, s22 :: v_dual_mov_b32 v16, s23
	;; [unrolled: 1-line block ×4, first 2 shown]
	s_delay_alu instid0(VALU_DEP_3) | instskip(NEXT) | instid1(VALU_DEP_3)
	v_dual_mov_b32 v24, v16 :: v_dual_mov_b32 v23, v15
	v_dual_mov_b32 v20, v12 :: v_dual_mov_b32 v19, v11
	s_delay_alu instid0(VALU_DEP_3)
	v_dual_mov_b32 v22, v14 :: v_dual_mov_b32 v21, v13
	v_dual_mov_b32 v18, v10 :: v_dual_mov_b32 v17, v9
	s_and_saveexec_b32 s3, s2
	s_cbranch_execnz .LBB92_42
; %bb.31:                               ;   in Loop: Header=BB92_3 Depth=1
	s_or_b32 exec_lo, exec_lo, s3
	s_and_saveexec_b32 s3, s2
	s_cbranch_execnz .LBB92_43
.LBB92_32:                              ;   in Loop: Header=BB92_3 Depth=1
	s_or_b32 exec_lo, exec_lo, s3
	s_and_saveexec_b32 s3, s2
	s_cbranch_execnz .LBB92_44
.LBB92_33:                              ;   in Loop: Header=BB92_3 Depth=1
	s_or_b32 exec_lo, exec_lo, s3
	s_and_saveexec_b32 s3, s2
	s_cbranch_execnz .LBB92_45
.LBB92_34:                              ;   in Loop: Header=BB92_3 Depth=1
	s_or_b32 exec_lo, exec_lo, s3
	s_and_saveexec_b32 s3, s2
	s_cbranch_execnz .LBB92_46
.LBB92_35:                              ;   in Loop: Header=BB92_3 Depth=1
	s_or_b32 exec_lo, exec_lo, s3
	s_and_saveexec_b32 s3, s2
	s_cbranch_execnz .LBB92_47
.LBB92_36:                              ;   in Loop: Header=BB92_3 Depth=1
	s_or_b32 exec_lo, exec_lo, s3
	s_and_saveexec_b32 s3, s2
	s_cbranch_execnz .LBB92_48
.LBB92_37:                              ;   in Loop: Header=BB92_3 Depth=1
	s_or_b32 exec_lo, exec_lo, s3
	s_and_saveexec_b32 s3, s2
	s_cbranch_execz .LBB92_39
.LBB92_38:                              ;   in Loop: Header=BB92_3 Depth=1
	v_add_co_u32 v3, vcc_lo, v30, v25
	v_add_co_ci_u32_e32 v4, vcc_lo, v31, v26, vcc_lo
	v_add_co_u32 v5, vcc_lo, v32, v25
	v_add_co_ci_u32_e32 v6, vcc_lo, v33, v26, vcc_lo
	global_load_u16 v1, v[3:4], off
	global_load_u16 v3, v[5:6], off
	s_waitcnt vmcnt(1)
	v_cvt_f32_f16_e32 v24, v1
	s_waitcnt vmcnt(0)
	v_cvt_f32_f16_e32 v16, v3
.LBB92_39:                              ;   in Loop: Header=BB92_3 Depth=1
	s_or_b32 exec_lo, exec_lo, s3
	s_waitcnt vmcnt(1)
	ds_bpermute_b32 v1, v2, v66
	ds_bpermute_b32 v3, v2, v66 offset:4
	ds_bpermute_b32 v4, v2, v66 offset:8
	;; [unrolled: 1-line block ×3, first 2 shown]
	s_waitcnt vmcnt(0)
	ds_bpermute_b32 v5, v2, v67
	ds_bpermute_b32 v7, v2, v67 offset:4
	ds_bpermute_b32 v8, v2, v66 offset:16
	;; [unrolled: 1-line block ×4, first 2 shown]
	s_waitcnt lgkmcnt(8)
	v_sub_f32_e32 v1, v9, v1
	ds_bpermute_b32 v9, v2, v67 offset:12
	s_waitcnt lgkmcnt(7)
	v_dual_sub_f32 v4, v11, v4 :: v_dual_sub_f32 v3, v10, v3
	s_waitcnt lgkmcnt(6)
	v_dual_sub_f32 v6, v12, v6 :: v_dual_mul_f32 v1, v17, v1
	s_delay_alu instid0(VALU_DEP_2) | instskip(SKIP_1) | instid1(VALU_DEP_2)
	v_dual_mul_f32 v4, v19, v4 :: v_dual_mul_f32 v3, v18, v3
	s_waitcnt lgkmcnt(5)
	v_dual_mul_f32 v6, v20, v6 :: v_dual_fmac_f32 v63, v1, v5
	v_add_f32_e32 v10, v58, v17
	ds_bpermute_b32 v17, v2, v67 offset:16
	ds_bpermute_b32 v1, v2, v66 offset:24
	;; [unrolled: 1-line block ×3, first 2 shown]
	s_waitcnt lgkmcnt(7)
	v_fmac_f32_e32 v63, v3, v7
	v_add_f32_e32 v3, v18, v10
	s_waitcnt lgkmcnt(4)
	v_sub_f32_e32 v11, v14, v65
	s_delay_alu instid0(VALU_DEP_2)
	v_dual_fmac_f32 v63, v4, v64 :: v_dual_add_f32 v10, v19, v3
	v_sub_f32_e32 v7, v13, v8
	ds_bpermute_b32 v8, v2, v67 offset:24
	ds_bpermute_b32 v3, v2, v67 offset:28
	s_waitcnt lgkmcnt(5)
	v_dual_fmac_f32 v63, v6, v9 :: v_dual_add_f32 v6, v20, v10
	v_mul_f32_e32 v7, v21, v7
	v_mul_f32_e32 v9, v22, v11
	ds_bpermute_b32 v4, v2, v66 offset:28
	s_waitcnt lgkmcnt(5)
	v_dual_add_f32 v6, v21, v6 :: v_dual_fmac_f32 v63, v7, v17
	s_waitcnt lgkmcnt(4)
	v_sub_f32_e32 v1, v15, v1
	s_waitcnt lgkmcnt(3)
	s_delay_alu instid0(VALU_DEP_2) | instskip(NEXT) | instid1(VALU_DEP_2)
	v_fmac_f32_e32 v63, v9, v5
	v_mul_f32_e32 v1, v23, v1
	v_add_f32_e32 v5, v22, v6
	s_waitcnt lgkmcnt(2)
	s_delay_alu instid0(VALU_DEP_2) | instskip(NEXT) | instid1(VALU_DEP_2)
	v_fmac_f32_e32 v63, v1, v8
	v_add_f32_e32 v5, v23, v5
	s_delay_alu instid0(VALU_DEP_2)
	v_mov_b32_e32 v1, v63
.LBB92_40:                              ;   in Loop: Header=BB92_3 Depth=1
	v_add_co_u32 v30, vcc_lo, v30, s34
	v_add_co_ci_u32_e32 v31, vcc_lo, s35, v31, vcc_lo
	v_add_co_u32 v32, vcc_lo, v32, s34
	v_add_co_ci_u32_e32 v33, vcc_lo, s35, v33, vcc_lo
	;; [unrolled: 2-line block ×12, first 2 shown]
	v_add_co_u32 v54, vcc_lo, v54, s34
	s_waitcnt lgkmcnt(0)
	v_sub_f32_e32 v4, v16, v4
	v_add_co_ci_u32_e32 v55, vcc_lo, s35, v55, vcc_lo
	v_add_co_u32 v56, vcc_lo, v56, s34
	s_add_u32 s38, s38, s28
	v_add_co_ci_u32_e32 v57, vcc_lo, s35, v57, vcc_lo
	v_mul_f32_e32 v4, v24, v4
	s_addc_u32 s39, s39, 0
	v_add_co_u32 v59, vcc_lo, v59, s34
	v_cmp_lt_i64_e64 s3, s[38:39], s[4:5]
	v_add_co_ci_u32_e32 v60, vcc_lo, s35, v60, vcc_lo
	v_add_co_u32 v61, vcc_lo, v61, s34
	v_dual_add_f32 v58, v5, v24 :: v_dual_fmac_f32 v1, v4, v3
	v_add_co_ci_u32_e32 v62, vcc_lo, s35, v62, vcc_lo
	s_add_u32 s36, s36, s28
	s_addc_u32 s37, s37, 0
	s_and_b32 vcc_lo, exec_lo, s3
	s_cbranch_vccz .LBB92_50
; %bb.41:                               ;   in Loop: Header=BB92_3 Depth=1
	v_mov_b32_e32 v63, v1
	s_branch .LBB92_3
.LBB92_42:                              ;   in Loop: Header=BB92_3 Depth=1
	v_add_co_u32 v3, vcc_lo, v59, v25
	v_add_co_ci_u32_e32 v4, vcc_lo, v60, v26, vcc_lo
	v_add_co_u32 v5, vcc_lo, v61, v25
	v_add_co_ci_u32_e32 v6, vcc_lo, v62, v26, vcc_lo
	v_mov_b32_e32 v8, v2
	global_load_u16 v1, v[3:4], off
	global_load_u16 v9, v[5:6], off
	v_mov_b32_e32 v3, v2
	v_mov_b32_e32 v4, v2
	;; [unrolled: 1-line block ×6, first 2 shown]
	s_waitcnt vmcnt(1)
	v_cvt_f32_f16_e32 v1, v1
	v_dual_mov_b32 v11, v2 :: v_dual_mov_b32 v24, v8
	v_dual_mov_b32 v10, v2 :: v_dual_mov_b32 v23, v7
	s_waitcnt vmcnt(0)
	v_cvt_f32_f16_e32 v9, v9
	v_dual_mov_b32 v12, v2 :: v_dual_mov_b32 v21, v5
	v_dual_mov_b32 v13, v2 :: v_dual_mov_b32 v20, v4
	;; [unrolled: 1-line block ×4, first 2 shown]
	v_mov_b32_e32 v22, v6
	v_mov_b32_e32 v18, v2
	s_or_b32 exec_lo, exec_lo, s3
	s_and_saveexec_b32 s3, s2
	s_cbranch_execz .LBB92_32
.LBB92_43:                              ;   in Loop: Header=BB92_3 Depth=1
	v_add_co_u32 v3, vcc_lo, v54, v25
	v_add_co_ci_u32_e32 v4, vcc_lo, v55, v26, vcc_lo
	v_add_co_u32 v5, vcc_lo, v56, v25
	v_add_co_ci_u32_e32 v6, vcc_lo, v57, v26, vcc_lo
	global_load_u16 v1, v[3:4], off
	global_load_u16 v3, v[5:6], off
	s_waitcnt vmcnt(1)
	v_cvt_f32_f16_e32 v18, v1
	s_waitcnt vmcnt(0)
	v_cvt_f32_f16_e32 v10, v3
	s_or_b32 exec_lo, exec_lo, s3
	s_and_saveexec_b32 s3, s2
	s_cbranch_execz .LBB92_33
.LBB92_44:                              ;   in Loop: Header=BB92_3 Depth=1
	v_add_co_u32 v3, vcc_lo, v50, v25
	v_add_co_ci_u32_e32 v4, vcc_lo, v51, v26, vcc_lo
	v_add_co_u32 v5, vcc_lo, v52, v25
	v_add_co_ci_u32_e32 v6, vcc_lo, v53, v26, vcc_lo
	global_load_u16 v1, v[3:4], off
	global_load_u16 v3, v[5:6], off
	s_waitcnt vmcnt(1)
	v_cvt_f32_f16_e32 v19, v1
	s_waitcnt vmcnt(0)
	v_cvt_f32_f16_e32 v11, v3
	s_or_b32 exec_lo, exec_lo, s3
	s_and_saveexec_b32 s3, s2
	s_cbranch_execz .LBB92_34
.LBB92_45:                              ;   in Loop: Header=BB92_3 Depth=1
	v_add_co_u32 v3, vcc_lo, v46, v25
	v_add_co_ci_u32_e32 v4, vcc_lo, v47, v26, vcc_lo
	v_add_co_u32 v5, vcc_lo, v48, v25
	v_add_co_ci_u32_e32 v6, vcc_lo, v49, v26, vcc_lo
	global_load_u16 v1, v[3:4], off
	global_load_u16 v3, v[5:6], off
	s_waitcnt vmcnt(1)
	v_cvt_f32_f16_e32 v20, v1
	s_waitcnt vmcnt(0)
	v_cvt_f32_f16_e32 v12, v3
	s_or_b32 exec_lo, exec_lo, s3
	s_and_saveexec_b32 s3, s2
	s_cbranch_execz .LBB92_35
.LBB92_46:                              ;   in Loop: Header=BB92_3 Depth=1
	v_add_co_u32 v3, vcc_lo, v42, v25
	v_add_co_ci_u32_e32 v4, vcc_lo, v43, v26, vcc_lo
	v_add_co_u32 v5, vcc_lo, v44, v25
	v_add_co_ci_u32_e32 v6, vcc_lo, v45, v26, vcc_lo
	global_load_u16 v1, v[3:4], off
	global_load_u16 v3, v[5:6], off
	s_waitcnt vmcnt(1)
	v_cvt_f32_f16_e32 v21, v1
	s_waitcnt vmcnt(0)
	v_cvt_f32_f16_e32 v13, v3
	s_or_b32 exec_lo, exec_lo, s3
	s_and_saveexec_b32 s3, s2
	s_cbranch_execz .LBB92_36
.LBB92_47:                              ;   in Loop: Header=BB92_3 Depth=1
	v_add_co_u32 v3, vcc_lo, v38, v25
	v_add_co_ci_u32_e32 v4, vcc_lo, v39, v26, vcc_lo
	v_add_co_u32 v5, vcc_lo, v40, v25
	v_add_co_ci_u32_e32 v6, vcc_lo, v41, v26, vcc_lo
	global_load_u16 v1, v[3:4], off
	global_load_u16 v3, v[5:6], off
	s_waitcnt vmcnt(1)
	v_cvt_f32_f16_e32 v22, v1
	s_waitcnt vmcnt(0)
	v_cvt_f32_f16_e32 v14, v3
	s_or_b32 exec_lo, exec_lo, s3
	s_and_saveexec_b32 s3, s2
	s_cbranch_execz .LBB92_37
.LBB92_48:                              ;   in Loop: Header=BB92_3 Depth=1
	v_add_co_u32 v3, vcc_lo, v34, v25
	v_add_co_ci_u32_e32 v4, vcc_lo, v35, v26, vcc_lo
	v_add_co_u32 v5, vcc_lo, v36, v25
	v_add_co_ci_u32_e32 v6, vcc_lo, v37, v26, vcc_lo
	global_load_u16 v1, v[3:4], off
	global_load_u16 v3, v[5:6], off
	s_waitcnt vmcnt(1)
	v_cvt_f32_f16_e32 v23, v1
	s_waitcnt vmcnt(0)
	v_cvt_f32_f16_e32 v15, v3
	s_or_b32 exec_lo, exec_lo, s3
	s_and_saveexec_b32 s3, s2
	s_cbranch_execnz .LBB92_38
	s_branch .LBB92_39
.LBB92_49:
	s_mov_b32 s29, -1
                                        ; implicit-def: $vgpr1
                                        ; implicit-def: $vgpr58
.LBB92_50:
	s_delay_alu instid0(SALU_CYCLE_1)
	s_and_not1_b32 vcc_lo, exec_lo, s29
	s_cbranch_vccnz .LBB92_83
; %bb.51:
	v_dual_mov_b32 v1, 0 :: v_dual_mov_b32 v58, 0
	s_and_not1_b32 vcc_lo, exec_lo, s15
	s_mov_b32 s16, 0
	s_cbranch_vccnz .LBB92_83
; %bb.52:
	s_load_b32 s2, s[0:1], 0x44
	v_dual_mov_b32 v2, 0 :: v_dual_and_b32 v55, 0x3ff, v0
	v_bfe_u32 v56, v0, 10, 10
	s_add_u32 s28, s0, 64
	s_addc_u32 s29, s1, 0
	s_delay_alu instid0(VALU_DEP_2) | instskip(NEXT) | instid1(VALU_DEP_2)
	v_dual_mov_b32 v92, 0 :: v_dual_add_nc_u32 v1, s33, v55
	v_lshlrev_b32_e32 v3, 4, v56
	v_lshlrev_b32_e32 v57, 3, v56
	v_mov_b32_e32 v91, 0
	s_delay_alu instid0(VALU_DEP_4)
	v_lshlrev_b64 v[25:26], 1, v[1:2]
	s_waitcnt lgkmcnt(0)
	s_lshl_b32 s15, s2, 8
	s_add_u32 s30, s12, 0xff
	s_addc_u32 s31, 0, 0
	s_lshl_b64 s[2:3], s[12:13], 1
	s_mul_i32 s17, s7, s15
	v_add_co_u32 v1, s2, v3, s2
	s_delay_alu instid0(VALU_DEP_1) | instskip(SKIP_1) | instid1(VALU_DEP_3)
	v_add_co_ci_u32_e64 v3, null, 0, s3, s2
	v_add_co_u32 v58, s3, v57, s12
	v_add_co_u32 v7, vcc_lo, v1, 2
	s_delay_alu instid0(VALU_DEP_3) | instskip(SKIP_3) | instid1(VALU_DEP_4)
	v_add_co_ci_u32_e32 v4, vcc_lo, 0, v3, vcc_lo
	v_add_co_u32 v8, vcc_lo, v1, 4
	v_add_co_ci_u32_e32 v5, vcc_lo, 0, v3, vcc_lo
	v_add_co_u32 v11, vcc_lo, v1, 6
	v_mul_lo_u32 v9, s6, v4
	v_add_co_ci_u32_e32 v4, vcc_lo, 0, v3, vcc_lo
	v_add_co_u32 v14, vcc_lo, v1, 8
	v_mul_lo_u32 v12, s6, v5
	;; [unrolled: 3-line block ×4, first 2 shown]
	v_add_co_ci_u32_e32 v5, vcc_lo, 0, v3, vcc_lo
	v_add_co_ci_u32_e64 v75, null, 0, 0, s3
	v_add_co_u32 v1, vcc_lo, v1, 14
	v_mul_lo_u32 v21, s6, v4
	s_delay_alu instid0(VALU_DEP_4) | instskip(SKIP_4) | instid1(VALU_DEP_4)
	v_mul_lo_u32 v23, s6, v5
	v_add_co_ci_u32_e32 v5, vcc_lo, 0, v3, vcc_lo
	v_mul_lo_u32 v6, s7, v58
	v_mul_lo_u32 v41, s6, v75
	v_mad_u64_u32 v[3:4], null, s6, v58, 0
	v_mul_lo_u32 v61, s6, v5
	v_mad_u64_u32 v[27:28], null, s6, v7, s[8:9]
	;; [unrolled: 2-line block ×3, first 2 shown]
	v_add3_u32 v4, v4, v41, v6
	v_mad_u64_u32 v[41:42], null, s6, v7, s[10:11]
	v_mul_lo_u32 v13, s7, v8
	v_mad_u64_u32 v[43:44], null, s6, v8, s[10:11]
	s_delay_alu instid0(VALU_DEP_4)
	v_lshlrev_b64 v[5:6], 1, v[3:4]
	v_add3_u32 v28, v10, v28, v9
	v_mad_u64_u32 v[31:32], null, s6, v11, s[8:9]
	v_add3_u32 v42, v10, v42, v9
	v_add3_u32 v30, v13, v30, v12
	v_add_co_u32 v59, vcc_lo, s8, v5
	v_add_co_ci_u32_e32 v60, vcc_lo, s9, v6, vcc_lo
	v_add_co_u32 v9, vcc_lo, v58, 7
	v_add_co_ci_u32_e32 v7, vcc_lo, 0, v75, vcc_lo
	v_add3_u32 v44, v13, v44, v12
	v_add_co_u32 v12, vcc_lo, v58, 6
	v_mul_lo_u32 v16, s7, v11
	v_mad_u64_u32 v[39:40], null, s6, v1, s[8:9]
	v_mul_lo_u32 v62, s7, v1
	v_mad_u64_u32 v[45:46], null, s6, v11, s[10:11]
	v_mad_u64_u32 v[53:54], null, s6, v1, s[10:11]
	v_mul_lo_u32 v1, s7, v9
	v_mul_lo_u32 v11, s6, v7
	v_mad_u64_u32 v[7:8], null, s6, v9, 0
	v_add_co_ci_u32_e32 v10, vcc_lo, 0, v75, vcc_lo
	v_mad_u64_u32 v[33:34], null, s6, v14, s[8:9]
	v_mul_lo_u32 v19, s7, v14
	v_mad_u64_u32 v[47:48], null, s6, v14, s[10:11]
	v_mul_lo_u32 v13, s7, v12
	v_mul_lo_u32 v14, s6, v10
	v_mad_u64_u32 v[9:10], null, s6, v12, 0
	v_add3_u32 v8, v8, v11, v1
	v_add3_u32 v40, v62, v40, v61
	;; [unrolled: 1-line block ×3, first 2 shown]
	v_add_co_u32 v61, vcc_lo, s10, v5
	v_add_co_ci_u32_e32 v62, vcc_lo, s11, v6, vcc_lo
	v_lshlrev_b64 v[5:6], 1, v[7:8]
	v_add3_u32 v10, v10, v14, v13
	v_add_co_u32 v1, vcc_lo, v58, 5
	v_add_co_ci_u32_e32 v11, vcc_lo, 0, v75, vcc_lo
	s_delay_alu instid0(VALU_DEP_4) | instskip(NEXT) | instid1(VALU_DEP_4)
	v_add_co_u32 v63, vcc_lo, s8, v5
	v_lshlrev_b64 v[7:8], 1, v[9:10]
	v_add_co_ci_u32_e32 v64, vcc_lo, s9, v6, vcc_lo
	v_mul_lo_u32 v12, s7, v1
	v_mul_lo_u32 v11, s6, v11
	v_mad_u64_u32 v[9:10], null, s6, v1, 0
	v_add_co_u32 v65, vcc_lo, s10, v5
	v_add_co_ci_u32_e32 v66, vcc_lo, s11, v6, vcc_lo
	v_add_co_u32 v67, vcc_lo, s8, v7
	v_add_co_ci_u32_e32 v68, vcc_lo, s9, v8, vcc_lo
	s_mul_hi_u32 s2, s6, s15
	v_add_co_u32 v1, vcc_lo, v58, 4
	v_add3_u32 v10, v10, v11, v12
	s_add_i32 s3, s2, s17
	v_add_co_u32 v69, s2, s10, v7
	v_add_co_ci_u32_e32 v7, vcc_lo, 0, v75, vcc_lo
	v_add_co_u32 v12, vcc_lo, v58, 3
	v_lshlrev_b64 v[5:6], 1, v[9:10]
	v_add_co_ci_u32_e32 v9, vcc_lo, 0, v75, vcc_lo
	v_add_co_ci_u32_e64 v70, s2, s11, v8, s2
	v_mul_lo_u32 v11, s7, v1
	v_mul_lo_u32 v13, s6, v7
	v_mad_u64_u32 v[7:8], null, s6, v1, 0
	v_mul_lo_u32 v1, s7, v12
	v_mul_lo_u32 v14, s6, v9
	v_mad_u64_u32 v[9:10], null, s6, v12, 0
	v_add_co_u32 v71, vcc_lo, s8, v5
	v_add_co_ci_u32_e32 v72, vcc_lo, s9, v6, vcc_lo
	v_add3_u32 v8, v8, v13, v11
	v_add_co_u32 v73, vcc_lo, s10, v5
	v_add_co_ci_u32_e32 v74, vcc_lo, s11, v6, vcc_lo
	v_add3_u32 v10, v10, v14, v1
	v_add_co_u32 v1, vcc_lo, v58, 2
	v_lshlrev_b64 v[5:6], 1, v[7:8]
	v_add_co_ci_u32_e32 v11, vcc_lo, 0, v75, vcc_lo
	s_delay_alu instid0(VALU_DEP_4) | instskip(NEXT) | instid1(VALU_DEP_4)
	v_lshlrev_b64 v[7:8], 1, v[9:10]
	v_mul_lo_u32 v12, s7, v1
	v_mad_u64_u32 v[9:10], null, s6, v1, 0
	v_add_co_u32 v75, vcc_lo, s8, v5
	v_mul_lo_u32 v11, s6, v11
	v_add_co_ci_u32_e32 v76, vcc_lo, s9, v6, vcc_lo
	v_add_co_u32 v77, vcc_lo, s10, v5
	v_add_co_ci_u32_e32 v78, vcc_lo, s11, v6, vcc_lo
	v_add_co_u32 v79, vcc_lo, s8, v7
	v_add_co_ci_u32_e32 v80, vcc_lo, s9, v8, vcc_lo
	v_add3_u32 v10, v10, v11, v12
	v_add_co_u32 v81, vcc_lo, s10, v7
	v_add_co_ci_u32_e32 v82, vcc_lo, s11, v8, vcc_lo
	v_add_co_u32 v3, vcc_lo, v3, s6
	s_delay_alu instid0(VALU_DEP_4) | instskip(SKIP_3) | instid1(VALU_DEP_4)
	v_lshlrev_b64 v[5:6], 1, v[9:10]
	v_add_co_ci_u32_e32 v4, vcc_lo, s7, v4, vcc_lo
	v_mad_u64_u32 v[35:36], null, s6, v18, s[8:9]
	v_mul_lo_u32 v22, s7, v18
	v_add_co_u32 v83, vcc_lo, s8, v5
	s_delay_alu instid0(VALU_DEP_4)
	v_lshlrev_b64 v[3:4], 1, v[3:4]
	v_add_co_ci_u32_e32 v84, vcc_lo, s9, v6, vcc_lo
	v_mad_u64_u32 v[37:38], null, s6, v20, s[8:9]
	v_mul_lo_u32 v24, s7, v20
	v_mad_u64_u32 v[49:50], null, s6, v18, s[10:11]
	v_mad_u64_u32 v[51:52], null, s6, v20, s[10:11]
	v_add_co_u32 v85, vcc_lo, s10, v5
	v_add_co_ci_u32_e32 v86, vcc_lo, s11, v6, vcc_lo
	v_add_co_u32 v87, vcc_lo, s8, v3
	v_add_co_ci_u32_e32 v88, vcc_lo, s9, v4, vcc_lo
	v_add_co_u32 v89, vcc_lo, s10, v3
	v_add3_u32 v32, v16, v32, v15
	v_add3_u32 v34, v19, v34, v17
	;; [unrolled: 1-line block ×8, first 2 shown]
	v_add_co_ci_u32_e32 v90, vcc_lo, s11, v4, vcc_lo
	s_mul_i32 s2, s6, s15
	s_delay_alu instid0(SALU_CYCLE_1)
	s_lshl_b64 s[2:3], s[2:3], 1
.LBB92_53:                              ; =>This Inner Loop Header: Depth=1
	v_cmp_ge_i64_e64 s8, s[30:31], s[4:5]
	v_add_co_u32 v93, s9, v57, s30
	s_delay_alu instid0(VALU_DEP_1) | instskip(NEXT) | instid1(VALU_DEP_3)
	v_add_co_ci_u32_e64 v94, null, 0, s31, s9
	s_and_b32 vcc_lo, exec_lo, s8
	s_cbranch_vccz .LBB92_75
; %bb.54:                               ;   in Loop: Header=BB92_53 Depth=1
	s_load_b32 s8, s[28:29], 0xc
	v_dual_mov_b32 v95, 0 :: v_dual_mov_b32 v58, 0
	s_waitcnt lgkmcnt(0)
	s_and_b32 s8, s8, 0xffff
	s_delay_alu instid0(SALU_CYCLE_1) | instskip(SKIP_1) | instid1(VALU_DEP_1)
	v_mad_u32_u24 v1, v56, s8, v55
	s_mov_b32 s8, exec_lo
	v_and_b32_e32 v1, 31, v1
	s_delay_alu instid0(VALU_DEP_1)
	v_cmpx_gt_u32_e32 8, v1
	s_cbranch_execz .LBB92_58
; %bb.55:                               ;   in Loop: Header=BB92_53 Depth=1
	v_add_co_u32 v1, vcc_lo, v93, v1
	v_add_co_ci_u32_e32 v4, vcc_lo, 0, v94, vcc_lo
	v_dual_mov_b32 v58, 0 :: v_dual_mov_b32 v95, 0
	s_delay_alu instid0(VALU_DEP_3) | instskip(NEXT) | instid1(VALU_DEP_3)
	v_add_co_u32 v3, vcc_lo, 0xffffff01, v1
	v_add_co_ci_u32_e32 v4, vcc_lo, -1, v4, vcc_lo
	s_mov_b32 s9, exec_lo
	s_delay_alu instid0(VALU_DEP_1)
	v_cmpx_gt_i64_e64 s[4:5], v[3:4]
	s_cbranch_execz .LBB92_57
; %bb.56:                               ;   in Loop: Header=BB92_53 Depth=1
	v_lshlrev_b64 v[3:4], 2, v[3:4]
	s_delay_alu instid0(VALU_DEP_1) | instskip(NEXT) | instid1(VALU_DEP_2)
	v_add_co_u32 v5, vcc_lo, s24, v3
	v_add_co_ci_u32_e32 v6, vcc_lo, s25, v4, vcc_lo
	v_add_co_u32 v3, vcc_lo, s26, v3
	v_add_co_ci_u32_e32 v4, vcc_lo, s27, v4, vcc_lo
	global_load_b32 v58, v[5:6], off
	global_load_b32 v95, v[3:4], off
.LBB92_57:                              ;   in Loop: Header=BB92_53 Depth=1
	s_or_b32 exec_lo, exec_lo, s9
.LBB92_58:                              ;   in Loop: Header=BB92_53 Depth=1
	s_delay_alu instid0(SALU_CYCLE_1)
	s_or_b32 exec_lo, exec_lo, s8
	s_mov_b32 s22, s16
	s_mov_b32 s23, s16
	;; [unrolled: 1-line block ×7, first 2 shown]
	v_dual_mov_b32 v9, s16 :: v_dual_mov_b32 v10, s17
	v_dual_mov_b32 v15, s22 :: v_dual_mov_b32 v16, s23
	;; [unrolled: 1-line block ×4, first 2 shown]
	v_add_co_u32 v3, vcc_lo, 0xffffff01, v93
	s_delay_alu instid0(VALU_DEP_4) | instskip(SKIP_1) | instid1(VALU_DEP_4)
	v_dual_mov_b32 v24, v16 :: v_dual_mov_b32 v23, v15
	v_add_co_ci_u32_e32 v4, vcc_lo, -1, v94, vcc_lo
	v_dual_mov_b32 v22, v14 :: v_dual_mov_b32 v21, v13
	v_dual_mov_b32 v20, v12 :: v_dual_mov_b32 v19, v11
	;; [unrolled: 1-line block ×3, first 2 shown]
	s_mov_b32 s8, exec_lo
	v_cmpx_gt_i64_e64 s[4:5], v[3:4]
	s_cbranch_execz .LBB92_60
; %bb.59:                               ;   in Loop: Header=BB92_53 Depth=1
	v_add_co_u32 v3, vcc_lo, v59, v25
	v_add_co_ci_u32_e32 v4, vcc_lo, v60, v26, vcc_lo
	v_add_co_u32 v5, vcc_lo, v61, v25
	v_add_co_ci_u32_e32 v6, vcc_lo, v62, v26, vcc_lo
	v_mov_b32_e32 v8, v2
	global_load_u16 v1, v[3:4], off
	global_load_u16 v9, v[5:6], off
	v_mov_b32_e32 v3, v2
	v_mov_b32_e32 v4, v2
	;; [unrolled: 1-line block ×6, first 2 shown]
	s_waitcnt vmcnt(1)
	v_cvt_f32_f16_e32 v1, v1
	v_dual_mov_b32 v11, v2 :: v_dual_mov_b32 v24, v8
	v_dual_mov_b32 v10, v2 :: v_dual_mov_b32 v23, v7
	s_waitcnt vmcnt(0)
	v_cvt_f32_f16_e32 v9, v9
	v_dual_mov_b32 v12, v2 :: v_dual_mov_b32 v21, v5
	v_dual_mov_b32 v13, v2 :: v_dual_mov_b32 v20, v4
	;; [unrolled: 1-line block ×4, first 2 shown]
	v_mov_b32_e32 v22, v6
	v_mov_b32_e32 v18, v2
.LBB92_60:                              ;   in Loop: Header=BB92_53 Depth=1
	s_or_b32 exec_lo, exec_lo, s8
	v_add_co_u32 v3, vcc_lo, 0xffffff02, v93
	v_add_co_ci_u32_e32 v4, vcc_lo, -1, v94, vcc_lo
	s_mov_b32 s8, exec_lo
	s_delay_alu instid0(VALU_DEP_1)
	v_cmpx_gt_i64_e64 s[4:5], v[3:4]
	s_cbranch_execz .LBB92_62
; %bb.61:                               ;   in Loop: Header=BB92_53 Depth=1
	v_add_co_u32 v3, vcc_lo, v87, v25
	v_add_co_ci_u32_e32 v4, vcc_lo, v88, v26, vcc_lo
	v_add_co_u32 v5, vcc_lo, v89, v25
	v_add_co_ci_u32_e32 v6, vcc_lo, v90, v26, vcc_lo
	global_load_u16 v1, v[3:4], off
	global_load_u16 v3, v[5:6], off
	s_waitcnt vmcnt(1)
	v_cvt_f32_f16_e32 v18, v1
	s_waitcnt vmcnt(0)
	v_cvt_f32_f16_e32 v10, v3
.LBB92_62:                              ;   in Loop: Header=BB92_53 Depth=1
	s_or_b32 exec_lo, exec_lo, s8
	v_add_co_u32 v3, vcc_lo, 0xffffff03, v93
	v_add_co_ci_u32_e32 v4, vcc_lo, -1, v94, vcc_lo
	s_mov_b32 s8, exec_lo
	s_delay_alu instid0(VALU_DEP_1)
	v_cmpx_gt_i64_e64 s[4:5], v[3:4]
	s_cbranch_execz .LBB92_64
; %bb.63:                               ;   in Loop: Header=BB92_53 Depth=1
	v_add_co_u32 v3, vcc_lo, v83, v25
	v_add_co_ci_u32_e32 v4, vcc_lo, v84, v26, vcc_lo
	v_add_co_u32 v5, vcc_lo, v85, v25
	v_add_co_ci_u32_e32 v6, vcc_lo, v86, v26, vcc_lo
	global_load_u16 v1, v[3:4], off
	global_load_u16 v3, v[5:6], off
	s_waitcnt vmcnt(1)
	v_cvt_f32_f16_e32 v19, v1
	s_waitcnt vmcnt(0)
	v_cvt_f32_f16_e32 v11, v3
.LBB92_64:                              ;   in Loop: Header=BB92_53 Depth=1
	;; [unrolled: 19-line block ×7, first 2 shown]
	s_or_b32 exec_lo, exec_lo, s8
	s_waitcnt vmcnt(1)
	ds_bpermute_b32 v3, v2, v58
	s_waitcnt vmcnt(0)
	ds_bpermute_b32 v1, v2, v95
	ds_bpermute_b32 v5, v2, v58 offset:4
	ds_bpermute_b32 v4, v2, v95 offset:4
	s_waitcnt lgkmcnt(3)
	v_sub_f32_e32 v3, v9, v3
	s_delay_alu instid0(VALU_DEP_1) | instskip(SKIP_1) | instid1(VALU_DEP_1)
	v_mul_f32_e32 v3, v17, v3
	s_waitcnt lgkmcnt(2)
	v_fma_f32 v1, v3, v1, v91
	v_add_f32_e32 v3, v92, v17
	s_delay_alu instid0(VALU_DEP_1) | instskip(NEXT) | instid1(VALU_DEP_1)
	v_add_f32_e32 v3, v18, v3
	v_add_f32_e32 v3, v19, v3
	s_delay_alu instid0(VALU_DEP_1) | instskip(NEXT) | instid1(VALU_DEP_1)
	v_add_f32_e32 v3, v20, v3
	;; [unrolled: 3-line block ×3, first 2 shown]
	v_add_f32_e32 v3, v23, v3
	s_waitcnt lgkmcnt(1)
	v_sub_f32_e32 v5, v10, v5
	s_delay_alu instid0(VALU_DEP_1) | instskip(SKIP_1) | instid1(VALU_DEP_1)
	v_mul_f32_e32 v5, v18, v5
	s_waitcnt lgkmcnt(0)
	v_fmac_f32_e32 v1, v5, v4
	ds_bpermute_b32 v5, v2, v58 offset:8
	ds_bpermute_b32 v4, v2, v95 offset:8
	s_waitcnt lgkmcnt(1)
	v_sub_f32_e32 v5, v11, v5
	s_delay_alu instid0(VALU_DEP_1) | instskip(SKIP_1) | instid1(VALU_DEP_1)
	v_mul_f32_e32 v5, v19, v5
	s_waitcnt lgkmcnt(0)
	v_fmac_f32_e32 v1, v5, v4
	ds_bpermute_b32 v5, v2, v58 offset:12
	ds_bpermute_b32 v4, v2, v95 offset:12
	;; [unrolled: 8-line block ×5, first 2 shown]
	s_waitcnt lgkmcnt(1)
	v_sub_f32_e32 v5, v15, v5
	s_delay_alu instid0(VALU_DEP_1) | instskip(SKIP_1) | instid1(VALU_DEP_1)
	v_mul_f32_e32 v5, v23, v5
	s_waitcnt lgkmcnt(0)
	v_fmac_f32_e32 v1, v5, v4
	ds_bpermute_b32 v5, v2, v58 offset:28
	v_add_f32_e32 v58, v24, v3
	ds_bpermute_b32 v4, v2, v95 offset:28
	s_waitcnt lgkmcnt(1)
	v_sub_f32_e32 v5, v16, v5
	s_delay_alu instid0(VALU_DEP_1) | instskip(SKIP_1) | instid1(VALU_DEP_1)
	v_mul_f32_e32 v5, v24, v5
	s_waitcnt lgkmcnt(0)
	v_fmac_f32_e32 v1, v5, v4
	s_branch .LBB92_81
.LBB92_75:                              ;   in Loop: Header=BB92_53 Depth=1
                                        ; implicit-def: $vgpr58
                                        ; implicit-def: $vgpr1
	s_cbranch_execz .LBB92_81
; %bb.76:                               ;   in Loop: Header=BB92_53 Depth=1
	s_load_b32 s8, s[28:29], 0x0
	v_mov_b32_e32 v5, 0
	s_waitcnt lgkmcnt(0)
	s_cmp_lt_u32 s14, s8
	s_cselect_b32 s8, 12, 18
	s_delay_alu instid0(SALU_CYCLE_1)
	s_add_u32 s8, s28, s8
	s_addc_u32 s9, s29, 0
	global_load_u16 v1, v2, s[8:9]
	s_mov_b32 s8, exec_lo
	s_waitcnt vmcnt(0)
	v_mad_u32_u24 v1, v56, v1, v55
	s_delay_alu instid0(VALU_DEP_1) | instskip(SKIP_1) | instid1(VALU_DEP_2)
	v_and_b32_e32 v3, 31, v1
	v_mov_b32_e32 v1, 0
	v_cmpx_gt_u32_e32 8, v3
	s_cbranch_execz .LBB92_80
; %bb.77:                               ;   in Loop: Header=BB92_53 Depth=1
	v_add_co_u32 v1, vcc_lo, v93, v3
	v_add_co_ci_u32_e32 v4, vcc_lo, 0, v94, vcc_lo
	v_mov_b32_e32 v5, 0
	s_delay_alu instid0(VALU_DEP_3) | instskip(NEXT) | instid1(VALU_DEP_3)
	v_add_co_u32 v3, vcc_lo, 0xffffff01, v1
	v_add_co_ci_u32_e32 v4, vcc_lo, -1, v4, vcc_lo
	v_mov_b32_e32 v1, 0
	s_mov_b32 s9, exec_lo
	s_delay_alu instid0(VALU_DEP_2)
	v_cmpx_gt_i64_e64 s[4:5], v[3:4]
	s_cbranch_execz .LBB92_79
; %bb.78:                               ;   in Loop: Header=BB92_53 Depth=1
	v_lshlrev_b64 v[3:4], 2, v[3:4]
	s_delay_alu instid0(VALU_DEP_1) | instskip(NEXT) | instid1(VALU_DEP_2)
	v_add_co_u32 v5, vcc_lo, s24, v3
	v_add_co_ci_u32_e32 v6, vcc_lo, s25, v4, vcc_lo
	v_add_co_u32 v3, vcc_lo, s26, v3
	v_add_co_ci_u32_e32 v4, vcc_lo, s27, v4, vcc_lo
	global_load_b32 v1, v[5:6], off
	global_load_b32 v5, v[3:4], off
.LBB92_79:                              ;   in Loop: Header=BB92_53 Depth=1
	s_or_b32 exec_lo, exec_lo, s9
.LBB92_80:                              ;   in Loop: Header=BB92_53 Depth=1
	s_delay_alu instid0(SALU_CYCLE_1)
	s_or_b32 exec_lo, exec_lo, s8
	v_add_co_u32 v3, vcc_lo, v59, v25
	v_add_co_ci_u32_e32 v4, vcc_lo, v60, v26, vcc_lo
	s_waitcnt vmcnt(1)
	ds_bpermute_b32 v21, v2, v1
	global_load_u16 v3, v[3:4], off
	s_waitcnt vmcnt(0)
	v_cvt_f32_f16_e32 v6, v3
	v_add_co_u32 v3, vcc_lo, v61, v25
	v_add_co_ci_u32_e32 v4, vcc_lo, v62, v26, vcc_lo
	global_load_u16 v3, v[3:4], off
	s_waitcnt vmcnt(0)
	v_cvt_f32_f16_e32 v7, v3
	v_add_co_u32 v3, vcc_lo, v27, v25
	v_add_co_ci_u32_e32 v4, vcc_lo, v28, v26, vcc_lo
	s_waitcnt lgkmcnt(0)
	s_delay_alu instid0(VALU_DEP_3)
	v_sub_f32_e32 v7, v7, v21
	global_load_u16 v3, v[3:4], off
	s_waitcnt vmcnt(0)
	v_cvt_f32_f16_e32 v8, v3
	v_add_co_u32 v3, vcc_lo, v41, v25
	v_add_co_ci_u32_e32 v4, vcc_lo, v42, v26, vcc_lo
	v_mul_f32_e32 v7, v7, v6
	global_load_u16 v3, v[3:4], off
	s_waitcnt vmcnt(0)
	v_cvt_f32_f16_e32 v9, v3
	v_add_co_u32 v3, vcc_lo, v29, v25
	v_add_co_ci_u32_e32 v4, vcc_lo, v30, v26, vcc_lo
	global_load_u16 v3, v[3:4], off
	s_waitcnt vmcnt(0)
	v_cvt_f32_f16_e32 v10, v3
	v_add_co_u32 v3, vcc_lo, v43, v25
	v_add_co_ci_u32_e32 v4, vcc_lo, v44, v26, vcc_lo
	;; [unrolled: 5-line block ×12, first 2 shown]
	global_load_u16 v3, v[3:4], off
	ds_bpermute_b32 v4, v2, v5
	s_waitcnt lgkmcnt(0)
	v_fmac_f32_e32 v91, v7, v4
	ds_bpermute_b32 v7, v2, v1 offset:4
	v_add_f32_e32 v4, v92, v6
	ds_bpermute_b32 v6, v2, v5 offset:4
	v_add_f32_e32 v4, v4, v8
	s_delay_alu instid0(VALU_DEP_1) | instskip(SKIP_1) | instid1(VALU_DEP_1)
	v_add_f32_e32 v4, v4, v10
	s_waitcnt lgkmcnt(1)
	v_dual_add_f32 v4, v4, v12 :: v_dual_sub_f32 v7, v9, v7
	s_delay_alu instid0(VALU_DEP_1) | instskip(SKIP_1) | instid1(VALU_DEP_1)
	v_dual_add_f32 v4, v4, v14 :: v_dual_mul_f32 v7, v7, v8
	s_waitcnt lgkmcnt(0)
	v_dual_add_f32 v4, v4, v16 :: v_dual_fmac_f32 v91, v7, v6
	ds_bpermute_b32 v7, v2, v1 offset:8
	ds_bpermute_b32 v6, v2, v5 offset:8
	v_add_f32_e32 v4, v4, v18
	s_waitcnt lgkmcnt(1)
	s_delay_alu instid0(VALU_DEP_1) | instskip(NEXT) | instid1(VALU_DEP_1)
	v_dual_add_f32 v58, v4, v20 :: v_dual_sub_f32 v7, v11, v7
	v_mul_f32_e32 v7, v7, v10
	s_waitcnt lgkmcnt(0)
	s_delay_alu instid0(VALU_DEP_1) | instskip(SKIP_4) | instid1(VALU_DEP_1)
	v_fmac_f32_e32 v91, v7, v6
	ds_bpermute_b32 v7, v2, v1 offset:12
	ds_bpermute_b32 v6, v2, v5 offset:12
	s_waitcnt lgkmcnt(1)
	v_sub_f32_e32 v7, v13, v7
	v_mul_f32_e32 v7, v7, v12
	s_waitcnt lgkmcnt(0)
	s_delay_alu instid0(VALU_DEP_1) | instskip(SKIP_4) | instid1(VALU_DEP_1)
	v_fmac_f32_e32 v91, v7, v6
	ds_bpermute_b32 v7, v2, v1 offset:16
	ds_bpermute_b32 v6, v2, v5 offset:16
	s_waitcnt lgkmcnt(1)
	v_sub_f32_e32 v7, v15, v7
	;; [unrolled: 8-line block ×3, first 2 shown]
	v_mul_f32_e32 v7, v7, v16
	s_waitcnt lgkmcnt(0)
	s_delay_alu instid0(VALU_DEP_1)
	v_fmac_f32_e32 v91, v7, v6
	ds_bpermute_b32 v7, v2, v1 offset:24
	ds_bpermute_b32 v1, v2, v1 offset:28
	;; [unrolled: 1-line block ×4, first 2 shown]
	s_waitcnt lgkmcnt(3)
	v_sub_f32_e32 v7, v19, v7
	s_delay_alu instid0(VALU_DEP_1) | instskip(SKIP_1) | instid1(VALU_DEP_1)
	v_mul_f32_e32 v7, v7, v18
	s_waitcnt lgkmcnt(1)
	v_fmac_f32_e32 v91, v7, v6
	s_waitcnt vmcnt(0)
	v_cvt_f32_f16_e32 v3, v3
	s_delay_alu instid0(VALU_DEP_1) | instskip(NEXT) | instid1(VALU_DEP_1)
	v_sub_f32_e32 v1, v3, v1
	v_mul_f32_e32 v1, v1, v20
	s_waitcnt lgkmcnt(0)
	s_delay_alu instid0(VALU_DEP_1) | instskip(NEXT) | instid1(VALU_DEP_1)
	v_fmac_f32_e32 v91, v1, v5
	v_mov_b32_e32 v1, v91
.LBB92_81:                              ;   in Loop: Header=BB92_53 Depth=1
	v_add_co_u32 v27, vcc_lo, v27, s2
	v_add_co_ci_u32_e32 v28, vcc_lo, s3, v28, vcc_lo
	v_add_co_u32 v29, vcc_lo, v29, s2
	v_add_co_ci_u32_e32 v30, vcc_lo, s3, v30, vcc_lo
	;; [unrolled: 2-line block ×27, first 2 shown]
	v_add_co_u32 v85, vcc_lo, v85, s2
	s_add_u32 s12, s12, s15
	v_add_co_ci_u32_e32 v86, vcc_lo, s3, v86, vcc_lo
	s_addc_u32 s13, s13, 0
	v_add_co_u32 v87, vcc_lo, v87, s2
	v_cmp_ge_i64_e64 s8, s[12:13], s[4:5]
	v_add_co_ci_u32_e32 v88, vcc_lo, s3, v88, vcc_lo
	v_add_co_u32 v89, vcc_lo, v89, s2
	v_add_co_ci_u32_e32 v90, vcc_lo, s3, v90, vcc_lo
	s_add_u32 s30, s30, s15
	s_addc_u32 s31, s31, 0
	s_and_b32 vcc_lo, exec_lo, s8
	s_cbranch_vccnz .LBB92_83
; %bb.82:                               ;   in Loop: Header=BB92_53 Depth=1
	v_dual_mov_b32 v92, v58 :: v_dual_mov_b32 v91, v1
	s_branch .LBB92_53
.LBB92_83:
	v_and_b32_e32 v2, 0x3ff, v0
	v_bfe_u32 v0, v0, 10, 10
	s_mov_b32 s15, 0
	s_mov_b32 s2, exec_lo
	s_delay_alu instid0(VALU_DEP_2) | instskip(NEXT) | instid1(VALU_DEP_2)
	v_lshrrev_b32_e32 v3, 5, v2
	v_mad_u32_u24 v4, v0, 33, v2
	s_delay_alu instid0(VALU_DEP_2) | instskip(NEXT) | instid1(VALU_DEP_2)
	v_add_nc_u32_e32 v0, v3, v0
	v_lshl_add_u32 v3, v4, 2, 0
	ds_store_b32 v3, v1
	ds_store_b32 v3, v58 offset:4224
	s_waitcnt lgkmcnt(0)
	s_barrier
	buffer_gl0_inv
	v_cmpx_gt_u32_e32 32, v0
	s_cbranch_execz .LBB92_89
; %bb.84:
	v_and_b32_e32 v1, 31, v2
	v_mbcnt_lo_u32_b32 v3, -1, 0
	s_lshl_b64 s[2:3], s[14:15], 5
	s_delay_alu instid0(VALU_DEP_2) | instskip(NEXT) | instid1(VALU_DEP_2)
	v_mad_u32_u24 v1, v1, 33, v0
	v_xor_b32_e32 v5, 16, v3
	v_xor_b32_e32 v7, 8, v3
	v_or_b32_e32 v0, s2, v0
	v_cmp_eq_u32_e64 s2, 0, v2
	v_lshl_add_u32 v1, v1, 2, 0
	v_cmp_gt_i32_e32 vcc_lo, 32, v5
	ds_load_b32 v4, v1
	ds_load_b32 v1, v1 offset:4224
	v_cndmask_b32_e32 v5, v3, v5, vcc_lo
	v_cmp_gt_i32_e32 vcc_lo, 32, v7
	s_delay_alu instid0(VALU_DEP_2) | instskip(SKIP_1) | instid1(VALU_DEP_1)
	v_lshlrev_b32_e32 v5, 2, v5
	v_cndmask_b32_e32 v7, v3, v7, vcc_lo
	v_lshlrev_b32_e32 v7, 2, v7
	s_waitcnt lgkmcnt(1)
	ds_bpermute_b32 v6, v5, v4
	s_waitcnt lgkmcnt(1)
	ds_bpermute_b32 v5, v5, v1
	s_waitcnt lgkmcnt(0)
	v_dual_add_f32 v4, v4, v6 :: v_dual_add_f32 v1, v1, v5
	ds_bpermute_b32 v5, v7, v4
	ds_bpermute_b32 v6, v7, v1
	v_xor_b32_e32 v7, 4, v3
	s_delay_alu instid0(VALU_DEP_1) | instskip(SKIP_2) | instid1(VALU_DEP_1)
	v_cmp_gt_i32_e32 vcc_lo, 32, v7
	v_cndmask_b32_e32 v7, v3, v7, vcc_lo
	s_waitcnt lgkmcnt(1)
	v_dual_add_f32 v4, v4, v5 :: v_dual_lshlrev_b32 v7, 2, v7
	s_waitcnt lgkmcnt(0)
	v_add_f32_e32 v1, v1, v6
	ds_bpermute_b32 v5, v7, v4
	ds_bpermute_b32 v6, v7, v1
	v_xor_b32_e32 v7, 2, v3
	s_delay_alu instid0(VALU_DEP_1) | instskip(SKIP_2) | instid1(VALU_DEP_1)
	v_cmp_gt_i32_e32 vcc_lo, 32, v7
	v_cndmask_b32_e32 v7, v3, v7, vcc_lo
	s_waitcnt lgkmcnt(1)
	v_dual_add_f32 v4, v4, v5 :: v_dual_lshlrev_b32 v7, 2, v7
	s_waitcnt lgkmcnt(0)
	v_add_f32_e32 v1, v1, v6
	ds_bpermute_b32 v5, v7, v4
	ds_bpermute_b32 v6, v7, v1
	v_xor_b32_e32 v7, 1, v3
	s_delay_alu instid0(VALU_DEP_1) | instskip(SKIP_1) | instid1(VALU_DEP_1)
	v_cmp_gt_i32_e32 vcc_lo, 32, v7
	v_cndmask_b32_e32 v3, v3, v7, vcc_lo
	v_lshlrev_b32_e32 v7, 2, v3
	s_waitcnt lgkmcnt(1)
	v_add_f32_e32 v5, v4, v5
	s_waitcnt lgkmcnt(0)
	v_add_f32_e32 v3, v1, v6
	v_mov_b32_e32 v1, s3
	ds_bpermute_b32 v6, v7, v5
	ds_bpermute_b32 v4, v7, v3
	v_cmp_gt_i64_e32 vcc_lo, s[6:7], v[0:1]
	s_and_b32 s2, s2, vcc_lo
	s_delay_alu instid0(SALU_CYCLE_1)
	s_and_b32 exec_lo, exec_lo, s2
	s_cbranch_execz .LBB92_89
; %bb.85:
	s_load_b128 s[0:3], s[0:1], 0x30
	v_lshlrev_b64 v[0:1], 1, v[0:1]
	s_waitcnt lgkmcnt(0)
	s_cmp_eq_u64 s[0:1], 0
	s_cbranch_scc1 .LBB92_87
; %bb.86:
	v_add_f32_e32 v2, v5, v6
	s_delay_alu instid0(VALU_DEP_2) | instskip(SKIP_1) | instid1(VALU_DEP_3)
	v_add_co_u32 v5, vcc_lo, s0, v0
	v_add_co_ci_u32_e32 v6, vcc_lo, s1, v1, vcc_lo
	v_cvt_f16_f32_e32 v2, v2
	global_store_b16 v[5:6], v2, off
.LBB92_87:
	s_cmp_eq_u64 s[2:3], 0
	s_cbranch_scc1 .LBB92_89
; %bb.88:
	v_add_f32_e32 v2, v3, v4
	v_add_co_u32 v0, vcc_lo, s2, v0
	v_add_co_ci_u32_e32 v1, vcc_lo, s3, v1, vcc_lo
	s_delay_alu instid0(VALU_DEP_3)
	v_cvt_f16_f32_e32 v2, v2
	global_store_b16 v[0:1], v2, off
.LBB92_89:
	s_nop 0
	s_sendmsg sendmsg(MSG_DEALLOC_VGPRS)
	s_endpgm
	.section	.rodata,"a",@progbits
	.p2align	6, 0x0
	.amdhsa_kernel _ZN2at6native12_GLOBAL__N_135GammaBetaBackwardCUDAKernelTemplateIN3c104HalfEfLj32ELj32ELj256ELb0ELb0ELb0EEEvllPKT_S7_PKT0_SA_PS5_SB_
		.amdhsa_group_segment_fixed_size 0
		.amdhsa_private_segment_fixed_size 0
		.amdhsa_kernarg_size 320
		.amdhsa_user_sgpr_count 14
		.amdhsa_user_sgpr_dispatch_ptr 0
		.amdhsa_user_sgpr_queue_ptr 0
		.amdhsa_user_sgpr_kernarg_segment_ptr 1
		.amdhsa_user_sgpr_dispatch_id 0
		.amdhsa_user_sgpr_private_segment_size 0
		.amdhsa_wavefront_size32 1
		.amdhsa_uses_dynamic_stack 0
		.amdhsa_enable_private_segment 0
		.amdhsa_system_sgpr_workgroup_id_x 1
		.amdhsa_system_sgpr_workgroup_id_y 1
		.amdhsa_system_sgpr_workgroup_id_z 0
		.amdhsa_system_sgpr_workgroup_info 0
		.amdhsa_system_vgpr_workitem_id 1
		.amdhsa_next_free_vgpr 96
		.amdhsa_next_free_sgpr 40
		.amdhsa_reserve_vcc 1
		.amdhsa_float_round_mode_32 0
		.amdhsa_float_round_mode_16_64 0
		.amdhsa_float_denorm_mode_32 3
		.amdhsa_float_denorm_mode_16_64 3
		.amdhsa_dx10_clamp 1
		.amdhsa_ieee_mode 1
		.amdhsa_fp16_overflow 0
		.amdhsa_workgroup_processor_mode 1
		.amdhsa_memory_ordered 1
		.amdhsa_forward_progress 0
		.amdhsa_shared_vgpr_count 0
		.amdhsa_exception_fp_ieee_invalid_op 0
		.amdhsa_exception_fp_denorm_src 0
		.amdhsa_exception_fp_ieee_div_zero 0
		.amdhsa_exception_fp_ieee_overflow 0
		.amdhsa_exception_fp_ieee_underflow 0
		.amdhsa_exception_fp_ieee_inexact 0
		.amdhsa_exception_int_div_zero 0
	.end_amdhsa_kernel
	.section	.text._ZN2at6native12_GLOBAL__N_135GammaBetaBackwardCUDAKernelTemplateIN3c104HalfEfLj32ELj32ELj256ELb0ELb0ELb0EEEvllPKT_S7_PKT0_SA_PS5_SB_,"axG",@progbits,_ZN2at6native12_GLOBAL__N_135GammaBetaBackwardCUDAKernelTemplateIN3c104HalfEfLj32ELj32ELj256ELb0ELb0ELb0EEEvllPKT_S7_PKT0_SA_PS5_SB_,comdat
.Lfunc_end92:
	.size	_ZN2at6native12_GLOBAL__N_135GammaBetaBackwardCUDAKernelTemplateIN3c104HalfEfLj32ELj32ELj256ELb0ELb0ELb0EEEvllPKT_S7_PKT0_SA_PS5_SB_, .Lfunc_end92-_ZN2at6native12_GLOBAL__N_135GammaBetaBackwardCUDAKernelTemplateIN3c104HalfEfLj32ELj32ELj256ELb0ELb0ELb0EEEvllPKT_S7_PKT0_SA_PS5_SB_
                                        ; -- End function
	.section	.AMDGPU.csdata,"",@progbits
; Kernel info:
; codeLenInByte = 8664
; NumSgprs: 42
; NumVgprs: 96
; ScratchSize: 0
; MemoryBound: 0
; FloatMode: 240
; IeeeMode: 1
; LDSByteSize: 0 bytes/workgroup (compile time only)
; SGPRBlocks: 5
; VGPRBlocks: 11
; NumSGPRsForWavesPerEU: 42
; NumVGPRsForWavesPerEU: 96
; Occupancy: 16
; WaveLimiterHint : 0
; COMPUTE_PGM_RSRC2:SCRATCH_EN: 0
; COMPUTE_PGM_RSRC2:USER_SGPR: 14
; COMPUTE_PGM_RSRC2:TRAP_HANDLER: 0
; COMPUTE_PGM_RSRC2:TGID_X_EN: 1
; COMPUTE_PGM_RSRC2:TGID_Y_EN: 1
; COMPUTE_PGM_RSRC2:TGID_Z_EN: 0
; COMPUTE_PGM_RSRC2:TIDIG_COMP_CNT: 1
	.section	.text._ZN2at6native12_GLOBAL__N_118cuComputeGradInputIN3c108BFloat16EfLb0EEEvPKT_S7_llPKT0_SA_S7_PS5_,"axG",@progbits,_ZN2at6native12_GLOBAL__N_118cuComputeGradInputIN3c108BFloat16EfLb0EEEvPKT_S7_llPKT0_SA_S7_PS5_,comdat
	.globl	_ZN2at6native12_GLOBAL__N_118cuComputeGradInputIN3c108BFloat16EfLb0EEEvPKT_S7_llPKT0_SA_S7_PS5_ ; -- Begin function _ZN2at6native12_GLOBAL__N_118cuComputeGradInputIN3c108BFloat16EfLb0EEEvPKT_S7_llPKT0_SA_S7_PS5_
	.p2align	8
	.type	_ZN2at6native12_GLOBAL__N_118cuComputeGradInputIN3c108BFloat16EfLb0EEEvPKT_S7_llPKT0_SA_S7_PS5_,@function
_ZN2at6native12_GLOBAL__N_118cuComputeGradInputIN3c108BFloat16EfLb0EEEvPKT_S7_llPKT0_SA_S7_PS5_: ; @_ZN2at6native12_GLOBAL__N_118cuComputeGradInputIN3c108BFloat16EfLb0EEEvPKT_S7_llPKT0_SA_S7_PS5_
; %bb.0:
	s_load_b128 s[16:19], s[0:1], 0x10
	s_mov_b32 s6, s15
	s_ashr_i32 s7, s15, 31
	s_waitcnt lgkmcnt(0)
	v_cmp_ge_i64_e64 s2, s[6:7], s[16:17]
	s_delay_alu instid0(VALU_DEP_1)
	s_and_b32 vcc_lo, exec_lo, s2
	s_cbranch_vccnz .LBB93_47
; %bb.1:
	s_clause 0x1
	s_load_b32 s4, s[0:1], 0x4c
	s_load_b256 s[8:15], s[0:1], 0x20
	s_cls_i32 s3, s19
	v_and_b32_e32 v9, 0x3ff, v0
	v_bfe_u32 v10, v0, 10, 10
	s_clause 0x1
	s_load_b32 s31, s[0:1], 0x44
	s_load_b128 s[20:23], s[0:1], 0x0
	v_cmp_gt_i64_e64 s33, s[18:19], 0
	v_mbcnt_lo_u32_b32 v12, -1, 0
	v_cmp_eq_u32_e64 s0, 0, v10
	v_cmp_ne_u32_e64 s1, 0, v10
	v_lshl_add_u32 v13, v9, 3, 0
	s_mov_b32 s24, 0
	v_cndmask_b32_e64 v11, 0, 1, s33
	s_waitcnt lgkmcnt(0)
	s_lshr_b32 s28, s4, 16
	s_and_b32 s29, s4, 0xffff
	s_cmp_lg_u64 s[12:13], 0
	s_mul_i32 s35, s28, s29
	s_cselect_b32 s30, -1, 0
	s_xor_b32 s2, s18, s19
	s_add_i32 s3, s3, -1
	s_ashr_i32 s2, s2, 31
	v_cmp_gt_u16_e64 s34, s4, 1
	s_add_i32 s2, s2, 32
	v_cmp_gt_u16_e64 s36, s28, 1
	s_min_u32 s5, s3, s2
	s_delay_alu instid0(SALU_CYCLE_1) | instskip(NEXT) | instid1(SALU_CYCLE_1)
	s_lshl_b64 s[2:3], s[18:19], s5
	s_min_u32 s2, s2, 1
	s_delay_alu instid0(SALU_CYCLE_1) | instskip(NEXT) | instid1(SALU_CYCLE_1)
	s_or_b32 s2, s3, s2
	v_cvt_f32_i32_e32 v1, s2
	s_sub_i32 s2, 32, s5
	s_delay_alu instid0(VALU_DEP_1) | instid1(SALU_CYCLE_1)
	v_ldexp_f32 v8, v1, s2
	s_delay_alu instid0(VALU_DEP_1) | instskip(SKIP_1) | instid1(VALU_DEP_2)
	v_div_scale_f32 v2, null, v8, v8, 1.0
	v_div_scale_f32 v4, vcc_lo, 1.0, v8, 1.0
	v_rcp_f32_e32 v3, v2
	s_waitcnt_depctr 0xfff
	v_fma_f32 v1, -v2, v3, 1.0
	s_delay_alu instid0(VALU_DEP_1) | instskip(SKIP_1) | instid1(VALU_DEP_2)
	v_fmac_f32_e32 v3, v1, v3
	v_mov_b32_e32 v1, 0
	v_mul_f32_e32 v5, v4, v3
	s_delay_alu instid0(VALU_DEP_1) | instskip(NEXT) | instid1(VALU_DEP_1)
	v_fma_f32 v0, -v2, v5, v4
	v_fmac_f32_e32 v5, v0, v3
	v_mad_u32_u24 v0, v10, s29, v9
	s_delay_alu instid0(VALU_DEP_2) | instskip(NEXT) | instid1(VALU_DEP_2)
	v_fma_f32 v2, -v2, v5, v4
	v_add_nc_u32_e32 v14, s35, v0
	v_lshlrev_b32_e32 v4, 3, v0
	v_cmp_gt_i64_e64 s2, s[18:19], v[0:1]
	s_delay_alu instid0(VALU_DEP_4) | instskip(NEXT) | instid1(VALU_DEP_3)
	v_div_fmas_f32 v2, v2, v3, v5
	v_add_nc_u32_e32 v15, 0, v4
	s_delay_alu instid0(VALU_DEP_2)
	v_div_fixup_f32 v16, v2, v8, 1.0
	s_branch .LBB93_4
.LBB93_2:                               ;   in Loop: Header=BB93_4 Depth=1
	s_set_inst_prefetch_distance 0x2
	s_or_b32 exec_lo, exec_lo, s25
.LBB93_3:                               ;   in Loop: Header=BB93_4 Depth=1
	s_add_i32 s6, s31, s6
	s_waitcnt_vscnt null, 0x0
	s_ashr_i32 s7, s6, 31
	s_barrier
	v_cmp_ge_i64_e64 s3, s[6:7], s[16:17]
	buffer_gl0_inv
	s_and_b32 vcc_lo, exec_lo, s3
	s_cbranch_vccnz .LBB93_47
.LBB93_4:                               ; =>This Loop Header: Depth=1
                                        ;     Child Loop BB93_8 Depth 2
                                        ;     Child Loop BB93_19 Depth 2
                                        ;     Child Loop BB93_25 Depth 2
                                        ;     Child Loop BB93_27 Depth 2
                                        ;     Child Loop BB93_41 Depth 2
                                        ;     Child Loop BB93_46 Depth 2
	s_mul_i32 s3, s6, s19
	s_mul_hi_u32 s4, s6, s18
	s_mul_i32 s25, s7, s18
	s_add_i32 s3, s4, s3
	s_lshl_b64 s[4:5], s[6:7], 2
	s_add_i32 s27, s3, s25
	s_add_u32 s38, s8, s4
	s_addc_u32 s39, s9, s5
	s_add_u32 s4, s10, s4
	s_addc_u32 s5, s11, s5
	s_load_b32 s7, s[38:39], 0x0
	s_load_b32 s37, s[4:5], 0x0
	s_mul_i32 s26, s6, s18
	v_cmp_ne_u32_e64 s3, 1, v11
	s_lshl_b64 s[26:27], s[26:27], 1
	s_delay_alu instid0(SALU_CYCLE_1)
	s_add_u32 s38, s22, s26
	s_addc_u32 s39, s23, s27
	s_add_u32 s40, s20, s26
	s_addc_u32 s41, s21, s27
	s_and_not1_b32 vcc_lo, exec_lo, s30
	s_cbranch_vccnz .LBB93_15
; %bb.5:                                ;   in Loop: Header=BB93_4 Depth=1
	s_mov_b32 s25, s24
	s_delay_alu instid0(SALU_CYCLE_1)
	v_dual_mov_b32 v2, s24 :: v_dual_mov_b32 v3, s25
	s_and_b32 vcc_lo, exec_lo, s3
	s_cbranch_vccnz .LBB93_14
; %bb.6:                                ;   in Loop: Header=BB93_4 Depth=1
	v_dual_mov_b32 v2, 0 :: v_dual_mov_b32 v3, 0
	s_mov_b32 s4, 0
	s_branch .LBB93_8
.LBB93_7:                               ;   in Loop: Header=BB93_8 Depth=2
	s_or_b32 exec_lo, exec_lo, s3
	s_waitcnt vmcnt(0)
	v_lshlrev_b32_e32 v5, 16, v6
	v_lshlrev_b32_e32 v6, 16, v17
	;; [unrolled: 1-line block ×3, first 2 shown]
	s_add_i32 s4, s4, s35
	s_delay_alu instid0(SALU_CYCLE_1) | instskip(SKIP_1) | instid1(VALU_DEP_1)
	s_ashr_i32 s5, s4, 31
	s_waitcnt lgkmcnt(0)
	v_dual_mul_f32 v7, v5, v6 :: v_dual_subrev_f32 v4, s7, v4
	v_cmp_ge_i64_e64 s3, s[4:5], s[18:19]
	s_delay_alu instid0(VALU_DEP_2) | instskip(NEXT) | instid1(VALU_DEP_2)
	v_mul_f32_e32 v4, v4, v7
	s_and_b32 vcc_lo, exec_lo, s3
	s_delay_alu instid0(VALU_DEP_1)
	v_dual_fmac_f32 v3, s37, v4 :: v_dual_fmac_f32 v2, v5, v6
	s_cbranch_vccnz .LBB93_14
.LBB93_8:                               ;   Parent Loop BB93_4 Depth=1
                                        ; =>  This Inner Loop Header: Depth=2
	v_add_nc_u32_e32 v4, s4, v0
	v_mov_b32_e32 v6, 0
	s_delay_alu instid0(VALU_DEP_2) | instskip(NEXT) | instid1(VALU_DEP_1)
	v_ashrrev_i32_e32 v5, 31, v4
	v_cmp_gt_i64_e32 vcc_lo, s[18:19], v[4:5]
	v_lshlrev_b64 v[4:5], 1, v[4:5]
	s_and_saveexec_b32 s5, vcc_lo
	s_cbranch_execnz .LBB93_11
; %bb.9:                                ;   in Loop: Header=BB93_8 Depth=2
	s_or_b32 exec_lo, exec_lo, s5
	v_mov_b32_e32 v7, 0
	s_and_saveexec_b32 s5, vcc_lo
	s_cbranch_execnz .LBB93_12
.LBB93_10:                              ;   in Loop: Header=BB93_8 Depth=2
	s_or_b32 exec_lo, exec_lo, s5
	v_mov_b32_e32 v17, 0
	s_and_saveexec_b32 s3, vcc_lo
	s_cbranch_execz .LBB93_7
	s_branch .LBB93_13
.LBB93_11:                              ;   in Loop: Header=BB93_8 Depth=2
	s_delay_alu instid0(VALU_DEP_1) | instskip(NEXT) | instid1(VALU_DEP_1)
	v_add_co_u32 v6, s3, s12, v4
	v_add_co_ci_u32_e64 v7, s3, s13, v5, s3
	global_load_u16 v6, v[6:7], off
	s_or_b32 exec_lo, exec_lo, s5
	v_mov_b32_e32 v7, 0
	s_and_saveexec_b32 s5, vcc_lo
	s_cbranch_execz .LBB93_10
.LBB93_12:                              ;   in Loop: Header=BB93_8 Depth=2
	v_add_co_u32 v17, s3, s38, v4
	s_delay_alu instid0(VALU_DEP_1)
	v_add_co_ci_u32_e64 v18, s3, s39, v5, s3
	global_load_u16 v7, v[17:18], off
	s_or_b32 exec_lo, exec_lo, s5
	v_mov_b32_e32 v17, 0
	s_and_saveexec_b32 s3, vcc_lo
	s_cbranch_execz .LBB93_7
.LBB93_13:                              ;   in Loop: Header=BB93_8 Depth=2
	v_add_co_u32 v4, vcc_lo, s40, v4
	v_add_co_ci_u32_e32 v5, vcc_lo, s41, v5, vcc_lo
	global_load_u16 v17, v[4:5], off
	s_branch .LBB93_7
.LBB93_14:                              ;   in Loop: Header=BB93_4 Depth=1
	s_cbranch_execz .LBB93_16
	s_branch .LBB93_23
.LBB93_15:                              ;   in Loop: Header=BB93_4 Depth=1
                                        ; implicit-def: $vgpr2_vgpr3
.LBB93_16:                              ;   in Loop: Header=BB93_4 Depth=1
	s_mov_b32 s25, s24
	s_delay_alu instid0(SALU_CYCLE_1)
	v_dual_mov_b32 v2, s24 :: v_dual_mov_b32 v3, s25
	s_and_not1_b32 vcc_lo, exec_lo, s33
	s_cbranch_vccnz .LBB93_23
; %bb.17:                               ;   in Loop: Header=BB93_4 Depth=1
	v_dual_mov_b32 v2, 0 :: v_dual_mov_b32 v3, 0
	s_mov_b32 s4, 0
	s_set_inst_prefetch_distance 0x1
	s_branch .LBB93_19
	.p2align	6
.LBB93_18:                              ;   in Loop: Header=BB93_19 Depth=2
	s_or_b32 exec_lo, exec_lo, s3
	s_waitcnt vmcnt(0)
	v_lshlrev_b32_e32 v4, 16, v6
	v_lshlrev_b32_e32 v5, 16, v7
	s_add_i32 s4, s4, s35
	s_delay_alu instid0(SALU_CYCLE_1) | instskip(SKIP_3) | instid1(VALU_DEP_2)
	s_ashr_i32 s5, s4, 31
	s_waitcnt lgkmcnt(0)
	v_subrev_f32_e32 v4, s7, v4
	v_cmp_ge_i64_e64 s3, s[4:5], s[18:19]
	v_mul_f32_e32 v4, v4, v5
	v_add_f32_e32 v2, v2, v5
	s_delay_alu instid0(VALU_DEP_3) | instskip(NEXT) | instid1(VALU_DEP_2)
	s_and_b32 vcc_lo, exec_lo, s3
	v_fmac_f32_e32 v3, s37, v4
	s_cbranch_vccnz .LBB93_23
.LBB93_19:                              ;   Parent Loop BB93_4 Depth=1
                                        ; =>  This Inner Loop Header: Depth=2
	v_add_nc_u32_e32 v4, s4, v0
	v_mov_b32_e32 v6, 0
	s_delay_alu instid0(VALU_DEP_2) | instskip(NEXT) | instid1(VALU_DEP_1)
	v_ashrrev_i32_e32 v5, 31, v4
	v_cmp_gt_i64_e32 vcc_lo, s[18:19], v[4:5]
	v_lshlrev_b64 v[4:5], 1, v[4:5]
	s_and_saveexec_b32 s5, vcc_lo
	s_cbranch_execz .LBB93_21
; %bb.20:                               ;   in Loop: Header=BB93_19 Depth=2
	s_delay_alu instid0(VALU_DEP_1) | instskip(NEXT) | instid1(VALU_DEP_1)
	v_add_co_u32 v6, s3, s38, v4
	v_add_co_ci_u32_e64 v7, s3, s39, v5, s3
	global_load_u16 v6, v[6:7], off
.LBB93_21:                              ;   in Loop: Header=BB93_19 Depth=2
	s_or_b32 exec_lo, exec_lo, s5
	v_mov_b32_e32 v7, 0
	s_and_saveexec_b32 s3, vcc_lo
	s_cbranch_execz .LBB93_18
; %bb.22:                               ;   in Loop: Header=BB93_19 Depth=2
	v_add_co_u32 v4, vcc_lo, s40, v4
	v_add_co_ci_u32_e32 v5, vcc_lo, s41, v5, vcc_lo
	global_load_u16 v7, v[4:5], off
	s_branch .LBB93_18
.LBB93_23:                              ;   in Loop: Header=BB93_4 Depth=1
	s_set_inst_prefetch_distance 0x2
	s_and_not1_b32 vcc_lo, exec_lo, s34
	s_cbranch_vccnz .LBB93_26
; %bb.24:                               ;   in Loop: Header=BB93_4 Depth=1
	s_mov_b32 s3, s29
.LBB93_25:                              ;   Parent Loop BB93_4 Depth=1
                                        ; =>  This Inner Loop Header: Depth=2
	s_delay_alu instid0(SALU_CYCLE_1) | instskip(SKIP_3) | instid1(VALU_DEP_1)
	s_lshr_b32 s4, s3, 1
	s_cmp_lt_u32 s3, 4
	v_xor_b32_e32 v4, s4, v12
	s_mov_b32 s3, s4
	v_cmp_gt_i32_e32 vcc_lo, 32, v4
	v_cndmask_b32_e32 v4, v12, v4, vcc_lo
	s_delay_alu instid0(VALU_DEP_1)
	v_lshlrev_b32_e32 v4, 2, v4
	ds_bpermute_b32 v5, v4, v3
	ds_bpermute_b32 v4, v4, v2
	s_waitcnt lgkmcnt(0)
	v_dual_add_f32 v3, v3, v5 :: v_dual_add_f32 v2, v2, v4
	s_cbranch_scc0 .LBB93_25
.LBB93_26:                              ;   in Loop: Header=BB93_4 Depth=1
	s_and_not1_b32 vcc_lo, exec_lo, s36
	s_mov_b32 s5, s28
	s_cbranch_vccnz .LBB93_38
	.p2align	6
.LBB93_27:                              ;   Parent Loop BB93_4 Depth=1
                                        ; =>  This Inner Loop Header: Depth=2
	s_lshr_b32 s25, s5, 1
	s_and_b32 s4, s5, 0xfffe
	v_cmp_le_u32_e64 s3, s25, v10
	v_cmp_gt_u32_e64 s4, s4, v10
	v_cmp_gt_u32_e32 vcc_lo, s25, v10
	s_delay_alu instid0(VALU_DEP_2) | instskip(NEXT) | instid1(SALU_CYCLE_1)
	s_and_b32 s4, s3, s4
	s_and_saveexec_b32 s3, s4
	s_cbranch_execz .LBB93_29
; %bb.28:                               ;   in Loop: Header=BB93_27 Depth=2
	v_subrev_nc_u32_e32 v4, s25, v10
	s_delay_alu instid0(VALU_DEP_1) | instskip(NEXT) | instid1(VALU_DEP_1)
	v_mad_i32_i24 v4, v4, s29, v9
	v_lshl_add_u32 v4, v4, 3, 0
	ds_store_b64 v4, v[2:3]
.LBB93_29:                              ;   in Loop: Header=BB93_27 Depth=2
	s_or_b32 exec_lo, exec_lo, s3
	s_waitcnt lgkmcnt(0)
	s_barrier
	buffer_gl0_inv
	s_and_saveexec_b32 s3, vcc_lo
	s_cbranch_execz .LBB93_31
; %bb.30:                               ;   in Loop: Header=BB93_27 Depth=2
	ds_load_b64 v[4:5], v15
	s_waitcnt lgkmcnt(0)
	v_dual_add_f32 v3, v3, v5 :: v_dual_add_f32 v2, v2, v4
.LBB93_31:                              ;   in Loop: Header=BB93_27 Depth=2
	s_or_b32 exec_lo, exec_lo, s3
	s_cmp_lt_u32 s5, 4
	s_barrier
	buffer_gl0_inv
	s_cbranch_scc1 .LBB93_33
; %bb.32:                               ;   in Loop: Header=BB93_27 Depth=2
	s_mov_b32 s5, s25
	s_branch .LBB93_27
.LBB93_33:                              ;   in Loop: Header=BB93_4 Depth=1
	s_and_saveexec_b32 s3, s0
	s_cbranch_execz .LBB93_35
; %bb.34:                               ;   in Loop: Header=BB93_4 Depth=1
	ds_store_b64 v13, v[2:3]
.LBB93_35:                              ;   in Loop: Header=BB93_4 Depth=1
	s_or_b32 exec_lo, exec_lo, s3
	s_waitcnt lgkmcnt(0)
	s_barrier
	buffer_gl0_inv
	s_and_saveexec_b32 s3, s1
	s_cbranch_execz .LBB93_37
; %bb.36:                               ;   in Loop: Header=BB93_4 Depth=1
	ds_load_b64 v[2:3], v13
.LBB93_37:                              ;   in Loop: Header=BB93_4 Depth=1
	s_or_b32 exec_lo, exec_lo, s3
.LBB93_38:                              ;   in Loop: Header=BB93_4 Depth=1
	s_waitcnt lgkmcnt(0)
	v_mul_f32_e32 v17, s37, v16
	s_add_u32 s4, s14, s26
	s_addc_u32 s5, s15, s27
	s_and_not1_b32 vcc_lo, exec_lo, s30
	s_cbranch_vccnz .LBB93_43
; %bb.39:                               ;   in Loop: Header=BB93_4 Depth=1
	s_and_saveexec_b32 s25, s2
	s_cbranch_execz .LBB93_42
; %bb.40:                               ;   in Loop: Header=BB93_4 Depth=1
	v_dual_mov_b32 v5, v1 :: v_dual_mov_b32 v4, v0
	s_mov_b32 s26, 0
.LBB93_41:                              ;   Parent Loop BB93_4 Depth=1
                                        ; =>  This Inner Loop Header: Depth=2
	s_delay_alu instid0(VALU_DEP_1) | instskip(SKIP_1) | instid1(VALU_DEP_2)
	v_lshlrev_b64 v[6:7], 1, v[4:5]
	v_add_nc_u32_e32 v4, s35, v4
	v_add_co_u32 v18, vcc_lo, s38, v6
	s_delay_alu instid0(VALU_DEP_3)
	v_add_co_ci_u32_e32 v19, vcc_lo, s39, v7, vcc_lo
	v_add_co_u32 v20, vcc_lo, s40, v6
	v_add_co_ci_u32_e32 v21, vcc_lo, s41, v7, vcc_lo
	v_add_co_u32 v22, vcc_lo, s12, v6
	v_add_co_ci_u32_e32 v23, vcc_lo, s13, v7, vcc_lo
	global_load_u16 v5, v[20:21], off
	global_load_u16 v18, v[18:19], off
	;; [unrolled: 1-line block ×3, first 2 shown]
	v_add_co_u32 v6, vcc_lo, s4, v6
	v_add_co_ci_u32_e32 v7, vcc_lo, s5, v7, vcc_lo
	s_waitcnt vmcnt(1)
	v_lshlrev_b32_e32 v18, 16, v18
	s_delay_alu instid0(VALU_DEP_1) | instskip(SKIP_2) | instid1(VALU_DEP_2)
	v_dual_subrev_f32 v18, s7, v18 :: v_dual_lshlrev_b32 v5, 16, v5
	s_waitcnt vmcnt(0)
	v_lshlrev_b32_e32 v19, 16, v19
	v_dual_mul_f32 v5, v8, v5 :: v_dual_mul_f32 v18, s37, v18
	s_delay_alu instid0(VALU_DEP_1) | instskip(NEXT) | instid1(VALU_DEP_1)
	v_fma_f32 v5, v5, v19, -v2
	v_fma_f32 v5, -v3, v18, v5
	s_delay_alu instid0(VALU_DEP_1) | instskip(NEXT) | instid1(VALU_DEP_1)
	v_mul_f32_e32 v18, v17, v5
	v_bfe_u32 v5, v18, 16, 1
	v_cmp_o_f32_e32 vcc_lo, v18, v18
	s_delay_alu instid0(VALU_DEP_2) | instskip(SKIP_1) | instid1(VALU_DEP_2)
	v_add3_u32 v19, v18, v5, 0x7fff
	v_ashrrev_i32_e32 v5, 31, v4
	v_lshrrev_b32_e32 v19, 16, v19
	s_delay_alu instid0(VALU_DEP_2) | instskip(NEXT) | instid1(VALU_DEP_2)
	v_cmp_le_i64_e64 s3, s[18:19], v[4:5]
	v_cndmask_b32_e32 v18, 0x7fc0, v19, vcc_lo
	s_delay_alu instid0(VALU_DEP_2)
	s_or_b32 s26, s3, s26
	global_store_b16 v[6:7], v18, off
	s_and_not1_b32 exec_lo, exec_lo, s26
	s_cbranch_execnz .LBB93_41
.LBB93_42:                              ;   in Loop: Header=BB93_4 Depth=1
	s_or_b32 exec_lo, exec_lo, s25
	s_cbranch_execnz .LBB93_3
	s_branch .LBB93_44
.LBB93_43:                              ;   in Loop: Header=BB93_4 Depth=1
.LBB93_44:                              ;   in Loop: Header=BB93_4 Depth=1
	s_and_saveexec_b32 s25, s2
	s_cbranch_execz .LBB93_2
; %bb.45:                               ;   in Loop: Header=BB93_4 Depth=1
	v_dual_mov_b32 v4, v14 :: v_dual_mov_b32 v7, v1
	v_mov_b32_e32 v6, v0
	s_mov_b32 s26, 0
	s_set_inst_prefetch_distance 0x1
	.p2align	6
.LBB93_46:                              ;   Parent Loop BB93_4 Depth=1
                                        ; =>  This Inner Loop Header: Depth=2
	s_delay_alu instid0(VALU_DEP_1) | instskip(NEXT) | instid1(VALU_DEP_1)
	v_lshlrev_b64 v[18:19], 1, v[6:7]
	v_add_co_u32 v5, vcc_lo, s38, v18
	s_delay_alu instid0(VALU_DEP_2)
	v_add_co_ci_u32_e32 v6, vcc_lo, s39, v19, vcc_lo
	v_add_co_u32 v20, vcc_lo, s40, v18
	v_add_co_ci_u32_e32 v21, vcc_lo, s41, v19, vcc_lo
	v_add_co_u32 v18, s3, s4, v18
	global_load_u16 v5, v[5:6], off
	global_load_u16 v6, v[20:21], off
	v_add_co_ci_u32_e64 v19, s3, s5, v19, s3
	s_waitcnt vmcnt(1)
	v_lshlrev_b32_e32 v5, 16, v5
	s_waitcnt vmcnt(0)
	s_delay_alu instid0(VALU_DEP_1) | instskip(NEXT) | instid1(VALU_DEP_1)
	v_dual_subrev_f32 v5, s7, v5 :: v_dual_lshlrev_b32 v6, 16, v6
	v_fma_f32 v6, v8, v6, -v2
	s_delay_alu instid0(VALU_DEP_2) | instskip(NEXT) | instid1(VALU_DEP_1)
	v_mul_f32_e32 v5, s37, v5
	v_fma_f32 v5, -v5, v3, v6
	s_delay_alu instid0(VALU_DEP_1) | instskip(NEXT) | instid1(VALU_DEP_1)
	v_mul_f32_e32 v20, v17, v5
	v_bfe_u32 v5, v20, 16, 1
	v_cmp_o_f32_e64 s3, v20, v20
	s_delay_alu instid0(VALU_DEP_2) | instskip(SKIP_1) | instid1(VALU_DEP_1)
	v_add3_u32 v21, v20, v5, 0x7fff
	v_ashrrev_i32_e32 v5, 31, v4
	v_dual_mov_b32 v7, v5 :: v_dual_mov_b32 v6, v4
	v_cmp_le_i64_e32 vcc_lo, s[18:19], v[4:5]
	s_delay_alu instid0(VALU_DEP_4) | instskip(SKIP_1) | instid1(VALU_DEP_2)
	v_lshrrev_b32_e32 v5, 16, v21
	v_add_nc_u32_e32 v4, s35, v4
	v_cndmask_b32_e64 v5, 0x7fc0, v5, s3
	s_or_b32 s26, vcc_lo, s26
	global_store_b16 v[18:19], v5, off
	s_and_not1_b32 exec_lo, exec_lo, s26
	s_cbranch_execnz .LBB93_46
	s_branch .LBB93_2
.LBB93_47:
	s_endpgm
	.section	.rodata,"a",@progbits
	.p2align	6, 0x0
	.amdhsa_kernel _ZN2at6native12_GLOBAL__N_118cuComputeGradInputIN3c108BFloat16EfLb0EEEvPKT_S7_llPKT0_SA_S7_PS5_
		.amdhsa_group_segment_fixed_size 0
		.amdhsa_private_segment_fixed_size 0
		.amdhsa_kernarg_size 320
		.amdhsa_user_sgpr_count 14
		.amdhsa_user_sgpr_dispatch_ptr 0
		.amdhsa_user_sgpr_queue_ptr 0
		.amdhsa_user_sgpr_kernarg_segment_ptr 1
		.amdhsa_user_sgpr_dispatch_id 0
		.amdhsa_user_sgpr_private_segment_size 0
		.amdhsa_wavefront_size32 1
		.amdhsa_uses_dynamic_stack 0
		.amdhsa_enable_private_segment 0
		.amdhsa_system_sgpr_workgroup_id_x 1
		.amdhsa_system_sgpr_workgroup_id_y 1
		.amdhsa_system_sgpr_workgroup_id_z 0
		.amdhsa_system_sgpr_workgroup_info 0
		.amdhsa_system_vgpr_workitem_id 1
		.amdhsa_next_free_vgpr 24
		.amdhsa_next_free_sgpr 42
		.amdhsa_reserve_vcc 1
		.amdhsa_float_round_mode_32 0
		.amdhsa_float_round_mode_16_64 0
		.amdhsa_float_denorm_mode_32 3
		.amdhsa_float_denorm_mode_16_64 3
		.amdhsa_dx10_clamp 1
		.amdhsa_ieee_mode 1
		.amdhsa_fp16_overflow 0
		.amdhsa_workgroup_processor_mode 1
		.amdhsa_memory_ordered 1
		.amdhsa_forward_progress 0
		.amdhsa_shared_vgpr_count 0
		.amdhsa_exception_fp_ieee_invalid_op 0
		.amdhsa_exception_fp_denorm_src 0
		.amdhsa_exception_fp_ieee_div_zero 0
		.amdhsa_exception_fp_ieee_overflow 0
		.amdhsa_exception_fp_ieee_underflow 0
		.amdhsa_exception_fp_ieee_inexact 0
		.amdhsa_exception_int_div_zero 0
	.end_amdhsa_kernel
	.section	.text._ZN2at6native12_GLOBAL__N_118cuComputeGradInputIN3c108BFloat16EfLb0EEEvPKT_S7_llPKT0_SA_S7_PS5_,"axG",@progbits,_ZN2at6native12_GLOBAL__N_118cuComputeGradInputIN3c108BFloat16EfLb0EEEvPKT_S7_llPKT0_SA_S7_PS5_,comdat
.Lfunc_end93:
	.size	_ZN2at6native12_GLOBAL__N_118cuComputeGradInputIN3c108BFloat16EfLb0EEEvPKT_S7_llPKT0_SA_S7_PS5_, .Lfunc_end93-_ZN2at6native12_GLOBAL__N_118cuComputeGradInputIN3c108BFloat16EfLb0EEEvPKT_S7_llPKT0_SA_S7_PS5_
                                        ; -- End function
	.section	.AMDGPU.csdata,"",@progbits
; Kernel info:
; codeLenInByte = 1928
; NumSgprs: 44
; NumVgprs: 24
; ScratchSize: 0
; MemoryBound: 0
; FloatMode: 240
; IeeeMode: 1
; LDSByteSize: 0 bytes/workgroup (compile time only)
; SGPRBlocks: 5
; VGPRBlocks: 2
; NumSGPRsForWavesPerEU: 44
; NumVGPRsForWavesPerEU: 24
; Occupancy: 16
; WaveLimiterHint : 0
; COMPUTE_PGM_RSRC2:SCRATCH_EN: 0
; COMPUTE_PGM_RSRC2:USER_SGPR: 14
; COMPUTE_PGM_RSRC2:TRAP_HANDLER: 0
; COMPUTE_PGM_RSRC2:TGID_X_EN: 1
; COMPUTE_PGM_RSRC2:TGID_Y_EN: 1
; COMPUTE_PGM_RSRC2:TGID_Z_EN: 0
; COMPUTE_PGM_RSRC2:TIDIG_COMP_CNT: 1
	.section	.text._ZN2at6native12_GLOBAL__N_128layer_norm_grad_input_kernelIN3c108BFloat16EfLb0EEEvPKT_S7_PKT0_SA_S7_PS5_i,"axG",@progbits,_ZN2at6native12_GLOBAL__N_128layer_norm_grad_input_kernelIN3c108BFloat16EfLb0EEEvPKT_S7_PKT0_SA_S7_PS5_i,comdat
	.globl	_ZN2at6native12_GLOBAL__N_128layer_norm_grad_input_kernelIN3c108BFloat16EfLb0EEEvPKT_S7_PKT0_SA_S7_PS5_i ; -- Begin function _ZN2at6native12_GLOBAL__N_128layer_norm_grad_input_kernelIN3c108BFloat16EfLb0EEEvPKT_S7_PKT0_SA_S7_PS5_i
	.p2align	8
	.type	_ZN2at6native12_GLOBAL__N_128layer_norm_grad_input_kernelIN3c108BFloat16EfLb0EEEvPKT_S7_PKT0_SA_S7_PS5_i,@function
_ZN2at6native12_GLOBAL__N_128layer_norm_grad_input_kernelIN3c108BFloat16EfLb0EEEvPKT_S7_PKT0_SA_S7_PS5_i: ; @_ZN2at6native12_GLOBAL__N_128layer_norm_grad_input_kernelIN3c108BFloat16EfLb0EEEvPKT_S7_PKT0_SA_S7_PS5_i
; %bb.0:
	s_clause 0x2
	s_load_b32 s14, s[0:1], 0x30
	s_load_b256 s[4:11], s[0:1], 0x0
	s_load_b64 s[12:13], s[0:1], 0x20
	s_mov_b32 s2, s15
	s_mov_b32 s3, 0
	v_dual_mov_b32 v10, 0 :: v_dual_lshlrev_b32 v1, 2, v0
	s_lshl_b64 s[16:17], s[2:3], 2
	v_mov_b32_e32 v9, 0
	s_delay_alu instid0(VALU_DEP_2) | instskip(SKIP_4) | instid1(SALU_CYCLE_1)
	v_or_b32_e32 v2, 3, v1
	s_waitcnt lgkmcnt(0)
	s_ashr_i32 s15, s14, 31
	s_mul_hi_u32 s18, s14, s2
	s_mul_i32 s15, s15, s2
	s_add_i32 s19, s18, s15
	s_add_u32 s8, s8, s16
	s_addc_u32 s9, s9, s17
	s_add_u32 s16, s10, s16
	s_addc_u32 s17, s11, s17
	s_load_b32 s10, s[8:9], 0x0
	s_load_b32 s11, s[16:17], 0x0
	s_mul_i32 s18, s14, s2
	s_mov_b32 s2, exec_lo
	s_lshl_b64 s[8:9], s[18:19], 1
	s_delay_alu instid0(SALU_CYCLE_1)
	s_add_u32 s15, s6, s8
	s_addc_u32 s16, s7, s9
	s_add_u32 s17, s4, s8
	s_addc_u32 s18, s5, s9
	v_cmpx_gt_u32_e64 s14, v2
	s_cbranch_execz .LBB94_12
; %bb.1:
	s_load_b32 s20, s[0:1], 0x44
	s_cmp_lg_u64 s[12:13], 0
	v_dual_mov_b32 v10, 0 :: v_dual_mov_b32 v9, 0
	s_cselect_b32 s19, -1, 0
	v_mov_b32_e32 v2, 0
	s_waitcnt lgkmcnt(0)
	s_and_b32 s20, s20, 0xffff
	s_delay_alu instid0(SALU_CYCLE_1)
	s_lshl_b32 s20, s20, 2
	s_add_u32 s21, s12, 2
	s_addc_u32 s22, s13, 0
	s_add_u32 s23, s12, 4
	s_addc_u32 s24, s13, 0
	;; [unrolled: 2-line block ×3, first 2 shown]
	s_branch .LBB94_3
.LBB94_2:                               ;   in Loop: Header=BB94_3 Depth=1
	global_load_u16 v5, v[5:6], off offset:6
	global_load_u16 v3, v[3:4], off offset:6
	s_waitcnt vmcnt(5)
	v_lshlrev_b32_e32 v7, 16, v17
	s_waitcnt vmcnt(4)
	v_lshlrev_b32_e32 v8, 16, v18
	v_lshlrev_b32_e32 v4, 16, v16
	s_waitcnt vmcnt(2)
	v_lshlrev_b32_e32 v17, 16, v19
	s_delay_alu instid0(VALU_DEP_3) | instskip(SKIP_1) | instid1(VALU_DEP_2)
	v_dual_subrev_f32 v7, s10, v7 :: v_dual_mul_f32 v18, v11, v8
	v_lshlrev_b32_e32 v6, 16, v15
	v_dual_mul_f32 v16, v12, v4 :: v_dual_mul_f32 v7, v7, v18
	s_delay_alu instid0(VALU_DEP_2) | instskip(NEXT) | instid1(VALU_DEP_1)
	v_dual_subrev_f32 v6, s10, v6 :: v_dual_lshlrev_b32 v15, 16, v20
	v_dual_mul_f32 v6, v6, v16 :: v_dual_add_nc_u32 v1, s20, v1
	v_fmac_f32_e32 v10, v12, v4
	v_mul_f32_e32 v4, v14, v17
	s_delay_alu instid0(VALU_DEP_3) | instskip(NEXT) | instid1(VALU_DEP_1)
	v_dual_subrev_f32 v12, s10, v15 :: v_dual_fmac_f32 v9, s11, v6
	v_fmac_f32_e32 v9, s11, v7
	v_add_nc_u32_e32 v7, 3, v1
	s_delay_alu instid0(VALU_DEP_1)
	v_cmp_le_u32_e32 vcc_lo, s14, v7
	s_or_b32 s3, vcc_lo, s3
	s_waitcnt vmcnt(1)
	v_lshlrev_b32_e32 v5, 16, v5
	s_waitcnt vmcnt(0)
	v_dual_fmac_f32 v10, v11, v8 :: v_dual_lshlrev_b32 v3, 16, v3
	v_mul_f32_e32 v4, v12, v4
	s_delay_alu instid0(VALU_DEP_2) | instskip(NEXT) | instid1(VALU_DEP_2)
	v_dual_mul_f32 v6, v13, v5 :: v_dual_subrev_f32 v3, s10, v3
	v_dual_fmac_f32 v9, s11, v4 :: v_dual_fmac_f32 v10, v14, v17
	s_delay_alu instid0(VALU_DEP_1) | instskip(NEXT) | instid1(VALU_DEP_1)
	v_dual_mul_f32 v3, v3, v6 :: v_dual_fmac_f32 v10, v13, v5
	v_fmac_f32_e32 v9, s11, v3
	s_and_not1_b32 exec_lo, exec_lo, s3
	s_cbranch_execz .LBB94_11
.LBB94_3:                               ; =>This Inner Loop Header: Depth=1
	v_lshlrev_b64 v[7:8], 1, v[1:2]
	v_dual_mov_b32 v11, 1.0 :: v_dual_mov_b32 v12, 1.0
	s_and_b32 vcc_lo, exec_lo, s19
	s_cbranch_vccz .LBB94_5
; %bb.4:                                ;   in Loop: Header=BB94_3 Depth=1
	s_delay_alu instid0(VALU_DEP_2) | instskip(NEXT) | instid1(VALU_DEP_3)
	v_add_co_u32 v3, vcc_lo, s12, v7
	v_add_co_ci_u32_e32 v4, vcc_lo, s13, v8, vcc_lo
	global_load_u16 v3, v[3:4], off
	s_waitcnt vmcnt(0)
	v_lshlrev_b32_e32 v12, 16, v3
.LBB94_5:                               ;   in Loop: Header=BB94_3 Depth=1
	s_delay_alu instid0(VALU_DEP_2) | instskip(NEXT) | instid1(VALU_DEP_3)
	v_add_co_u32 v3, vcc_lo, s15, v7
	v_add_co_ci_u32_e32 v4, vcc_lo, s16, v8, vcc_lo
	v_add_co_u32 v5, vcc_lo, s17, v7
	v_add_co_ci_u32_e32 v6, vcc_lo, s18, v8, vcc_lo
	s_and_not1_b32 vcc_lo, exec_lo, s19
	global_load_u16 v15, v[3:4], off
	global_load_u16 v16, v[5:6], off
	s_cbranch_vccnz .LBB94_7
; %bb.6:                                ;   in Loop: Header=BB94_3 Depth=1
	v_add_co_u32 v13, vcc_lo, s21, v7
	v_add_co_ci_u32_e32 v14, vcc_lo, s22, v8, vcc_lo
	global_load_u16 v11, v[13:14], off
	s_waitcnt vmcnt(0)
	v_lshlrev_b32_e32 v11, 16, v11
.LBB94_7:                               ;   in Loop: Header=BB94_3 Depth=1
	global_load_u16 v17, v[3:4], off offset:2
	global_load_u16 v18, v[5:6], off offset:2
	v_dual_mov_b32 v13, 1.0 :: v_dual_mov_b32 v14, 1.0
	s_and_not1_b32 vcc_lo, exec_lo, s19
	s_cbranch_vccnz .LBB94_9
; %bb.8:                                ;   in Loop: Header=BB94_3 Depth=1
	v_add_co_u32 v19, vcc_lo, s23, v7
	v_add_co_ci_u32_e32 v20, vcc_lo, s24, v8, vcc_lo
	global_load_u16 v14, v[19:20], off
	s_waitcnt vmcnt(0)
	v_lshlrev_b32_e32 v14, 16, v14
.LBB94_9:                               ;   in Loop: Header=BB94_3 Depth=1
	global_load_u16 v20, v[3:4], off offset:4
	global_load_u16 v19, v[5:6], off offset:4
	s_and_not1_b32 vcc_lo, exec_lo, s19
	s_cbranch_vccnz .LBB94_2
; %bb.10:                               ;   in Loop: Header=BB94_3 Depth=1
	v_add_co_u32 v7, vcc_lo, s25, v7
	v_add_co_ci_u32_e32 v8, vcc_lo, s26, v8, vcc_lo
	global_load_u16 v7, v[7:8], off
	s_waitcnt vmcnt(0)
	v_lshlrev_b32_e32 v13, 16, v7
	s_branch .LBB94_2
.LBB94_11:
	s_or_b32 exec_lo, exec_lo, s3
.LBB94_12:
	s_delay_alu instid0(SALU_CYCLE_1) | instskip(NEXT) | instid1(SALU_CYCLE_1)
	s_or_b32 exec_lo, exec_lo, s2
	s_mov_b32 s3, exec_lo
	v_cmpx_gt_u32_e64 s14, v1
	s_cbranch_execz .LBB94_19
; %bb.13:
	v_mov_b32_e32 v2, 0
	s_cmp_lg_u64 s[12:13], 0
	s_delay_alu instid0(VALU_DEP_1) | instskip(NEXT) | instid1(VALU_DEP_1)
	v_lshlrev_b64 v[2:3], 1, v[1:2]
	v_add_co_u32 v6, vcc_lo, s8, v2
	s_delay_alu instid0(VALU_DEP_2) | instskip(SKIP_2) | instid1(VALU_DEP_4)
	v_add_co_ci_u32_e32 v7, vcc_lo, s9, v3, vcc_lo
	v_add_co_u32 v2, vcc_lo, s12, v2
	v_add_co_ci_u32_e32 v3, vcc_lo, s13, v3, vcc_lo
	v_add_co_u32 v4, vcc_lo, s6, v6
	s_delay_alu instid0(VALU_DEP_4)
	v_add_co_ci_u32_e32 v5, vcc_lo, s7, v7, vcc_lo
	v_add_co_u32 v6, vcc_lo, s4, v6
	v_add_co_ci_u32_e32 v7, vcc_lo, s5, v7, vcc_lo
	s_cselect_b32 s4, -1, 0
	s_mov_b32 s5, 0
	s_set_inst_prefetch_distance 0x1
	s_branch .LBB94_16
	.p2align	6
.LBB94_14:                              ;   in Loop: Header=BB94_16 Depth=1
	global_load_u16 v8, v[2:3], off
	s_waitcnt vmcnt(0)
	v_lshlrev_b32_e32 v8, 16, v8
.LBB94_15:                              ;   in Loop: Header=BB94_16 Depth=1
	global_load_u16 v11, v[6:7], off
	global_load_u16 v12, v[4:5], off
	v_add_co_u32 v2, vcc_lo, v2, 2
	v_add_co_ci_u32_e32 v3, vcc_lo, 0, v3, vcc_lo
	v_add_co_u32 v4, vcc_lo, v4, 2
	v_add_co_ci_u32_e32 v5, vcc_lo, 0, v5, vcc_lo
	v_add_co_u32 v6, s2, v6, 2
	s_delay_alu instid0(VALU_DEP_1) | instskip(SKIP_3) | instid1(VALU_DEP_1)
	v_add_co_ci_u32_e64 v7, s2, 0, v7, s2
	s_waitcnt vmcnt(0)
	v_lshlrev_b32_e32 v12, 16, v12
	s_waitcnt lgkmcnt(0)
	v_dual_subrev_f32 v12, s10, v12 :: v_dual_lshlrev_b32 v11, 16, v11
	s_delay_alu instid0(VALU_DEP_1) | instskip(SKIP_1) | instid1(VALU_DEP_2)
	v_mul_f32_e32 v13, v8, v11
	v_dual_fmac_f32 v10, v8, v11 :: v_dual_add_nc_u32 v1, 1, v1
	v_mul_f32_e32 v12, v12, v13
	s_delay_alu instid0(VALU_DEP_2) | instskip(NEXT) | instid1(VALU_DEP_2)
	v_cmp_le_u32_e32 vcc_lo, s14, v1
	v_fmac_f32_e32 v9, s11, v12
	s_or_b32 s5, vcc_lo, s5
	s_delay_alu instid0(SALU_CYCLE_1)
	s_and_not1_b32 exec_lo, exec_lo, s5
	s_cbranch_execz .LBB94_18
.LBB94_16:                              ; =>This Inner Loop Header: Depth=1
	s_and_not1_b32 vcc_lo, exec_lo, s4
	s_cbranch_vccz .LBB94_14
; %bb.17:                               ;   in Loop: Header=BB94_16 Depth=1
	v_mov_b32_e32 v8, 1.0
	s_branch .LBB94_15
.LBB94_18:
	s_set_inst_prefetch_distance 0x2
	s_or_b32 exec_lo, exec_lo, s5
.LBB94_19:
	s_delay_alu instid0(SALU_CYCLE_1)
	s_or_b32 exec_lo, exec_lo, s3
	v_mbcnt_lo_u32_b32 v1, -1, 0
	s_waitcnt lgkmcnt(0)
	s_barrier
	buffer_gl0_inv
	v_cmp_gt_u32_e32 vcc_lo, 16, v1
	v_cndmask_b32_e64 v2, 0, 1, vcc_lo
	v_cmp_gt_u32_e32 vcc_lo, 24, v1
	s_delay_alu instid0(VALU_DEP_2) | instskip(SKIP_2) | instid1(VALU_DEP_3)
	v_lshlrev_b32_e32 v2, 4, v2
	v_cndmask_b32_e64 v4, 0, 1, vcc_lo
	v_cmp_gt_u32_e32 vcc_lo, 28, v1
	v_add_lshl_u32 v3, v2, v1, 2
	s_delay_alu instid0(VALU_DEP_3)
	v_lshlrev_b32_e32 v4, 3, v4
	v_cndmask_b32_e64 v5, 0, 1, vcc_lo
	v_cmp_gt_u32_e32 vcc_lo, 30, v1
	ds_bpermute_b32 v2, v3, v10
	v_add_lshl_u32 v4, v4, v1, 2
	v_lshlrev_b32_e32 v5, 2, v5
	s_delay_alu instid0(VALU_DEP_1)
	v_add_lshl_u32 v5, v5, v1, 2
	s_waitcnt lgkmcnt(0)
	v_add_f32_e32 v2, v10, v2
	ds_bpermute_b32 v6, v4, v2
	s_waitcnt lgkmcnt(0)
	v_add_f32_e32 v2, v2, v6
	v_cndmask_b32_e64 v6, 0, 1, vcc_lo
	v_cmp_ne_u32_e32 vcc_lo, 31, v1
	ds_bpermute_b32 v7, v5, v2
	v_lshlrev_b32_e32 v6, 1, v6
	v_add_co_ci_u32_e32 v8, vcc_lo, 0, v1, vcc_lo
	s_delay_alu instid0(VALU_DEP_2)
	v_add_lshl_u32 v6, v6, v1, 2
	s_waitcnt lgkmcnt(0)
	v_add_f32_e32 v2, v2, v7
	ds_bpermute_b32 v7, v6, v2
	s_waitcnt lgkmcnt(0)
	v_add_f32_e32 v1, v2, v7
	v_lshlrev_b32_e32 v7, 2, v8
	v_and_b32_e32 v8, 31, v0
	v_lshrrev_b32_e32 v2, 3, v0
	ds_bpermute_b32 v10, v7, v1
	v_cmp_eq_u32_e32 vcc_lo, 0, v8
	s_and_saveexec_b32 s2, vcc_lo
	s_cbranch_execz .LBB94_21
; %bb.20:
	v_add_nc_u32_e32 v11, 0, v2
	s_waitcnt lgkmcnt(0)
	v_add_f32_e32 v1, v1, v10
	ds_store_b32 v11, v1
.LBB94_21:
	s_or_b32 exec_lo, exec_lo, s2
	s_waitcnt lgkmcnt(0)
	s_barrier
	buffer_gl0_inv
	s_load_b32 s4, s[0:1], 0x44
	v_mov_b32_e32 v1, 0
	v_lshl_add_u32 v8, v8, 2, 0
	s_waitcnt lgkmcnt(0)
	s_bfe_u32 s2, s4, 0xb0005
	s_delay_alu instid0(SALU_CYCLE_1) | instskip(NEXT) | instid1(VALU_DEP_1)
	v_cmp_gt_u32_e64 s2, s2, v0
	s_and_saveexec_b32 s3, s2
	s_cbranch_execz .LBB94_23
; %bb.22:
	ds_load_b32 v1, v8
.LBB94_23:
	s_or_b32 exec_lo, exec_lo, s3
	v_cmp_gt_u32_e64 s3, 32, v0
	s_delay_alu instid0(VALU_DEP_1)
	s_and_saveexec_b32 s5, s3
	s_cbranch_execz .LBB94_25
; %bb.24:
	s_waitcnt lgkmcnt(0)
	ds_bpermute_b32 v10, v3, v1
	s_waitcnt lgkmcnt(0)
	v_add_f32_e32 v1, v1, v10
	ds_bpermute_b32 v10, v4, v1
	s_waitcnt lgkmcnt(0)
	v_add_f32_e32 v1, v1, v10
	ds_bpermute_b32 v10, v5, v1
	s_waitcnt lgkmcnt(0)
	v_add_f32_e32 v1, v1, v10
	ds_bpermute_b32 v10, v6, v1
	s_waitcnt lgkmcnt(0)
	v_add_f32_e32 v1, v1, v10
	ds_bpermute_b32 v10, v7, v1
	s_waitcnt lgkmcnt(0)
	v_add_f32_e32 v1, v1, v10
.LBB94_25:
	s_or_b32 exec_lo, exec_lo, s5
	ds_bpermute_b32 v10, v3, v9
	s_waitcnt lgkmcnt(0)
	s_barrier
	buffer_gl0_inv
	v_add_f32_e32 v9, v9, v10
	ds_bpermute_b32 v10, v4, v9
	s_waitcnt lgkmcnt(0)
	v_add_f32_e32 v9, v9, v10
	ds_bpermute_b32 v10, v5, v9
	s_waitcnt lgkmcnt(0)
	;; [unrolled: 3-line block ×3, first 2 shown]
	v_add_f32_e32 v9, v9, v10
	ds_bpermute_b32 v10, v7, v9
	s_and_saveexec_b32 s5, vcc_lo
	s_cbranch_execz .LBB94_27
; %bb.26:
	v_add_nc_u32_e32 v2, 0, v2
	s_waitcnt lgkmcnt(0)
	v_add_f32_e32 v9, v9, v10
	ds_store_b32 v2, v9
.LBB94_27:
	s_or_b32 exec_lo, exec_lo, s5
	v_mov_b32_e32 v2, 0
	s_waitcnt lgkmcnt(0)
	s_barrier
	buffer_gl0_inv
	s_and_saveexec_b32 s5, s2
	s_cbranch_execz .LBB94_29
; %bb.28:
	ds_load_b32 v2, v8
.LBB94_29:
	s_or_b32 exec_lo, exec_lo, s5
	s_and_saveexec_b32 s2, s3
	s_cbranch_execz .LBB94_31
; %bb.30:
	s_waitcnt lgkmcnt(0)
	ds_bpermute_b32 v3, v3, v2
	s_waitcnt lgkmcnt(0)
	v_add_f32_e32 v2, v2, v3
	ds_bpermute_b32 v3, v4, v2
	s_waitcnt lgkmcnt(0)
	v_add_f32_e32 v2, v2, v3
	;; [unrolled: 3-line block ×5, first 2 shown]
.LBB94_31:
	s_or_b32 exec_lo, exec_lo, s2
	s_delay_alu instid0(SALU_CYCLE_1)
	s_mov_b32 s2, exec_lo
	v_cmpx_eq_u32_e32 0, v0
	s_cbranch_execz .LBB94_33
; %bb.32:
	v_mov_b32_e32 v3, 0
	s_waitcnt lgkmcnt(0)
	ds_store_b64 v3, v[1:2]
.LBB94_33:
	s_or_b32 exec_lo, exec_lo, s2
	s_waitcnt lgkmcnt(0)
	s_barrier
	buffer_gl0_inv
	s_mov_b32 s2, exec_lo
	v_cmpx_gt_i32_e64 s14, v0
	s_cbranch_execz .LBB94_39
; %bb.34:
	v_cvt_f32_i32_e32 v6, s14
	s_load_b64 s[2:3], s[0:1], 0x28
	s_and_b32 s1, s4, 0xffff
	s_mov_b32 s5, 0
	s_delay_alu instid0(VALU_DEP_1) | instskip(SKIP_1) | instid1(VALU_DEP_2)
	v_div_scale_f32 v1, null, v6, v6, 1.0
	v_div_scale_f32 v3, vcc_lo, 1.0, v6, 1.0
	v_rcp_f32_e32 v4, v1
	s_waitcnt_depctr 0xfff
	v_fma_f32 v2, -v1, v4, 1.0
	s_waitcnt lgkmcnt(0)
	s_add_u32 s2, s2, s8
	s_addc_u32 s3, s3, s9
	s_cmp_lg_u64 s[12:13], 0
	s_cselect_b32 s4, -1, 0
	v_fmac_f32_e32 v4, v2, v4
	s_delay_alu instid0(VALU_DEP_1) | instskip(NEXT) | instid1(VALU_DEP_1)
	v_mul_f32_e32 v5, v3, v4
	v_fma_f32 v2, -v1, v5, v3
	s_delay_alu instid0(VALU_DEP_1) | instskip(NEXT) | instid1(VALU_DEP_1)
	v_dual_fmac_f32 v5, v2, v4 :: v_dual_mov_b32 v2, 0
	v_fma_f32 v1, -v1, v5, v3
	ds_load_b64 v[2:3], v2
	v_div_fmas_f32 v1, v1, v4, v5
	s_delay_alu instid0(VALU_DEP_1) | instskip(NEXT) | instid1(VALU_DEP_1)
	v_div_fixup_f32 v1, v1, v6, 1.0
	v_mul_f32_e32 v7, s11, v1
	s_branch .LBB94_37
.LBB94_35:                              ;   in Loop: Header=BB94_37 Depth=1
	v_add_co_u32 v9, vcc_lo, s12, v4
	v_add_co_ci_u32_e32 v10, vcc_lo, s13, v5, vcc_lo
	global_load_u16 v9, v[9:10], off
	s_waitcnt vmcnt(0)
	v_lshlrev_b32_e32 v9, 16, v9
.LBB94_36:                              ;   in Loop: Header=BB94_37 Depth=1
	s_waitcnt vmcnt(1)
	s_delay_alu instid0(VALU_DEP_1) | instskip(SKIP_3) | instid1(VALU_DEP_3)
	v_dual_mul_f32 v9, v9, v6 :: v_dual_lshlrev_b32 v8, 16, v8
	s_waitcnt vmcnt(0)
	v_lshlrev_b32_e32 v1, 16, v1
	v_add_nc_u32_e32 v0, s1, v0
	v_subrev_f32_e32 v8, s10, v8
	s_delay_alu instid0(VALU_DEP_2) | instskip(NEXT) | instid1(VALU_DEP_2)
	v_cmp_le_i32_e32 vcc_lo, s14, v0
	v_mul_f32_e32 v8, s11, v8
	s_or_b32 s5, vcc_lo, s5
	s_waitcnt lgkmcnt(0)
	s_delay_alu instid0(VALU_DEP_1) | instskip(NEXT) | instid1(VALU_DEP_1)
	v_mul_f32_e32 v8, v3, v8
	v_fma_f32 v1, v9, v1, -v8
	s_delay_alu instid0(VALU_DEP_1) | instskip(NEXT) | instid1(VALU_DEP_1)
	v_sub_f32_e32 v1, v1, v2
	v_mul_f32_e32 v1, v7, v1
	s_delay_alu instid0(VALU_DEP_1) | instskip(SKIP_1) | instid1(VALU_DEP_2)
	v_bfe_u32 v8, v1, 16, 1
	v_cmp_o_f32_e64 s0, v1, v1
	v_add3_u32 v8, v1, v8, 0x7fff
	s_delay_alu instid0(VALU_DEP_1) | instskip(NEXT) | instid1(VALU_DEP_1)
	v_lshrrev_b32_e32 v8, 16, v8
	v_cndmask_b32_e64 v1, 0x7fc0, v8, s0
	v_add_co_u32 v4, s0, s2, v4
	s_delay_alu instid0(VALU_DEP_1)
	v_add_co_ci_u32_e64 v5, s0, s3, v5, s0
	global_store_b16 v[4:5], v1, off
	s_and_not1_b32 exec_lo, exec_lo, s5
	s_cbranch_execz .LBB94_39
.LBB94_37:                              ; =>This Inner Loop Header: Depth=1
	v_ashrrev_i32_e32 v1, 31, v0
	s_delay_alu instid0(VALU_DEP_1) | instskip(NEXT) | instid1(VALU_DEP_1)
	v_lshlrev_b64 v[4:5], 1, v[0:1]
	v_add_co_u32 v8, vcc_lo, s15, v4
	s_delay_alu instid0(VALU_DEP_2)
	v_add_co_ci_u32_e32 v9, vcc_lo, s16, v5, vcc_lo
	v_add_co_u32 v10, vcc_lo, s17, v4
	v_add_co_ci_u32_e32 v11, vcc_lo, s18, v5, vcc_lo
	s_and_not1_b32 vcc_lo, exec_lo, s4
	global_load_u16 v8, v[8:9], off
	global_load_u16 v1, v[10:11], off
	s_cbranch_vccz .LBB94_35
; %bb.38:                               ;   in Loop: Header=BB94_37 Depth=1
	v_mov_b32_e32 v9, 1.0
	s_branch .LBB94_36
.LBB94_39:
	s_nop 0
	s_sendmsg sendmsg(MSG_DEALLOC_VGPRS)
	s_endpgm
	.section	.rodata,"a",@progbits
	.p2align	6, 0x0
	.amdhsa_kernel _ZN2at6native12_GLOBAL__N_128layer_norm_grad_input_kernelIN3c108BFloat16EfLb0EEEvPKT_S7_PKT0_SA_S7_PS5_i
		.amdhsa_group_segment_fixed_size 0
		.amdhsa_private_segment_fixed_size 0
		.amdhsa_kernarg_size 312
		.amdhsa_user_sgpr_count 15
		.amdhsa_user_sgpr_dispatch_ptr 0
		.amdhsa_user_sgpr_queue_ptr 0
		.amdhsa_user_sgpr_kernarg_segment_ptr 1
		.amdhsa_user_sgpr_dispatch_id 0
		.amdhsa_user_sgpr_private_segment_size 0
		.amdhsa_wavefront_size32 1
		.amdhsa_uses_dynamic_stack 0
		.amdhsa_enable_private_segment 0
		.amdhsa_system_sgpr_workgroup_id_x 1
		.amdhsa_system_sgpr_workgroup_id_y 0
		.amdhsa_system_sgpr_workgroup_id_z 0
		.amdhsa_system_sgpr_workgroup_info 0
		.amdhsa_system_vgpr_workitem_id 0
		.amdhsa_next_free_vgpr 21
		.amdhsa_next_free_sgpr 27
		.amdhsa_reserve_vcc 1
		.amdhsa_float_round_mode_32 0
		.amdhsa_float_round_mode_16_64 0
		.amdhsa_float_denorm_mode_32 3
		.amdhsa_float_denorm_mode_16_64 3
		.amdhsa_dx10_clamp 1
		.amdhsa_ieee_mode 1
		.amdhsa_fp16_overflow 0
		.amdhsa_workgroup_processor_mode 1
		.amdhsa_memory_ordered 1
		.amdhsa_forward_progress 0
		.amdhsa_shared_vgpr_count 0
		.amdhsa_exception_fp_ieee_invalid_op 0
		.amdhsa_exception_fp_denorm_src 0
		.amdhsa_exception_fp_ieee_div_zero 0
		.amdhsa_exception_fp_ieee_overflow 0
		.amdhsa_exception_fp_ieee_underflow 0
		.amdhsa_exception_fp_ieee_inexact 0
		.amdhsa_exception_int_div_zero 0
	.end_amdhsa_kernel
	.section	.text._ZN2at6native12_GLOBAL__N_128layer_norm_grad_input_kernelIN3c108BFloat16EfLb0EEEvPKT_S7_PKT0_SA_S7_PS5_i,"axG",@progbits,_ZN2at6native12_GLOBAL__N_128layer_norm_grad_input_kernelIN3c108BFloat16EfLb0EEEvPKT_S7_PKT0_SA_S7_PS5_i,comdat
.Lfunc_end94:
	.size	_ZN2at6native12_GLOBAL__N_128layer_norm_grad_input_kernelIN3c108BFloat16EfLb0EEEvPKT_S7_PKT0_SA_S7_PS5_i, .Lfunc_end94-_ZN2at6native12_GLOBAL__N_128layer_norm_grad_input_kernelIN3c108BFloat16EfLb0EEEvPKT_S7_PKT0_SA_S7_PS5_i
                                        ; -- End function
	.section	.AMDGPU.csdata,"",@progbits
; Kernel info:
; codeLenInByte = 2188
; NumSgprs: 29
; NumVgprs: 21
; ScratchSize: 0
; MemoryBound: 0
; FloatMode: 240
; IeeeMode: 1
; LDSByteSize: 0 bytes/workgroup (compile time only)
; SGPRBlocks: 3
; VGPRBlocks: 2
; NumSGPRsForWavesPerEU: 29
; NumVGPRsForWavesPerEU: 21
; Occupancy: 16
; WaveLimiterHint : 0
; COMPUTE_PGM_RSRC2:SCRATCH_EN: 0
; COMPUTE_PGM_RSRC2:USER_SGPR: 15
; COMPUTE_PGM_RSRC2:TRAP_HANDLER: 0
; COMPUTE_PGM_RSRC2:TGID_X_EN: 1
; COMPUTE_PGM_RSRC2:TGID_Y_EN: 0
; COMPUTE_PGM_RSRC2:TGID_Z_EN: 0
; COMPUTE_PGM_RSRC2:TIDIG_COMP_CNT: 0
	.section	.text._ZN2at6native12_GLOBAL__N_133GammaBetaBackwardSimpleCUDAKernelIN3c108BFloat16EfLb0EEEvllPKT_S7_PKT0_SA_PS5_SB_,"axG",@progbits,_ZN2at6native12_GLOBAL__N_133GammaBetaBackwardSimpleCUDAKernelIN3c108BFloat16EfLb0EEEvllPKT_S7_PKT0_SA_PS5_SB_,comdat
	.globl	_ZN2at6native12_GLOBAL__N_133GammaBetaBackwardSimpleCUDAKernelIN3c108BFloat16EfLb0EEEvllPKT_S7_PKT0_SA_PS5_SB_ ; -- Begin function _ZN2at6native12_GLOBAL__N_133GammaBetaBackwardSimpleCUDAKernelIN3c108BFloat16EfLb0EEEvllPKT_S7_PKT0_SA_PS5_SB_
	.p2align	8
	.type	_ZN2at6native12_GLOBAL__N_133GammaBetaBackwardSimpleCUDAKernelIN3c108BFloat16EfLb0EEEvllPKT_S7_PKT0_SA_PS5_SB_,@function
_ZN2at6native12_GLOBAL__N_133GammaBetaBackwardSimpleCUDAKernelIN3c108BFloat16EfLb0EEEvllPKT_S7_PKT0_SA_PS5_SB_: ; @_ZN2at6native12_GLOBAL__N_133GammaBetaBackwardSimpleCUDAKernelIN3c108BFloat16EfLb0EEEvllPKT_S7_PKT0_SA_PS5_SB_
; %bb.0:
	s_clause 0x1
	s_load_b32 s2, s[0:1], 0x4c
	s_load_b512 s[16:31], s[0:1], 0x0
	v_mov_b32_e32 v1, 0
	s_waitcnt lgkmcnt(0)
	s_and_b32 s0, s2, 0xffff
	s_delay_alu instid0(VALU_DEP_1) | instid1(SALU_CYCLE_1)
	v_mad_u64_u32 v[2:3], null, s0, s15, v[0:1]
	s_mov_b32 s0, exec_lo
	s_delay_alu instid0(VALU_DEP_1)
	v_cmpx_gt_i64_e64 s[18:19], v[2:3]
	s_cbranch_execz .LBB95_12
; %bb.1:
	v_cmp_lt_i64_e64 s0, s[16:17], 1
	v_lshlrev_b64 v[2:3], 1, v[2:3]
	v_mov_b32_e32 v0, 0
	s_delay_alu instid0(VALU_DEP_3)
	s_and_b32 vcc_lo, exec_lo, s0
	s_cbranch_vccnz .LBB95_8
; %bb.2:
	s_cmp_lg_u64 s[28:29], 0
	s_delay_alu instid0(VALU_DEP_2)
	v_dual_mov_b32 v5, v3 :: v_dual_mov_b32 v0, 0
	v_dual_mov_b32 v1, 0 :: v_dual_mov_b32 v4, v2
	s_cselect_b32 s2, -1, 0
	s_cmp_lg_u64 s[30:31], 0
	s_cselect_b32 s3, -1, 0
	s_lshl_b64 s[0:1], s[18:19], 1
	s_set_inst_prefetch_distance 0x1
	s_branch .LBB95_4
	.p2align	6
.LBB95_3:                               ;   in Loop: Header=BB95_4 Depth=1
	s_add_u32 s16, s16, -1
	s_addc_u32 s17, s17, -1
	v_add_co_u32 v4, vcc_lo, v4, s0
	s_add_u32 s26, s26, 4
	v_dual_add_f32 v1, v1, v6 :: v_dual_add_f32 v0, v0, v7
	v_add_co_ci_u32_e32 v5, vcc_lo, s1, v5, vcc_lo
	s_addc_u32 s27, s27, 0
	s_add_u32 s24, s24, 4
	s_addc_u32 s25, s25, 0
	s_cmp_eq_u64 s[16:17], 0
	s_cbranch_scc1 .LBB95_8
.LBB95_4:                               ; =>This Inner Loop Header: Depth=1
	v_mov_b32_e32 v6, 0
	s_and_not1_b32 vcc_lo, exec_lo, s2
	s_cbranch_vccnz .LBB95_6
; %bb.5:                                ;   in Loop: Header=BB95_4 Depth=1
	v_add_co_u32 v6, vcc_lo, s22, v4
	v_add_co_ci_u32_e32 v7, vcc_lo, s23, v5, vcc_lo
	v_add_co_u32 v8, vcc_lo, s20, v4
	v_add_co_ci_u32_e32 v9, vcc_lo, s21, v5, vcc_lo
	global_load_u16 v6, v[6:7], off
	global_load_u16 v7, v[8:9], off
	s_load_b32 s4, s[24:25], 0x0
	s_load_b32 s5, s[26:27], 0x0
	s_waitcnt vmcnt(1)
	v_lshlrev_b32_e32 v6, 16, v6
	s_waitcnt vmcnt(0) lgkmcnt(0)
	s_delay_alu instid0(VALU_DEP_1) | instskip(NEXT) | instid1(VALU_DEP_1)
	v_dual_subrev_f32 v6, s4, v6 :: v_dual_lshlrev_b32 v7, 16, v7
	v_mul_f32_e32 v6, v6, v7
	s_delay_alu instid0(VALU_DEP_1)
	v_mul_f32_e32 v6, s5, v6
.LBB95_6:                               ;   in Loop: Header=BB95_4 Depth=1
	v_mov_b32_e32 v7, 0
	s_and_not1_b32 vcc_lo, exec_lo, s3
	s_cbranch_vccnz .LBB95_3
; %bb.7:                                ;   in Loop: Header=BB95_4 Depth=1
	v_add_co_u32 v7, vcc_lo, s20, v4
	v_add_co_ci_u32_e32 v8, vcc_lo, s21, v5, vcc_lo
	global_load_u16 v7, v[7:8], off
	s_waitcnt vmcnt(0)
	v_lshlrev_b32_e32 v7, 16, v7
	s_branch .LBB95_3
.LBB95_8:
	s_set_inst_prefetch_distance 0x2
	s_cmp_lg_u64 s[28:29], 0
	s_cbranch_scc0 .LBB95_10
; %bb.9:
	v_bfe_u32 v4, v1, 16, 1
	v_cmp_o_f32_e32 vcc_lo, v1, v1
	s_delay_alu instid0(VALU_DEP_2) | instskip(NEXT) | instid1(VALU_DEP_1)
	v_add3_u32 v4, v1, v4, 0x7fff
	v_lshrrev_b32_e32 v4, 16, v4
	s_delay_alu instid0(VALU_DEP_1)
	v_cndmask_b32_e32 v1, 0x7fc0, v4, vcc_lo
	v_add_co_u32 v4, vcc_lo, s28, v2
	v_add_co_ci_u32_e32 v5, vcc_lo, s29, v3, vcc_lo
	global_store_b16 v[4:5], v1, off
.LBB95_10:
	s_cmp_eq_u64 s[30:31], 0
	s_cbranch_scc1 .LBB95_12
; %bb.11:
	v_bfe_u32 v1, v0, 16, 1
	v_cmp_o_f32_e32 vcc_lo, v0, v0
	s_delay_alu instid0(VALU_DEP_2) | instskip(NEXT) | instid1(VALU_DEP_1)
	v_add3_u32 v1, v0, v1, 0x7fff
	v_lshrrev_b32_e32 v1, 16, v1
	s_delay_alu instid0(VALU_DEP_1)
	v_cndmask_b32_e32 v4, 0x7fc0, v1, vcc_lo
	v_add_co_u32 v0, vcc_lo, s30, v2
	v_add_co_ci_u32_e32 v1, vcc_lo, s31, v3, vcc_lo
	global_store_b16 v[0:1], v4, off
.LBB95_12:
	s_nop 0
	s_sendmsg sendmsg(MSG_DEALLOC_VGPRS)
	s_endpgm
	.section	.rodata,"a",@progbits
	.p2align	6, 0x0
	.amdhsa_kernel _ZN2at6native12_GLOBAL__N_133GammaBetaBackwardSimpleCUDAKernelIN3c108BFloat16EfLb0EEEvllPKT_S7_PKT0_SA_PS5_SB_
		.amdhsa_group_segment_fixed_size 0
		.amdhsa_private_segment_fixed_size 0
		.amdhsa_kernarg_size 320
		.amdhsa_user_sgpr_count 15
		.amdhsa_user_sgpr_dispatch_ptr 0
		.amdhsa_user_sgpr_queue_ptr 0
		.amdhsa_user_sgpr_kernarg_segment_ptr 1
		.amdhsa_user_sgpr_dispatch_id 0
		.amdhsa_user_sgpr_private_segment_size 0
		.amdhsa_wavefront_size32 1
		.amdhsa_uses_dynamic_stack 0
		.amdhsa_enable_private_segment 0
		.amdhsa_system_sgpr_workgroup_id_x 1
		.amdhsa_system_sgpr_workgroup_id_y 0
		.amdhsa_system_sgpr_workgroup_id_z 0
		.amdhsa_system_sgpr_workgroup_info 0
		.amdhsa_system_vgpr_workitem_id 0
		.amdhsa_next_free_vgpr 10
		.amdhsa_next_free_sgpr 32
		.amdhsa_reserve_vcc 1
		.amdhsa_float_round_mode_32 0
		.amdhsa_float_round_mode_16_64 0
		.amdhsa_float_denorm_mode_32 3
		.amdhsa_float_denorm_mode_16_64 3
		.amdhsa_dx10_clamp 1
		.amdhsa_ieee_mode 1
		.amdhsa_fp16_overflow 0
		.amdhsa_workgroup_processor_mode 1
		.amdhsa_memory_ordered 1
		.amdhsa_forward_progress 0
		.amdhsa_shared_vgpr_count 0
		.amdhsa_exception_fp_ieee_invalid_op 0
		.amdhsa_exception_fp_denorm_src 0
		.amdhsa_exception_fp_ieee_div_zero 0
		.amdhsa_exception_fp_ieee_overflow 0
		.amdhsa_exception_fp_ieee_underflow 0
		.amdhsa_exception_fp_ieee_inexact 0
		.amdhsa_exception_int_div_zero 0
	.end_amdhsa_kernel
	.section	.text._ZN2at6native12_GLOBAL__N_133GammaBetaBackwardSimpleCUDAKernelIN3c108BFloat16EfLb0EEEvllPKT_S7_PKT0_SA_PS5_SB_,"axG",@progbits,_ZN2at6native12_GLOBAL__N_133GammaBetaBackwardSimpleCUDAKernelIN3c108BFloat16EfLb0EEEvllPKT_S7_PKT0_SA_PS5_SB_,comdat
.Lfunc_end95:
	.size	_ZN2at6native12_GLOBAL__N_133GammaBetaBackwardSimpleCUDAKernelIN3c108BFloat16EfLb0EEEvllPKT_S7_PKT0_SA_PS5_SB_, .Lfunc_end95-_ZN2at6native12_GLOBAL__N_133GammaBetaBackwardSimpleCUDAKernelIN3c108BFloat16EfLb0EEEvllPKT_S7_PKT0_SA_PS5_SB_
                                        ; -- End function
	.section	.AMDGPU.csdata,"",@progbits
; Kernel info:
; codeLenInByte = 508
; NumSgprs: 34
; NumVgprs: 10
; ScratchSize: 0
; MemoryBound: 0
; FloatMode: 240
; IeeeMode: 1
; LDSByteSize: 0 bytes/workgroup (compile time only)
; SGPRBlocks: 4
; VGPRBlocks: 1
; NumSGPRsForWavesPerEU: 34
; NumVGPRsForWavesPerEU: 10
; Occupancy: 16
; WaveLimiterHint : 0
; COMPUTE_PGM_RSRC2:SCRATCH_EN: 0
; COMPUTE_PGM_RSRC2:USER_SGPR: 15
; COMPUTE_PGM_RSRC2:TRAP_HANDLER: 0
; COMPUTE_PGM_RSRC2:TGID_X_EN: 1
; COMPUTE_PGM_RSRC2:TGID_Y_EN: 0
; COMPUTE_PGM_RSRC2:TGID_Z_EN: 0
; COMPUTE_PGM_RSRC2:TIDIG_COMP_CNT: 0
	.section	.text._ZN2at6native12_GLOBAL__N_135GammaBetaBackwardCUDAKernelTemplateIN3c108BFloat16EfLj64ELj1ELj32ELb1ELb1ELb0EEEvllPKT_S7_PKT0_SA_PS5_SB_,"axG",@progbits,_ZN2at6native12_GLOBAL__N_135GammaBetaBackwardCUDAKernelTemplateIN3c108BFloat16EfLj64ELj1ELj32ELb1ELb1ELb0EEEvllPKT_S7_PKT0_SA_PS5_SB_,comdat
	.globl	_ZN2at6native12_GLOBAL__N_135GammaBetaBackwardCUDAKernelTemplateIN3c108BFloat16EfLj64ELj1ELj32ELb1ELb1ELb0EEEvllPKT_S7_PKT0_SA_PS5_SB_ ; -- Begin function _ZN2at6native12_GLOBAL__N_135GammaBetaBackwardCUDAKernelTemplateIN3c108BFloat16EfLj64ELj1ELj32ELb1ELb1ELb0EEEvllPKT_S7_PKT0_SA_PS5_SB_
	.p2align	8
	.type	_ZN2at6native12_GLOBAL__N_135GammaBetaBackwardCUDAKernelTemplateIN3c108BFloat16EfLj64ELj1ELj32ELb1ELb1ELb0EEEvllPKT_S7_PKT0_SA_PS5_SB_,@function
_ZN2at6native12_GLOBAL__N_135GammaBetaBackwardCUDAKernelTemplateIN3c108BFloat16EfLj64ELj1ELj32ELb1ELb1ELb0EEEvllPKT_S7_PKT0_SA_PS5_SB_: ; @_ZN2at6native12_GLOBAL__N_135GammaBetaBackwardCUDAKernelTemplateIN3c108BFloat16EfLj64ELj1ELj32ELb1ELb1ELb0EEEvllPKT_S7_PKT0_SA_PS5_SB_
; %bb.0:
	s_load_b128 s[16:19], s[0:1], 0x0
	s_mov_b32 s13, 0
	s_lshl_b32 s12, s15, 5
	v_bfe_u32 v6, v0, 10, 10
	s_mov_b32 s2, s15
	s_waitcnt lgkmcnt(0)
	v_cmp_lt_i64_e64 s3, s[12:13], s[16:17]
	s_delay_alu instid0(VALU_DEP_1)
	s_and_b32 vcc_lo, exec_lo, s3
	s_cbranch_vccnz .LBB96_2
; %bb.1:
	v_bfe_u32 v1, v0, 10, 10
	s_add_u32 s24, s0, 64
	s_addc_u32 s25, s1, 0
	s_mov_b32 s4, 0
	s_mov_b32 s3, s13
	s_branch .LBB96_3
.LBB96_2:
	s_mov_b32 s3, -1
                                        ; implicit-def: $sgpr4
                                        ; implicit-def: $sgpr24_sgpr25
                                        ; implicit-def: $vgpr1
.LBB96_3:
	s_load_b128 s[20:23], s[0:1], 0x30
	v_dual_mov_b32 v26, s4 :: v_dual_and_b32 v7, 0x3ff, v0
	v_mov_b32_e32 v43, s4
	s_and_not1_b32 vcc_lo, exec_lo, s3
	s_cbranch_vccnz .LBB96_9
; %bb.4:
	s_clause 0x2
	s_load_b32 s3, s[0:1], 0x4c
	s_load_b32 s15, s[0:1], 0x44
	s_load_b256 s[4:11], s[0:1], 0x10
	v_dual_mov_b32 v1, 0 :: v_dual_lshlrev_b32 v2, 5, v6
	s_add_u32 s24, s0, 64
	s_addc_u32 s25, s1, 0
	v_lshl_add_u32 v0, s14, 6, v7
	v_dual_mov_b32 v8, 4 :: v_dual_mov_b32 v9, 8
	v_dual_mov_b32 v10, 12 :: v_dual_mov_b32 v11, 16
	s_delay_alu instid0(VALU_DEP_3)
	v_lshlrev_b64 v[40:41], 1, v[0:1]
	v_dual_mov_b32 v12, 20 :: v_dual_mov_b32 v13, 24
	v_dual_mov_b32 v14, 28 :: v_dual_mov_b32 v15, 32
	;; [unrolled: 1-line block ×4, first 2 shown]
	s_waitcnt lgkmcnt(0)
	s_and_b32 s0, s3, 0xffff
	s_lshl_b32 s26, s15, 5
	v_mad_u32_u24 v3, v6, s0, v7
	v_add_co_u32 v42, s0, v2, s12
	s_delay_alu instid0(VALU_DEP_1) | instskip(NEXT) | instid1(VALU_DEP_3)
	v_add_co_ci_u32_e64 v43, null, 0, 0, s0
	v_dual_mov_b32 v25, 0x48 :: v_dual_and_b32 v26, 31, v3
	s_delay_alu instid0(VALU_DEP_3) | instskip(NEXT) | instid1(VALU_DEP_3)
	v_mul_lo_u32 v4, s19, v42
	v_mul_lo_u32 v5, s18, v43
	v_mad_u64_u32 v[2:3], null, s18, v42, 0
	s_mul_i32 s0, s19, s26
	s_mul_hi_u32 s1, s18, s26
	v_dual_mov_b32 v20, 52 :: v_dual_mov_b32 v21, 56
	v_dual_mov_b32 v22, 60 :: v_dual_mov_b32 v23, 64
	s_delay_alu instid0(VALU_DEP_3)
	v_add3_u32 v3, v3, v5, v4
	v_mov_b32_e32 v24, 0x44
	v_mov_b32_e32 v27, 0x4c
	;; [unrolled: 1-line block ×4, first 2 shown]
	v_lshlrev_b64 v[4:5], 1, v[2:3]
	v_add_co_u32 v2, vcc_lo, v42, v26
	v_mov_b32_e32 v26, 0
	v_add_co_ci_u32_e32 v3, vcc_lo, 0, v43, vcc_lo
	s_delay_alu instid0(VALU_DEP_4) | instskip(SKIP_1) | instid1(VALU_DEP_3)
	v_add_co_u32 v0, vcc_lo, v4, v40
	v_add_co_ci_u32_e32 v40, vcc_lo, v5, v41, vcc_lo
	v_lshlrev_b64 v[4:5], 2, v[2:3]
	v_mov_b32_e32 v30, 0x58
	v_mov_b32_e32 v31, 0x5c
	;; [unrolled: 1-line block ×11, first 2 shown]
	s_mov_b32 s27, 0
	s_add_i32 s1, s1, s0
	s_mul_i32 s0, s18, s26
	s_lshl_b64 s[28:29], s[26:27], 2
	s_lshl_b64 s[0:1], s[0:1], 1
	;; [unrolled: 1-line block ×3, first 2 shown]
	s_branch .LBB96_6
.LBB96_5:                               ;   in Loop: Header=BB96_6 Depth=1
	s_or_b32 exec_lo, exec_lo, s3
	v_add_co_u32 v45, vcc_lo, s6, v0
	v_add_co_ci_u32_e32 v46, vcc_lo, s7, v40, vcc_lo
	v_add_co_u32 v47, vcc_lo, s4, v0
	v_add_co_ci_u32_e32 v48, vcc_lo, s5, v40, vcc_lo
	global_load_u16 v44, v[45:46], off
	v_add_co_u32 v45, vcc_lo, v45, s30
	v_add_co_ci_u32_e32 v46, vcc_lo, s31, v46, vcc_lo
	v_add_co_u32 v50, vcc_lo, v47, s30
	v_add_co_ci_u32_e32 v51, vcc_lo, s31, v48, vcc_lo
	s_delay_alu instid0(VALU_DEP_4) | instskip(NEXT) | instid1(VALU_DEP_4)
	v_add_co_u32 v52, vcc_lo, v45, s30
	v_add_co_ci_u32_e32 v53, vcc_lo, s31, v46, vcc_lo
	s_delay_alu instid0(VALU_DEP_4) | instskip(NEXT) | instid1(VALU_DEP_4)
	v_add_co_u32 v54, vcc_lo, v50, s30
	v_add_co_ci_u32_e32 v55, vcc_lo, s31, v51, vcc_lo
	global_load_u16 v49, v[47:48], off
	global_load_u16 v48, v[45:46], off
	;; [unrolled: 1-line block ×5, first 2 shown]
	v_add_co_u32 v51, vcc_lo, v52, s30
	v_add_co_ci_u32_e32 v52, vcc_lo, s31, v53, vcc_lo
	v_add_co_u32 v53, vcc_lo, v54, s30
	v_add_co_ci_u32_e32 v54, vcc_lo, s31, v55, vcc_lo
	global_load_u16 v50, v[51:52], off
	v_add_co_u32 v55, vcc_lo, v53, s30
	v_add_co_ci_u32_e32 v56, vcc_lo, s31, v54, vcc_lo
	v_add_co_u32 v57, vcc_lo, v51, s30
	v_add_co_ci_u32_e32 v58, vcc_lo, s31, v52, vcc_lo
	s_delay_alu instid0(VALU_DEP_4) | instskip(NEXT) | instid1(VALU_DEP_4)
	v_add_co_u32 v59, vcc_lo, v55, s30
	v_add_co_ci_u32_e32 v60, vcc_lo, s31, v56, vcc_lo
	s_delay_alu instid0(VALU_DEP_4) | instskip(NEXT) | instid1(VALU_DEP_4)
	v_add_co_u32 v61, vcc_lo, v57, s30
	v_add_co_ci_u32_e32 v62, vcc_lo, s31, v58, vcc_lo
	s_clause 0x1
	global_load_u16 v52, v[53:54], off
	global_load_u16 v51, v[55:56], off
	global_load_u16 v53, v[57:58], off
	global_load_u16 v54, v[59:60], off
	global_load_u16 v55, v[61:62], off
	v_add_co_u32 v57, vcc_lo, v59, s30
	v_add_co_ci_u32_e32 v58, vcc_lo, s31, v60, vcc_lo
	v_add_co_u32 v59, vcc_lo, v61, s30
	v_add_co_ci_u32_e32 v60, vcc_lo, s31, v62, vcc_lo
	global_load_u16 v56, v[57:58], off
	v_add_co_u32 v57, vcc_lo, v57, s30
	v_add_co_ci_u32_e32 v58, vcc_lo, s31, v58, vcc_lo
	v_add_co_u32 v61, vcc_lo, v59, s30
	v_add_co_ci_u32_e32 v62, vcc_lo, s31, v60, vcc_lo
	s_delay_alu instid0(VALU_DEP_4) | instskip(NEXT) | instid1(VALU_DEP_4)
	v_add_co_u32 v63, vcc_lo, v57, s30
	v_add_co_ci_u32_e32 v64, vcc_lo, s31, v58, vcc_lo
	s_delay_alu instid0(VALU_DEP_4) | instskip(NEXT) | instid1(VALU_DEP_4)
	v_add_co_u32 v65, vcc_lo, v61, s30
	v_add_co_ci_u32_e32 v66, vcc_lo, s31, v62, vcc_lo
	global_load_u16 v60, v[59:60], off
	global_load_u16 v57, v[57:58], off
	global_load_u16 v58, v[61:62], off
	global_load_u16 v59, v[63:64], off
	global_load_u16 v61, v[65:66], off
	v_add_co_u32 v63, vcc_lo, v63, s30
	v_add_co_ci_u32_e32 v64, vcc_lo, s31, v64, vcc_lo
	v_add_co_u32 v65, vcc_lo, v65, s30
	v_add_co_ci_u32_e32 v66, vcc_lo, s31, v66, vcc_lo
	global_load_u16 v62, v[63:64], off
	v_add_co_u32 v63, vcc_lo, v63, s30
	v_add_co_ci_u32_e32 v64, vcc_lo, s31, v64, vcc_lo
	v_add_co_u32 v67, vcc_lo, v65, s30
	v_add_co_ci_u32_e32 v68, vcc_lo, s31, v66, vcc_lo
	s_delay_alu instid0(VALU_DEP_4) | instskip(NEXT) | instid1(VALU_DEP_4)
	v_add_co_u32 v69, vcc_lo, v63, s30
	v_add_co_ci_u32_e32 v70, vcc_lo, s31, v64, vcc_lo
	s_delay_alu instid0(VALU_DEP_4) | instskip(NEXT) | instid1(VALU_DEP_4)
	v_add_co_u32 v71, vcc_lo, v67, s30
	v_add_co_ci_u32_e32 v72, vcc_lo, s31, v68, vcc_lo
	;; [unrolled: 20-line block ×3, first 2 shown]
	global_load_u16 v73, v[71:72], off
	global_load_u16 v69, v[69:70], off
	;; [unrolled: 1-line block ×5, first 2 shown]
	v_add_co_u32 v75, vcc_lo, v76, s30
	v_add_co_ci_u32_e32 v76, vcc_lo, s31, v77, vcc_lo
	v_add_co_u32 v77, vcc_lo, v78, s30
	v_add_co_ci_u32_e32 v78, vcc_lo, s31, v79, vcc_lo
	s_delay_alu instid0(VALU_DEP_4) | instskip(NEXT) | instid1(VALU_DEP_4)
	v_add_co_u32 v79, vcc_lo, v75, s30
	v_add_co_ci_u32_e32 v80, vcc_lo, s31, v76, vcc_lo
	s_delay_alu instid0(VALU_DEP_4) | instskip(NEXT) | instid1(VALU_DEP_4)
	;; [unrolled: 3-line block ×4, first 2 shown]
	v_add_co_u32 v85, vcc_lo, v81, s30
	v_add_co_ci_u32_e32 v86, vcc_lo, s31, v82, vcc_lo
	global_load_u16 v74, v[75:76], off
	global_load_u16 v75, v[77:78], off
	global_load_u16 v76, v[79:80], off
	global_load_u16 v77, v[81:82], off
	v_add_co_u32 v80, vcc_lo, v83, s30
	v_add_co_ci_u32_e32 v81, vcc_lo, s31, v84, vcc_lo
	v_add_co_u32 v82, vcc_lo, v85, s30
	global_load_u16 v79, v[83:84], off
	global_load_u16 v78, v[85:86], off
	v_add_co_ci_u32_e32 v83, vcc_lo, s31, v86, vcc_lo
	v_add_co_u32 v84, vcc_lo, v80, s30
	v_add_co_ci_u32_e32 v85, vcc_lo, s31, v81, vcc_lo
	v_add_co_u32 v86, vcc_lo, v82, s30
	s_delay_alu instid0(VALU_DEP_4)
	v_add_co_ci_u32_e32 v87, vcc_lo, s31, v83, vcc_lo
	global_load_u16 v80, v[80:81], off
	v_add_co_u32 v81, vcc_lo, v84, s30
	global_load_u16 v88, v[82:83], off
	v_add_co_ci_u32_e32 v82, vcc_lo, s31, v85, vcc_lo
	v_add_co_u32 v83, vcc_lo, v86, s30
	global_load_u16 v89, v[84:85], off
	v_add_co_ci_u32_e32 v84, vcc_lo, s31, v87, vcc_lo
	;; [unrolled: 3-line block ×3, first 2 shown]
	global_load_u16 v90, v[81:82], off
	v_add_co_u32 v81, vcc_lo, v83, s30
	v_add_co_ci_u32_e32 v82, vcc_lo, s31, v84, vcc_lo
	global_load_u16 v91, v[83:84], off
	v_add_co_u32 v83, vcc_lo, v85, s30
	global_load_u16 v93, v[81:82], off
	v_add_co_ci_u32_e32 v84, vcc_lo, s31, v86, vcc_lo
	global_load_u16 v92, v[85:86], off
	v_add_co_u32 v85, vcc_lo, v81, s30
	v_add_co_ci_u32_e32 v86, vcc_lo, s31, v82, vcc_lo
	global_load_u16 v94, v[83:84], off
	global_load_u16 v95, v[85:86], off
	v_add_co_u32 v81, vcc_lo, v83, s30
	v_add_co_ci_u32_e32 v82, vcc_lo, s31, v84, vcc_lo
	v_add_co_u32 v83, vcc_lo, v85, s30
	v_add_co_ci_u32_e32 v84, vcc_lo, s31, v86, vcc_lo
	s_delay_alu instid0(VALU_DEP_4) | instskip(NEXT) | instid1(VALU_DEP_4)
	v_add_co_u32 v85, vcc_lo, v81, s30
	v_add_co_ci_u32_e32 v86, vcc_lo, s31, v82, vcc_lo
	global_load_u16 v96, v[81:82], off
	global_load_u16 v97, v[83:84], off
	;; [unrolled: 1-line block ×3, first 2 shown]
	v_add_co_u32 v81, vcc_lo, v83, s30
	v_add_co_ci_u32_e32 v82, vcc_lo, s31, v84, vcc_lo
	v_add_co_u32 v83, vcc_lo, v85, s30
	v_add_co_ci_u32_e32 v84, vcc_lo, s31, v86, vcc_lo
	global_load_u16 v99, v[81:82], off
	global_load_u16 v100, v[83:84], off
	v_add_co_u32 v81, vcc_lo, v81, s30
	v_add_co_ci_u32_e32 v82, vcc_lo, s31, v82, vcc_lo
	v_add_co_u32 v83, vcc_lo, v83, s30
	v_add_co_ci_u32_e32 v84, vcc_lo, s31, v84, vcc_lo
	global_load_u16 v101, v[81:82], off
	global_load_u16 v102, v[83:84], off
	;; [unrolled: 6-line block ×4, first 2 shown]
	v_add_co_u32 v81, vcc_lo, v81, s30
	v_add_co_ci_u32_e32 v82, vcc_lo, s31, v82, vcc_lo
	v_add_co_u32 v83, vcc_lo, v83, s30
	v_add_co_ci_u32_e32 v84, vcc_lo, s31, v84, vcc_lo
	global_load_u16 v107, v[81:82], off
	v_add_co_u32 v81, vcc_lo, v81, s30
	v_add_co_ci_u32_e32 v82, vcc_lo, s31, v82, vcc_lo
	global_load_u16 v108, v[83:84], off
	global_load_u16 v109, v[81:82], off
	v_add_co_u32 v83, vcc_lo, v83, s30
	v_add_co_ci_u32_e32 v84, vcc_lo, s31, v84, vcc_lo
	v_add_co_u32 v81, vcc_lo, v81, s30
	v_add_co_ci_u32_e32 v82, vcc_lo, s31, v82, vcc_lo
	global_load_u16 v110, v[83:84], off
	v_add_co_u32 v85, vcc_lo, v81, s30
	v_add_co_ci_u32_e32 v86, vcc_lo, s31, v82, vcc_lo
	global_load_u16 v111, v[81:82], off
	v_add_co_u32 v81, vcc_lo, v83, s30
	v_add_co_ci_u32_e32 v82, vcc_lo, s31, v84, vcc_lo
	global_load_u16 v83, v[85:86], off
	global_load_u16 v81, v[81:82], off
	s_waitcnt vmcnt(62)
	ds_bpermute_b32 v82, v1, v42
	ds_bpermute_b32 v84, v8, v42
	;; [unrolled: 1-line block ×7, first 2 shown]
	v_add_co_u32 v0, vcc_lo, v0, s0
	s_add_u32 s12, s12, s26
	v_add_co_ci_u32_e32 v40, vcc_lo, s1, v40, vcc_lo
	s_addc_u32 s13, s13, 0
	v_add_co_u32 v4, vcc_lo, v4, s28
	v_cmp_lt_i64_e64 s3, s[12:13], s[16:17]
	v_add_co_ci_u32_e32 v5, vcc_lo, s29, v5, vcc_lo
	v_add_co_u32 v2, vcc_lo, v2, s26
	v_add_co_ci_u32_e32 v3, vcc_lo, 0, v3, vcc_lo
	s_delay_alu instid0(VALU_DEP_4) | instskip(SKIP_2) | instid1(VALU_DEP_1)
	s_and_b32 vcc_lo, exec_lo, s3
	v_lshlrev_b32_e32 v44, 16, v44
	s_waitcnt lgkmcnt(6)
	v_sub_f32_e32 v44, v44, v82
	ds_bpermute_b32 v82, v9, v41
	v_lshlrev_b32_e32 v49, 16, v49
	s_waitcnt vmcnt(61)
	v_lshlrev_b32_e32 v48, 16, v48
	s_waitcnt vmcnt(60)
	;; [unrolled: 2-line block ×3, first 2 shown]
	v_lshlrev_b32_e32 v45, 16, v45
	v_mul_f32_e32 v44, v44, v49
	s_waitcnt lgkmcnt(6)
	v_dual_add_f32 v43, v43, v49 :: v_dual_sub_f32 v48, v48, v84
	v_lshlrev_b32_e32 v46, 16, v46
	ds_bpermute_b32 v84, v10, v41
	s_waitcnt lgkmcnt(6)
	v_dual_fmac_f32 v26, v44, v85 :: v_dual_add_f32 v43, v43, v47
	v_mul_f32_e32 v44, v48, v47
	s_waitcnt lgkmcnt(5)
	v_sub_f32_e32 v46, v46, v86
	ds_bpermute_b32 v85, v13, v42
	v_add_f32_e32 v43, v43, v45
	s_waitcnt vmcnt(55)
	v_lshlrev_b32_e32 v51, 16, v51
	s_waitcnt vmcnt(54) lgkmcnt(5)
	v_dual_fmac_f32 v26, v44, v112 :: v_dual_lshlrev_b32 v53, 16, v53
	s_waitcnt vmcnt(52)
	v_dual_mul_f32 v44, v46, v45 :: v_dual_lshlrev_b32 v55, 16, v55
	ds_bpermute_b32 v45, v19, v41
	s_waitcnt lgkmcnt(3)
	v_fmac_f32_e32 v26, v44, v82
	ds_bpermute_b32 v82, v14, v42
	s_waitcnt vmcnt(43)
	v_lshlrev_b32_e32 v49, 16, v63
	v_lshlrev_b32_e32 v48, 16, v50
	ds_bpermute_b32 v50, v12, v42
	v_sub_f32_e32 v46, v48, v113
	v_lshlrev_b32_e32 v48, 16, v52
	ds_bpermute_b32 v52, v11, v41
	v_mul_f32_e32 v44, v46, v48
	v_sub_f32_e32 v46, v53, v114
	ds_bpermute_b32 v53, v12, v41
	v_add_f32_e32 v43, v43, v48
	ds_bpermute_b32 v48, v20, v41
	s_waitcnt lgkmcnt(7)
	v_fmac_f32_e32 v26, v44, v84
	v_mul_f32_e32 v44, v46, v51
	v_add_f32_e32 v43, v43, v51
	s_waitcnt lgkmcnt(3)
	v_sub_f32_e32 v46, v55, v50
	v_lshlrev_b32_e32 v50, 16, v54
	ds_bpermute_b32 v54, v13, v41
	v_lshlrev_b32_e32 v55, 16, v60
	ds_bpermute_b32 v60, v15, v42
	s_waitcnt vmcnt(36) lgkmcnt(4)
	v_dual_fmac_f32 v26, v44, v52 :: v_dual_lshlrev_b32 v51, 16, v70
	v_mul_f32_e32 v44, v46, v50
	v_sub_f32_e32 v46, v55, v85
	ds_bpermute_b32 v55, v14, v41
	v_dual_add_f32 v43, v43, v50 :: v_dual_lshlrev_b32 v52, 16, v56
	v_lshlrev_b32_e32 v56, 16, v58
	ds_bpermute_b32 v58, v16, v42
	s_waitcnt lgkmcnt(5)
	v_dual_add_f32 v43, v43, v52 :: v_dual_fmac_f32 v26, v44, v53
	v_mul_f32_e32 v44, v46, v52
	v_sub_f32_e32 v46, v56, v82
	v_lshlrev_b32_e32 v56, 16, v57
	v_lshlrev_b32_e32 v57, 16, v61
	ds_bpermute_b32 v53, v15, v41
	ds_bpermute_b32 v61, v17, v42
	s_waitcnt lgkmcnt(5)
	v_dual_add_f32 v43, v43, v56 :: v_dual_fmac_f32 v26, v44, v54
	v_mul_f32_e32 v44, v46, v56
	s_waitcnt lgkmcnt(4)
	v_dual_sub_f32 v46, v57, v60 :: v_dual_lshlrev_b32 v57, 16, v59
	ds_bpermute_b32 v54, v16, v41
	s_waitcnt lgkmcnt(4)
	v_dual_fmac_f32 v26, v44, v55 :: v_dual_lshlrev_b32 v59, 16, v66
	v_lshlrev_b32_e32 v55, 16, v62
	v_add_f32_e32 v43, v43, v57
	ds_bpermute_b32 v60, v18, v42
	v_add_f32_e32 v43, v43, v55
	s_delay_alu instid0(VALU_DEP_1)
	v_add_f32_e32 v43, v43, v49
	v_mul_f32_e32 v44, v46, v57
	s_waitcnt lgkmcnt(4)
	v_sub_f32_e32 v46, v59, v58
	v_lshlrev_b32_e32 v58, 16, v65
	ds_bpermute_b32 v59, v17, v41
	s_waitcnt vmcnt(28) lgkmcnt(4)
	v_dual_fmac_f32 v26, v44, v53 :: v_dual_lshlrev_b32 v57, 16, v78
	s_waitcnt lgkmcnt(3)
	v_sub_f32_e32 v53, v58, v61
	ds_bpermute_b32 v61, v18, v41
	v_mul_f32_e32 v47, v53, v49
	s_waitcnt vmcnt(25)
	v_dual_mul_f32 v44, v46, v55 :: v_dual_lshlrev_b32 v49, 16, v89
	ds_bpermute_b32 v46, v19, v42
	ds_bpermute_b32 v55, v22, v42
	s_waitcnt vmcnt(22)
	v_lshlrev_b32_e32 v63, 16, v91
	s_waitcnt vmcnt(21) lgkmcnt(5)
	v_dual_fmac_f32 v26, v44, v54 :: v_dual_lshlrev_b32 v65, 16, v93
	ds_bpermute_b32 v44, v20, v42
	v_lshlrev_b32_e32 v54, 16, v64
	s_waitcnt vmcnt(20)
	v_lshlrev_b32_e32 v64, 16, v92
	v_lshlrev_b32_e32 v62, 16, v90
	s_delay_alu instid0(VALU_DEP_3)
	v_dual_add_f32 v43, v43, v54 :: v_dual_lshlrev_b32 v56, 16, v79
	v_lshlrev_b32_e32 v58, 16, v67
	s_waitcnt vmcnt(18)
	v_lshlrev_b32_e32 v67, 16, v95
	s_waitcnt lgkmcnt(4)
	v_dual_fmac_f32 v26, v47, v59 :: v_dual_lshlrev_b32 v59, 16, v88
	v_dual_sub_f32 v53, v58, v60 :: v_dual_lshlrev_b32 v58, 16, v73
	s_delay_alu instid0(VALU_DEP_1)
	v_mul_f32_e32 v47, v53, v54
	v_lshlrev_b32_e32 v53, 16, v68
	ds_bpermute_b32 v54, v23, v42
	s_waitcnt lgkmcnt(1)
	v_sub_f32_e32 v44, v51, v44
	v_dual_fmac_f32 v26, v47, v61 :: v_dual_lshlrev_b32 v51, 16, v76
	v_lshlrev_b32_e32 v47, 16, v69
	v_add_f32_e32 v43, v43, v53
	ds_bpermute_b32 v61, v21, v41
	s_waitcnt vmcnt(16)
	v_dual_mul_f32 v44, v44, v47 :: v_dual_lshlrev_b32 v69, 16, v97
	v_add_f32_e32 v43, v43, v47
	ds_bpermute_b32 v47, v25, v42
	v_sub_f32_e32 v46, v58, v46
	v_lshlrev_b32_e32 v58, 16, v80
	s_delay_alu instid0(VALU_DEP_2)
	v_mul_f32_e32 v46, v46, v53
	ds_bpermute_b32 v53, v24, v42
	v_fmac_f32_e32 v26, v46, v45
	ds_bpermute_b32 v46, v21, v42
	v_lshlrev_b32_e32 v45, 16, v72
	v_fmac_f32_e32 v26, v44, v48
	s_waitcnt lgkmcnt(2)
	v_dual_sub_f32 v47, v59, v47 :: v_dual_lshlrev_b32 v48, 16, v74
	s_delay_alu instid0(VALU_DEP_1) | instskip(NEXT) | instid1(VALU_DEP_1)
	v_dual_mul_f32 v47, v47, v58 :: v_dual_lshlrev_b32 v44, 16, v71
	v_add_f32_e32 v43, v43, v44
	s_delay_alu instid0(VALU_DEP_1)
	v_add_f32_e32 v43, v43, v48
	s_waitcnt lgkmcnt(0)
	v_sub_f32_e32 v45, v45, v46
	ds_bpermute_b32 v46, v22, v41
	v_add_f32_e32 v43, v43, v51
	v_dual_mul_f32 v45, v45, v44 :: v_dual_lshlrev_b32 v50, 16, v75
	ds_bpermute_b32 v44, v25, v41
	v_dual_add_f32 v43, v43, v56 :: v_dual_lshlrev_b32 v52, 16, v77
	v_sub_f32_e32 v50, v50, v55
	ds_bpermute_b32 v55, v23, v41
	v_dual_fmac_f32 v26, v45, v61 :: v_dual_add_f32 v43, v43, v58
	ds_bpermute_b32 v45, v24, v41
	v_sub_f32_e32 v52, v52, v54
	ds_bpermute_b32 v54, v27, v42
	s_waitcnt vmcnt(15)
	v_lshlrev_b32_e32 v61, 16, v98
	v_add_f32_e32 v43, v43, v49
	s_waitcnt vmcnt(8)
	v_lshlrev_b32_e32 v58, 16, v105
	s_waitcnt vmcnt(4)
	v_lshlrev_b32_e32 v59, 16, v109
	v_dual_add_f32 v43, v43, v62 :: v_dual_lshlrev_b32 v60, 16, v87
	s_delay_alu instid0(VALU_DEP_1) | instskip(SKIP_2) | instid1(VALU_DEP_1)
	v_add_f32_e32 v43, v43, v64
	v_mul_f32_e32 v50, v50, v48
	s_waitcnt lgkmcnt(4)
	v_fmac_f32_e32 v26, v50, v46
	v_mul_f32_e32 v46, v52, v51
	ds_bpermute_b32 v52, v28, v42
	v_sub_f32_e32 v50, v57, v53
	ds_bpermute_b32 v51, v30, v42
	v_lshlrev_b32_e32 v53, 16, v99
	s_waitcnt lgkmcnt(4)
	v_fmac_f32_e32 v26, v46, v55
	ds_bpermute_b32 v46, v27, v41
	v_mul_f32_e32 v48, v50, v56
	ds_bpermute_b32 v50, v29, v42
	v_lshlrev_b32_e32 v55, 16, v100
	s_waitcnt lgkmcnt(5)
	v_dual_fmac_f32 v26, v48, v45 :: v_dual_lshlrev_b32 v57, 16, v103
	ds_bpermute_b32 v45, v28, v41
	s_waitcnt lgkmcnt(5)
	v_sub_f32_e32 v48, v60, v54
	v_fmac_f32_e32 v26, v47, v44
	ds_bpermute_b32 v44, v29, v41
	v_mul_f32_e32 v47, v48, v49
	ds_bpermute_b32 v49, v33, v42
	s_waitcnt lgkmcnt(6)
	v_sub_f32_e32 v48, v63, v52
	ds_bpermute_b32 v52, v31, v42
	s_waitcnt lgkmcnt(5)
	v_fmac_f32_e32 v26, v47, v46
	ds_bpermute_b32 v46, v30, v41
	v_mul_f32_e32 v47, v48, v62
	s_waitcnt lgkmcnt(5)
	v_sub_f32_e32 v48, v65, v50
	ds_bpermute_b32 v50, v32, v42
	s_waitcnt lgkmcnt(5)
	v_dual_fmac_f32 v26, v47, v45 :: v_dual_mul_f32 v47, v48, v64
	v_sub_f32_e32 v48, v67, v51
	v_lshlrev_b32_e32 v68, 16, v96
	v_lshlrev_b32_e32 v66, 16, v94
	ds_bpermute_b32 v45, v31, v41
	s_waitcnt lgkmcnt(5)
	v_fmac_f32_e32 v26, v47, v44
	v_lshlrev_b32_e32 v51, 16, v104
	v_lshlrev_b32_e32 v56, 16, v102
	s_waitcnt lgkmcnt(3)
	v_dual_mul_f32 v47, v48, v66 :: v_dual_sub_f32 v48, v69, v52
	ds_bpermute_b32 v44, v32, v41
	ds_bpermute_b32 v52, v34, v42
	s_waitcnt lgkmcnt(4)
	v_dual_fmac_f32 v26, v47, v46 :: v_dual_mul_f32 v47, v48, v68
	v_add_f32_e32 v43, v43, v66
	ds_bpermute_b32 v46, v33, v41
	s_waitcnt lgkmcnt(4)
	v_sub_f32_e32 v48, v53, v50
	ds_bpermute_b32 v53, v35, v42
	v_add_f32_e32 v43, v43, v68
	s_waitcnt lgkmcnt(4)
	v_fmac_f32_e32 v26, v47, v45
	s_delay_alu instid0(VALU_DEP_2)
	v_add_f32_e32 v43, v43, v61
	v_mul_f32_e32 v45, v48, v61
	ds_bpermute_b32 v47, v34, v41
	v_dual_add_f32 v43, v43, v55 :: v_dual_lshlrev_b32 v54, 16, v101
	s_waitcnt lgkmcnt(4)
	v_fmac_f32_e32 v26, v45, v44
	ds_bpermute_b32 v45, v35, v41
	v_add_f32_e32 v43, v43, v56
	s_waitcnt lgkmcnt(2)
	v_sub_f32_e32 v53, v58, v53
	s_delay_alu instid0(VALU_DEP_2)
	v_dual_add_f32 v43, v43, v51 :: v_dual_sub_f32 v48, v54, v49
	ds_bpermute_b32 v54, v36, v42
	v_lshlrev_b32_e32 v49, 16, v107
	v_mul_f32_e32 v44, v48, v55
	v_sub_f32_e32 v48, v57, v52
	ds_bpermute_b32 v52, v37, v42
	v_lshlrev_b32_e32 v57, 16, v108
	ds_bpermute_b32 v55, v37, v41
	v_fmac_f32_e32 v26, v44, v46
	v_mul_f32_e32 v46, v48, v56
	ds_bpermute_b32 v44, v36, v41
	ds_bpermute_b32 v48, v38, v42
	;; [unrolled: 1-line block ×3, first 2 shown]
	s_waitcnt lgkmcnt(7)
	v_fmac_f32_e32 v26, v46, v47
	v_mul_f32_e32 v46, v53, v51
	ds_bpermute_b32 v53, v38, v41
	ds_bpermute_b32 v41, v39, v41
	s_waitcnt lgkmcnt(7)
	v_sub_f32_e32 v47, v49, v54
	s_waitcnt vmcnt(3)
	v_lshlrev_b32_e32 v49, 16, v110
	v_lshlrev_b32_e32 v50, 16, v106
	v_fmac_f32_e32 v26, v46, v45
	s_waitcnt lgkmcnt(6)
	v_sub_f32_e32 v46, v59, v52
	s_delay_alu instid0(VALU_DEP_3) | instskip(NEXT) | instid1(VALU_DEP_1)
	v_add_f32_e32 v43, v43, v50
	v_add_f32_e32 v43, v43, v57
	s_delay_alu instid0(VALU_DEP_1) | instskip(SKIP_2) | instid1(VALU_DEP_1)
	v_add_f32_e32 v43, v43, v49
	v_mul_f32_e32 v45, v47, v50
	s_waitcnt vmcnt(2) lgkmcnt(4)
	v_dual_fmac_f32 v26, v45, v44 :: v_dual_lshlrev_b32 v47, 16, v111
	s_waitcnt lgkmcnt(3)
	s_delay_alu instid0(VALU_DEP_1) | instskip(SKIP_3) | instid1(VALU_DEP_2)
	v_dual_mul_f32 v44, v46, v57 :: v_dual_sub_f32 v45, v47, v48
	s_waitcnt vmcnt(1)
	v_lshlrev_b32_e32 v46, 16, v83
	s_waitcnt vmcnt(0)
	v_dual_fmac_f32 v26, v44, v55 :: v_dual_lshlrev_b32 v47, 16, v81
	v_mul_f32_e32 v44, v45, v49
	s_waitcnt lgkmcnt(2)
	s_delay_alu instid0(VALU_DEP_2) | instskip(SKIP_1) | instid1(VALU_DEP_2)
	v_dual_sub_f32 v42, v46, v42 :: v_dual_add_f32 v43, v43, v47
	s_waitcnt lgkmcnt(1)
	v_fmac_f32_e32 v26, v44, v53
	s_delay_alu instid0(VALU_DEP_2) | instskip(SKIP_1) | instid1(VALU_DEP_1)
	v_mul_f32_e32 v42, v42, v47
	s_waitcnt lgkmcnt(0)
	v_fmac_f32_e32 v26, v42, v41
	s_cbranch_vccz .LBB96_8
.LBB96_6:                               ; =>This Inner Loop Header: Depth=1
	v_dual_mov_b32 v41, 0 :: v_dual_mov_b32 v42, 0
	s_mov_b32 s3, exec_lo
	v_cmpx_gt_i64_e64 s[16:17], v[2:3]
	s_cbranch_execz .LBB96_5
; %bb.7:                                ;   in Loop: Header=BB96_6 Depth=1
	v_add_co_u32 v41, vcc_lo, s8, v4
	v_add_co_ci_u32_e32 v42, vcc_lo, s9, v5, vcc_lo
	v_add_co_u32 v44, vcc_lo, s10, v4
	v_add_co_ci_u32_e32 v45, vcc_lo, s11, v5, vcc_lo
	global_load_b32 v42, v[41:42], off
	global_load_b32 v41, v[44:45], off
	s_branch .LBB96_5
.LBB96_8:
	v_mov_b32_e32 v1, v6
.LBB96_9:
	s_load_b32 s0, s[24:25], 0xc
	v_mov_b32_e32 v2, 0
	s_mov_b32 s15, 0
	s_waitcnt lgkmcnt(0)
	s_lshr_b32 s0, s0, 16
	s_delay_alu instid0(VALU_DEP_1) | instid1(SALU_CYCLE_1)
	v_mad_u64_u32 v[3:4], null, s0, s2, v[1:2]
	s_lshl_b64 s[0:1], s[14:15], 6
	s_cmp_eq_u64 s[20:21], 0
	v_add_co_u32 v0, s0, s0, v7
	s_delay_alu instid0(VALU_DEP_1) | instskip(NEXT) | instid1(VALU_DEP_3)
	v_add_co_ci_u32_e64 v1, null, s1, 0, s0
	v_mul_lo_u32 v2, v4, s18
	s_delay_alu instid0(VALU_DEP_4) | instskip(NEXT) | instid1(VALU_DEP_3)
	v_mul_lo_u32 v4, v3, s19
	v_lshlrev_b64 v[0:1], 1, v[0:1]
	s_cbranch_scc1 .LBB96_11
; %bb.10:
	v_mad_u64_u32 v[5:6], null, v3, s18, 0
	v_bfe_u32 v7, v26, 16, 1
	s_delay_alu instid0(VALU_DEP_1) | instskip(NEXT) | instid1(VALU_DEP_3)
	v_add3_u32 v7, v26, v7, 0x7fff
	v_add3_u32 v6, v6, v4, v2
	s_delay_alu instid0(VALU_DEP_2) | instskip(NEXT) | instid1(VALU_DEP_2)
	v_lshrrev_b32_e32 v7, 16, v7
	v_lshlrev_b64 v[5:6], 1, v[5:6]
	s_delay_alu instid0(VALU_DEP_1) | instskip(NEXT) | instid1(VALU_DEP_2)
	v_add_co_u32 v5, vcc_lo, s20, v5
	v_add_co_ci_u32_e32 v6, vcc_lo, s21, v6, vcc_lo
	v_cmp_o_f32_e32 vcc_lo, v26, v26
	v_cndmask_b32_e32 v7, 0x7fc0, v7, vcc_lo
	s_delay_alu instid0(VALU_DEP_4) | instskip(NEXT) | instid1(VALU_DEP_4)
	v_add_co_u32 v5, vcc_lo, v5, v0
	v_add_co_ci_u32_e32 v6, vcc_lo, v6, v1, vcc_lo
	global_store_b16 v[5:6], v7, off
.LBB96_11:
	s_cmp_eq_u64 s[22:23], 0
	s_cbranch_scc1 .LBB96_13
; %bb.12:
	v_mad_u64_u32 v[5:6], null, v3, s18, 0
	v_bfe_u32 v3, v43, 16, 1
	s_delay_alu instid0(VALU_DEP_2) | instskip(NEXT) | instid1(VALU_DEP_2)
	v_add3_u32 v6, v6, v4, v2
	v_add3_u32 v4, v43, v3, 0x7fff
	s_delay_alu instid0(VALU_DEP_2) | instskip(NEXT) | instid1(VALU_DEP_2)
	v_lshlrev_b64 v[2:3], 1, v[5:6]
	v_lshrrev_b32_e32 v4, 16, v4
	s_delay_alu instid0(VALU_DEP_2) | instskip(NEXT) | instid1(VALU_DEP_3)
	v_add_co_u32 v2, vcc_lo, s22, v2
	v_add_co_ci_u32_e32 v3, vcc_lo, s23, v3, vcc_lo
	v_cmp_o_f32_e32 vcc_lo, v43, v43
	s_delay_alu instid0(VALU_DEP_4) | instskip(NEXT) | instid1(VALU_DEP_4)
	v_cndmask_b32_e32 v4, 0x7fc0, v4, vcc_lo
	v_add_co_u32 v0, vcc_lo, v2, v0
	s_delay_alu instid0(VALU_DEP_4)
	v_add_co_ci_u32_e32 v1, vcc_lo, v3, v1, vcc_lo
	global_store_b16 v[0:1], v4, off
.LBB96_13:
	s_nop 0
	s_sendmsg sendmsg(MSG_DEALLOC_VGPRS)
	s_endpgm
	.section	.rodata,"a",@progbits
	.p2align	6, 0x0
	.amdhsa_kernel _ZN2at6native12_GLOBAL__N_135GammaBetaBackwardCUDAKernelTemplateIN3c108BFloat16EfLj64ELj1ELj32ELb1ELb1ELb0EEEvllPKT_S7_PKT0_SA_PS5_SB_
		.amdhsa_group_segment_fixed_size 0
		.amdhsa_private_segment_fixed_size 0
		.amdhsa_kernarg_size 320
		.amdhsa_user_sgpr_count 14
		.amdhsa_user_sgpr_dispatch_ptr 0
		.amdhsa_user_sgpr_queue_ptr 0
		.amdhsa_user_sgpr_kernarg_segment_ptr 1
		.amdhsa_user_sgpr_dispatch_id 0
		.amdhsa_user_sgpr_private_segment_size 0
		.amdhsa_wavefront_size32 1
		.amdhsa_uses_dynamic_stack 0
		.amdhsa_enable_private_segment 0
		.amdhsa_system_sgpr_workgroup_id_x 1
		.amdhsa_system_sgpr_workgroup_id_y 1
		.amdhsa_system_sgpr_workgroup_id_z 0
		.amdhsa_system_sgpr_workgroup_info 0
		.amdhsa_system_vgpr_workitem_id 1
		.amdhsa_next_free_vgpr 115
		.amdhsa_next_free_sgpr 32
		.amdhsa_reserve_vcc 1
		.amdhsa_float_round_mode_32 0
		.amdhsa_float_round_mode_16_64 0
		.amdhsa_float_denorm_mode_32 3
		.amdhsa_float_denorm_mode_16_64 3
		.amdhsa_dx10_clamp 1
		.amdhsa_ieee_mode 1
		.amdhsa_fp16_overflow 0
		.amdhsa_workgroup_processor_mode 1
		.amdhsa_memory_ordered 1
		.amdhsa_forward_progress 0
		.amdhsa_shared_vgpr_count 0
		.amdhsa_exception_fp_ieee_invalid_op 0
		.amdhsa_exception_fp_denorm_src 0
		.amdhsa_exception_fp_ieee_div_zero 0
		.amdhsa_exception_fp_ieee_overflow 0
		.amdhsa_exception_fp_ieee_underflow 0
		.amdhsa_exception_fp_ieee_inexact 0
		.amdhsa_exception_int_div_zero 0
	.end_amdhsa_kernel
	.section	.text._ZN2at6native12_GLOBAL__N_135GammaBetaBackwardCUDAKernelTemplateIN3c108BFloat16EfLj64ELj1ELj32ELb1ELb1ELb0EEEvllPKT_S7_PKT0_SA_PS5_SB_,"axG",@progbits,_ZN2at6native12_GLOBAL__N_135GammaBetaBackwardCUDAKernelTemplateIN3c108BFloat16EfLj64ELj1ELj32ELb1ELb1ELb0EEEvllPKT_S7_PKT0_SA_PS5_SB_,comdat
.Lfunc_end96:
	.size	_ZN2at6native12_GLOBAL__N_135GammaBetaBackwardCUDAKernelTemplateIN3c108BFloat16EfLj64ELj1ELj32ELb1ELb1ELb0EEEvllPKT_S7_PKT0_SA_PS5_SB_, .Lfunc_end96-_ZN2at6native12_GLOBAL__N_135GammaBetaBackwardCUDAKernelTemplateIN3c108BFloat16EfLj64ELj1ELj32ELb1ELb1ELb0EEEvllPKT_S7_PKT0_SA_PS5_SB_
                                        ; -- End function
	.section	.AMDGPU.csdata,"",@progbits
; Kernel info:
; codeLenInByte = 3948
; NumSgprs: 34
; NumVgprs: 115
; ScratchSize: 0
; MemoryBound: 0
; FloatMode: 240
; IeeeMode: 1
; LDSByteSize: 0 bytes/workgroup (compile time only)
; SGPRBlocks: 4
; VGPRBlocks: 14
; NumSGPRsForWavesPerEU: 34
; NumVGPRsForWavesPerEU: 115
; Occupancy: 12
; WaveLimiterHint : 0
; COMPUTE_PGM_RSRC2:SCRATCH_EN: 0
; COMPUTE_PGM_RSRC2:USER_SGPR: 14
; COMPUTE_PGM_RSRC2:TRAP_HANDLER: 0
; COMPUTE_PGM_RSRC2:TGID_X_EN: 1
; COMPUTE_PGM_RSRC2:TGID_Y_EN: 1
; COMPUTE_PGM_RSRC2:TGID_Z_EN: 0
; COMPUTE_PGM_RSRC2:TIDIG_COMP_CNT: 1
	.section	.text._ZN2at6native12_GLOBAL__N_135GammaBetaBackwardCUDAKernelTemplateIN3c108BFloat16EfLj64ELj1ELj32ELb1ELb0ELb0EEEvllPKT_S7_PKT0_SA_PS5_SB_,"axG",@progbits,_ZN2at6native12_GLOBAL__N_135GammaBetaBackwardCUDAKernelTemplateIN3c108BFloat16EfLj64ELj1ELj32ELb1ELb0ELb0EEEvllPKT_S7_PKT0_SA_PS5_SB_,comdat
	.globl	_ZN2at6native12_GLOBAL__N_135GammaBetaBackwardCUDAKernelTemplateIN3c108BFloat16EfLj64ELj1ELj32ELb1ELb0ELb0EEEvllPKT_S7_PKT0_SA_PS5_SB_ ; -- Begin function _ZN2at6native12_GLOBAL__N_135GammaBetaBackwardCUDAKernelTemplateIN3c108BFloat16EfLj64ELj1ELj32ELb1ELb0ELb0EEEvllPKT_S7_PKT0_SA_PS5_SB_
	.p2align	8
	.type	_ZN2at6native12_GLOBAL__N_135GammaBetaBackwardCUDAKernelTemplateIN3c108BFloat16EfLj64ELj1ELj32ELb1ELb0ELb0EEEvllPKT_S7_PKT0_SA_PS5_SB_,@function
_ZN2at6native12_GLOBAL__N_135GammaBetaBackwardCUDAKernelTemplateIN3c108BFloat16EfLj64ELj1ELj32ELb1ELb0ELb0EEEvllPKT_S7_PKT0_SA_PS5_SB_: ; @_ZN2at6native12_GLOBAL__N_135GammaBetaBackwardCUDAKernelTemplateIN3c108BFloat16EfLj64ELj1ELj32ELb1ELb0ELb0EEEvllPKT_S7_PKT0_SA_PS5_SB_
; %bb.0:
	s_clause 0x1
	s_load_b256 s[16:23], s[0:1], 0x0
	s_load_b128 s[8:11], s[0:1], 0x20
	s_mov_b32 s2, s15
	s_mov_b32 s5, 0
	s_lshl_b32 s6, s2, 5
	s_mov_b32 s7, s5
	s_lshl_b32 s15, s14, 6
	v_mov_b32_e32 v227, v0
	s_or_b32 s4, s15, 63
	s_waitcnt lgkmcnt(0)
	v_cmp_lt_i64_e64 s30, s[6:7], s[16:17]
	v_cmp_ge_i64_e64 s3, s[4:5], s[18:19]
	s_delay_alu instid0(VALU_DEP_2) | instskip(NEXT) | instid1(VALU_DEP_2)
	v_cndmask_b32_e64 v0, 0, 1, s30
	s_and_b32 vcc_lo, exec_lo, s3
	s_delay_alu instid0(VALU_DEP_1)
	v_cmp_ne_u32_e64 s3, 1, v0
	s_cbranch_vccz .LBB97_141
; %bb.1:
	v_dual_mov_b32 v144, 0 :: v_dual_mov_b32 v125, 0
	s_delay_alu instid0(VALU_DEP_2)
	s_and_b32 vcc_lo, exec_lo, s3
	s_cbranch_vccnz .LBB97_142
; %bb.2:
	v_bfe_u32 v9, v227, 10, 10
	s_load_b32 s4, s[0:1], 0x44
	v_dual_mov_b32 v2, 0 :: v_dual_and_b32 v11, 0x3ff, v227
	s_add_u32 s12, s0, 64
	s_delay_alu instid0(VALU_DEP_2) | instskip(SKIP_1) | instid1(VALU_DEP_2)
	v_lshlrev_b32_e32 v10, 5, v9
	s_addc_u32 s13, s1, 0
	v_dual_mov_b32 v12, v2 :: v_dual_add_nc_u32 v1, s15, v11
	v_mov_b32_e32 v140, 0
	s_delay_alu instid0(VALU_DEP_3) | instskip(NEXT) | instid1(VALU_DEP_1)
	v_add_co_u32 v5, s3, v10, s6
	v_add_co_ci_u32_e64 v6, null, 0, 0, s3
	s_delay_alu instid0(VALU_DEP_4) | instskip(NEXT) | instid1(VALU_DEP_3)
	v_cmp_gt_i64_e64 s3, s[18:19], v[1:2]
	v_add_co_u32 v0, vcc_lo, v5, 31
	s_delay_alu instid0(VALU_DEP_3) | instskip(SKIP_1) | instid1(VALU_DEP_3)
	v_add_co_ci_u32_e32 v3, vcc_lo, 0, v6, vcc_lo
	v_mad_u64_u32 v[134:135], null, s18, v5, 0
	v_mul_lo_u32 v4, s19, v0
	s_delay_alu instid0(VALU_DEP_3)
	v_mul_lo_u32 v3, s18, v3
	v_mad_u64_u32 v[7:8], null, s18, v0, 0
	v_add_co_u32 v0, vcc_lo, v5, 30
	v_add_co_ci_u32_e32 v13, vcc_lo, 0, v6, vcc_lo
	s_waitcnt lgkmcnt(0)
	s_lshl_b32 s31, s4, 5
	s_delay_alu instid0(VALU_DEP_2) | instskip(NEXT) | instid1(VALU_DEP_4)
	v_mul_lo_u32 v14, s19, v0
	v_add3_u32 v8, v8, v3, v4
	v_mul_lo_u32 v15, s18, v13
	v_mad_u64_u32 v[16:17], null, s18, v0, 0
	v_lshlrev_b64 v[3:4], 1, v[1:2]
	s_delay_alu instid0(VALU_DEP_4) | instskip(SKIP_4) | instid1(VALU_DEP_3)
	v_lshlrev_b64 v[7:8], 1, v[7:8]
	s_mul_i32 s4, s19, s31
	s_mul_hi_u32 s24, s18, s31
	s_mul_i32 s26, s18, s31
	s_add_i32 s27, s24, s4
	v_add3_u32 v17, v17, v15, v14
	v_add_co_u32 v1, vcc_lo, s20, v7
	v_add_co_ci_u32_e32 v13, vcc_lo, s21, v8, vcc_lo
	v_add_co_u32 v0, vcc_lo, v5, 29
	v_add_co_u32 v14, s4, s22, v7
	s_delay_alu instid0(VALU_DEP_1)
	v_add_co_ci_u32_e64 v15, s4, s23, v8, s4
	v_lshlrev_b64 v[7:8], 1, v[16:17]
	v_add_co_ci_u32_e32 v16, vcc_lo, 0, v6, vcc_lo
	v_add_co_u32 v17, vcc_lo, v5, 28
	v_add_co_ci_u32_e32 v19, vcc_lo, 0, v6, vcc_lo
	v_mul_lo_u32 v18, s19, v0
	s_delay_alu instid0(VALU_DEP_4)
	v_mul_lo_u32 v24, s18, v16
	v_mad_u64_u32 v[20:21], null, s18, v0, 0
	v_mul_lo_u32 v0, s19, v17
	v_mul_lo_u32 v25, s18, v19
	v_mad_u64_u32 v[22:23], null, s18, v17, 0
	v_add_co_u32 v16, vcc_lo, s20, v7
	v_add_co_ci_u32_e32 v17, vcc_lo, s21, v8, vcc_lo
	v_add3_u32 v21, v21, v24, v18
	v_add_co_u32 v18, vcc_lo, s22, v7
	v_add_co_ci_u32_e32 v19, vcc_lo, s23, v8, vcc_lo
	v_add3_u32 v23, v23, v25, v0
	v_add_co_u32 v0, vcc_lo, v5, 27
	v_add_co_ci_u32_e32 v24, vcc_lo, 0, v6, vcc_lo
	v_lshlrev_b64 v[7:8], 1, v[20:21]
	s_delay_alu instid0(VALU_DEP_3) | instskip(SKIP_1) | instid1(VALU_DEP_4)
	v_mul_lo_u32 v30, s19, v0
	v_mad_u64_u32 v[28:29], null, s18, v0, 0
	v_mul_lo_u32 v31, s18, v24
	v_lshlrev_b64 v[26:27], 1, v[22:23]
	v_add_co_u32 v20, vcc_lo, s20, v7
	v_add_co_ci_u32_e32 v21, vcc_lo, s21, v8, vcc_lo
	v_add_co_u32 v22, vcc_lo, s22, v7
	v_add_co_ci_u32_e32 v23, vcc_lo, s23, v8, vcc_lo
	v_add_co_u32 v24, vcc_lo, s20, v26
	v_add3_u32 v29, v29, v31, v30
	v_add_co_ci_u32_e32 v25, vcc_lo, s21, v27, vcc_lo
	v_add_co_u32 v0, vcc_lo, v5, 26
	s_delay_alu instid0(VALU_DEP_3) | instskip(SKIP_4) | instid1(VALU_DEP_4)
	v_lshlrev_b64 v[7:8], 1, v[28:29]
	v_add_co_ci_u32_e32 v28, vcc_lo, 0, v6, vcc_lo
	v_add_co_u32 v29, vcc_lo, v5, 25
	v_add_co_ci_u32_e32 v31, vcc_lo, 0, v6, vcc_lo
	v_mul_lo_u32 v30, s19, v0
	v_mul_lo_u32 v36, s18, v28
	v_mad_u64_u32 v[32:33], null, s18, v0, 0
	v_mul_lo_u32 v0, s19, v29
	v_mul_lo_u32 v37, s18, v31
	v_mad_u64_u32 v[34:35], null, s18, v29, 0
	v_add_co_u32 v28, vcc_lo, s20, v7
	v_add_co_ci_u32_e32 v29, vcc_lo, s21, v8, vcc_lo
	v_add3_u32 v33, v33, v36, v30
	v_add_co_u32 v30, vcc_lo, s22, v7
	v_add_co_ci_u32_e32 v31, vcc_lo, s23, v8, vcc_lo
	v_add3_u32 v35, v35, v37, v0
	v_add_co_u32 v0, vcc_lo, v5, 24
	v_add_co_ci_u32_e32 v36, vcc_lo, 0, v6, vcc_lo
	v_lshlrev_b64 v[7:8], 1, v[32:33]
	s_delay_alu instid0(VALU_DEP_3) | instskip(SKIP_1) | instid1(VALU_DEP_4)
	v_mul_lo_u32 v42, s19, v0
	v_mad_u64_u32 v[40:41], null, s18, v0, 0
	v_mul_lo_u32 v43, s18, v36
	v_lshlrev_b64 v[38:39], 1, v[34:35]
	v_add_co_u32 v32, vcc_lo, s20, v7
	v_add_co_ci_u32_e32 v33, vcc_lo, s21, v8, vcc_lo
	v_add_co_u32 v34, vcc_lo, s22, v7
	v_add_co_ci_u32_e32 v35, vcc_lo, s23, v8, vcc_lo
	v_add_co_u32 v36, vcc_lo, s20, v38
	v_add3_u32 v41, v41, v43, v42
	v_add_co_ci_u32_e32 v37, vcc_lo, s21, v39, vcc_lo
	v_add_co_u32 v0, vcc_lo, v5, 23
	s_delay_alu instid0(VALU_DEP_3) | instskip(SKIP_4) | instid1(VALU_DEP_4)
	v_lshlrev_b64 v[7:8], 1, v[40:41]
	v_add_co_ci_u32_e32 v40, vcc_lo, 0, v6, vcc_lo
	v_add_co_u32 v41, vcc_lo, v5, 22
	v_add_co_ci_u32_e32 v43, vcc_lo, 0, v6, vcc_lo
	v_mul_lo_u32 v42, s19, v0
	v_mul_lo_u32 v48, s18, v40
	v_mad_u64_u32 v[44:45], null, s18, v0, 0
	v_mul_lo_u32 v0, s19, v41
	v_mul_lo_u32 v49, s18, v43
	v_mad_u64_u32 v[46:47], null, s18, v41, 0
	v_add_co_u32 v40, vcc_lo, s20, v7
	v_add_co_ci_u32_e32 v41, vcc_lo, s21, v8, vcc_lo
	v_add3_u32 v45, v45, v48, v42
	v_add_co_u32 v42, vcc_lo, s22, v7
	v_add_co_ci_u32_e32 v43, vcc_lo, s23, v8, vcc_lo
	v_add3_u32 v47, v47, v49, v0
	v_add_co_u32 v0, vcc_lo, v5, 21
	v_add_co_ci_u32_e32 v48, vcc_lo, 0, v6, vcc_lo
	v_lshlrev_b64 v[7:8], 1, v[44:45]
	s_delay_alu instid0(VALU_DEP_3) | instskip(SKIP_1) | instid1(VALU_DEP_4)
	v_mul_lo_u32 v54, s19, v0
	v_mad_u64_u32 v[52:53], null, s18, v0, 0
	v_mul_lo_u32 v55, s18, v48
	v_lshlrev_b64 v[50:51], 1, v[46:47]
	v_add_co_u32 v44, vcc_lo, s20, v7
	v_add_co_ci_u32_e32 v45, vcc_lo, s21, v8, vcc_lo
	v_add_co_u32 v46, vcc_lo, s22, v7
	v_add_co_ci_u32_e32 v47, vcc_lo, s23, v8, vcc_lo
	v_add_co_u32 v48, vcc_lo, s20, v50
	v_add3_u32 v53, v53, v55, v54
	v_add_co_ci_u32_e32 v49, vcc_lo, s21, v51, vcc_lo
	v_add_co_u32 v0, vcc_lo, v5, 20
	s_delay_alu instid0(VALU_DEP_3) | instskip(SKIP_2) | instid1(VALU_DEP_4)
	v_lshlrev_b64 v[7:8], 1, v[52:53]
	v_add_co_ci_u32_e32 v52, vcc_lo, 0, v6, vcc_lo
	v_add_co_u32 v54, vcc_lo, v5, 19
	v_mul_lo_u32 v53, s19, v0
	v_add_co_ci_u32_e32 v57, vcc_lo, 0, v6, vcc_lo
	s_delay_alu instid0(VALU_DEP_4) | instskip(SKIP_2) | instid1(VALU_DEP_4)
	v_mul_lo_u32 v59, s18, v52
	v_mad_u64_u32 v[55:56], null, s18, v0, 0
	v_mul_lo_u32 v60, s19, v54
	v_mul_lo_u32 v61, s18, v57
	v_mad_u64_u32 v[57:58], null, s18, v54, 0
	v_add_co_u32 v0, vcc_lo, s20, v7
	v_add_co_ci_u32_e32 v52, vcc_lo, s21, v8, vcc_lo
	v_add3_u32 v56, v56, v59, v53
	v_add_co_u32 v53, vcc_lo, s22, v7
	v_add_co_ci_u32_e32 v54, vcc_lo, s23, v8, vcc_lo
	v_add_co_u32 v59, vcc_lo, v5, 18
	v_add3_u32 v58, v58, v61, v60
	v_add_co_ci_u32_e32 v60, vcc_lo, 0, v6, vcc_lo
	v_lshlrev_b64 v[7:8], 1, v[55:56]
	s_delay_alu instid0(VALU_DEP_4) | instskip(SKIP_1) | instid1(VALU_DEP_4)
	v_mul_lo_u32 v65, s19, v59
	v_mad_u64_u32 v[63:64], null, s18, v59, 0
	v_mul_lo_u32 v66, s18, v60
	v_lshlrev_b64 v[61:62], 1, v[57:58]
	v_add_co_u32 v55, vcc_lo, s20, v7
	v_add_co_ci_u32_e32 v56, vcc_lo, s21, v8, vcc_lo
	v_add_co_u32 v57, vcc_lo, s22, v7
	v_add_co_ci_u32_e32 v58, vcc_lo, s23, v8, vcc_lo
	v_add_co_u32 v59, vcc_lo, s20, v61
	v_add3_u32 v64, v64, v66, v65
	v_add_co_ci_u32_e32 v60, vcc_lo, s21, v62, vcc_lo
	v_add_co_u32 v65, vcc_lo, v5, 17
	s_delay_alu instid0(VALU_DEP_3) | instskip(SKIP_4) | instid1(VALU_DEP_4)
	v_lshlrev_b64 v[7:8], 1, v[63:64]
	v_add_co_ci_u32_e32 v63, vcc_lo, 0, v6, vcc_lo
	v_add_co_u32 v64, vcc_lo, v5, 16
	v_add_co_ci_u32_e32 v69, vcc_lo, 0, v6, vcc_lo
	v_mul_lo_u32 v66, s19, v65
	v_mul_lo_u32 v71, s18, v63
	v_mad_u64_u32 v[67:68], null, s18, v65, 0
	v_mul_lo_u32 v72, s19, v64
	v_mul_lo_u32 v73, s18, v69
	v_mad_u64_u32 v[69:70], null, s18, v64, 0
	v_add_co_u32 v63, vcc_lo, s20, v7
	v_add_co_ci_u32_e32 v64, vcc_lo, s21, v8, vcc_lo
	v_add_co_u32 v65, vcc_lo, s22, v7
	v_add3_u32 v68, v68, v71, v66
	v_add_co_ci_u32_e32 v66, vcc_lo, s23, v8, vcc_lo
	v_add_co_u32 v71, vcc_lo, v5, 15
	v_add3_u32 v70, v70, v73, v72
	v_add_co_ci_u32_e32 v72, vcc_lo, 0, v6, vcc_lo
	v_lshlrev_b64 v[7:8], 1, v[67:68]
	s_delay_alu instid0(VALU_DEP_4) | instskip(SKIP_1) | instid1(VALU_DEP_4)
	v_mul_lo_u32 v77, s19, v71
	v_mad_u64_u32 v[75:76], null, s18, v71, 0
	v_mul_lo_u32 v78, s18, v72
	v_lshlrev_b64 v[73:74], 1, v[69:70]
	v_add_co_u32 v67, vcc_lo, s20, v7
	v_add_co_ci_u32_e32 v68, vcc_lo, s21, v8, vcc_lo
	v_add_co_u32 v69, vcc_lo, s22, v7
	v_add_co_ci_u32_e32 v70, vcc_lo, s23, v8, vcc_lo
	v_add_co_u32 v71, vcc_lo, s20, v73
	v_add3_u32 v76, v76, v78, v77
	v_add_co_ci_u32_e32 v72, vcc_lo, s21, v74, vcc_lo
	v_add_co_u32 v77, vcc_lo, v5, 14
	s_delay_alu instid0(VALU_DEP_3) | instskip(SKIP_4) | instid1(VALU_DEP_4)
	v_lshlrev_b64 v[7:8], 1, v[75:76]
	v_add_co_ci_u32_e32 v75, vcc_lo, 0, v6, vcc_lo
	v_add_co_u32 v76, vcc_lo, v5, 13
	v_add_co_ci_u32_e32 v81, vcc_lo, 0, v6, vcc_lo
	v_mul_lo_u32 v78, s19, v77
	v_mul_lo_u32 v83, s18, v75
	v_mad_u64_u32 v[79:80], null, s18, v77, 0
	v_mul_lo_u32 v84, s19, v76
	v_mul_lo_u32 v85, s18, v81
	v_mad_u64_u32 v[81:82], null, s18, v76, 0
	v_add_co_u32 v75, vcc_lo, s20, v7
	v_add_co_ci_u32_e32 v76, vcc_lo, s21, v8, vcc_lo
	v_add_co_u32 v77, vcc_lo, s22, v7
	v_add3_u32 v80, v80, v83, v78
	;; [unrolled: 33-line block ×4, first 2 shown]
	v_add_co_ci_u32_e32 v102, vcc_lo, s23, v8, vcc_lo
	v_add_co_u32 v107, vcc_lo, v5, 6
	v_add3_u32 v106, v106, v109, v108
	v_add_co_ci_u32_e32 v108, vcc_lo, 0, v6, vcc_lo
	v_lshlrev_b64 v[7:8], 1, v[103:104]
	s_delay_alu instid0(VALU_DEP_4) | instskip(SKIP_1) | instid1(VALU_DEP_4)
	v_mul_lo_u32 v113, s19, v107
	v_mad_u64_u32 v[111:112], null, s18, v107, 0
	v_mul_lo_u32 v114, s18, v108
	v_lshlrev_b64 v[109:110], 1, v[105:106]
	v_add_co_u32 v103, vcc_lo, s20, v7
	v_add_co_ci_u32_e32 v104, vcc_lo, s21, v8, vcc_lo
	v_add_co_u32 v105, vcc_lo, s22, v7
	v_add_co_ci_u32_e32 v106, vcc_lo, s23, v8, vcc_lo
	v_add_co_u32 v107, vcc_lo, s20, v109
	v_add3_u32 v112, v112, v114, v113
	v_add_co_ci_u32_e32 v108, vcc_lo, s21, v110, vcc_lo
	v_add_co_u32 v113, vcc_lo, v5, 5
	s_delay_alu instid0(VALU_DEP_3) | instskip(SKIP_2) | instid1(VALU_DEP_4)
	v_lshlrev_b64 v[7:8], 1, v[111:112]
	v_add_co_ci_u32_e32 v111, vcc_lo, 0, v6, vcc_lo
	v_add_co_u32 v112, vcc_lo, v5, 4
	v_mul_lo_u32 v114, s19, v113
	s_delay_alu instid0(VALU_DEP_3) | instskip(SKIP_4) | instid1(VALU_DEP_3)
	v_mul_lo_u32 v119, s18, v111
	v_mad_u64_u32 v[115:116], null, s18, v113, 0
	v_add_co_ci_u32_e32 v117, vcc_lo, 0, v6, vcc_lo
	v_mul_lo_u32 v120, s19, v112
	v_add_co_u32 v111, vcc_lo, s20, v7
	v_mul_lo_u32 v121, s18, v117
	v_mad_u64_u32 v[117:118], null, s18, v112, 0
	v_add3_u32 v116, v116, v119, v114
	v_add_co_ci_u32_e32 v112, vcc_lo, s21, v8, vcc_lo
	v_add_co_u32 v113, vcc_lo, s22, v7
	v_add_co_ci_u32_e32 v114, vcc_lo, s23, v8, vcc_lo
	s_delay_alu instid0(VALU_DEP_4) | instskip(SKIP_3) | instid1(VALU_DEP_4)
	v_lshlrev_b64 v[7:8], 1, v[115:116]
	v_add_co_u32 v119, vcc_lo, v5, 3
	v_add3_u32 v118, v118, v121, v120
	v_add_co_ci_u32_e32 v120, vcc_lo, 0, v6, vcc_lo
	v_add_co_u32 v115, vcc_lo, s20, v7
	s_delay_alu instid0(VALU_DEP_3) | instskip(SKIP_1) | instid1(VALU_DEP_4)
	v_lshlrev_b64 v[121:122], 1, v[117:118]
	v_mul_lo_u32 v125, s19, v119
	v_mul_lo_u32 v126, s18, v120
	v_mad_u64_u32 v[123:124], null, s18, v119, 0
	v_add_co_ci_u32_e32 v116, vcc_lo, s21, v8, vcc_lo
	v_add_co_u32 v117, vcc_lo, s22, v7
	v_add_co_ci_u32_e32 v118, vcc_lo, s23, v8, vcc_lo
	v_add_co_u32 v119, vcc_lo, s20, v121
	v_add_co_ci_u32_e32 v120, vcc_lo, s21, v122, vcc_lo
	v_add3_u32 v124, v124, v126, v125
	v_add_co_u32 v125, vcc_lo, v5, 2
	v_add_co_ci_u32_e32 v126, vcc_lo, 0, v6, vcc_lo
	s_delay_alu instid0(VALU_DEP_3) | instskip(NEXT) | instid1(VALU_DEP_3)
	v_lshlrev_b64 v[7:8], 1, v[123:124]
	v_mul_lo_u32 v127, s19, v125
	v_mad_u64_u32 v[128:129], null, s18, v125, 0
	s_delay_alu instid0(VALU_DEP_4)
	v_mul_lo_u32 v126, s18, v126
	v_mul_lo_u32 v125, s19, v5
	;; [unrolled: 1-line block ×3, first 2 shown]
	v_add_co_u32 v121, vcc_lo, s22, v121
	v_add_co_ci_u32_e32 v122, vcc_lo, s23, v122, vcc_lo
	v_add_co_u32 v123, vcc_lo, s20, v7
	v_add_co_ci_u32_e32 v124, vcc_lo, s21, v8, vcc_lo
	v_add3_u32 v129, v129, v126, v127
	v_add_co_u32 v126, vcc_lo, s22, v7
	v_add3_u32 v135, v135, v6, v125
	v_add_co_ci_u32_e32 v127, vcc_lo, s23, v8, vcc_lo
	v_add_co_u32 v7, vcc_lo, v134, s18
	v_add_co_u32 v26, s4, s22, v26
	v_lshlrev_b64 v[5:6], 1, v[128:129]
	v_add_co_ci_u32_e32 v8, vcc_lo, s19, v135, vcc_lo
	v_add_co_ci_u32_e64 v27, s4, s23, v27, s4
	v_add_co_u32 v38, s4, s22, v38
	s_delay_alu instid0(VALU_DEP_1)
	v_add_co_ci_u32_e64 v39, s4, s23, v39, s4
	v_add_co_u32 v50, s4, s22, v50
	v_add_co_u32 v128, vcc_lo, s20, v5
	v_lshlrev_b64 v[7:8], 1, v[7:8]
	v_add_co_ci_u32_e64 v51, s4, s23, v51, s4
	v_add_co_ci_u32_e32 v129, vcc_lo, s21, v6, vcc_lo
	v_add_co_u32 v61, s4, s22, v61
	v_add_co_u32 v130, vcc_lo, s22, v5
	v_add_co_ci_u32_e64 v62, s4, s23, v62, s4
	v_add_co_ci_u32_e32 v131, vcc_lo, s23, v6, vcc_lo
	v_add_co_u32 v73, s4, s22, v73
	v_add_co_u32 v132, vcc_lo, s20, v7
	v_lshlrev_b64 v[5:6], 1, v[134:135]
	v_add_co_ci_u32_e64 v74, s4, s23, v74, s4
	v_add_co_ci_u32_e32 v133, vcc_lo, s21, v8, vcc_lo
	v_add_co_u32 v85, s4, s22, v85
	v_add_co_u32 v134, vcc_lo, s22, v7
	v_add_co_ci_u32_e64 v86, s4, s23, v86, s4
	v_add_co_ci_u32_e32 v135, vcc_lo, s23, v8, vcc_lo
	v_add_co_u32 v97, s4, s22, v97
	v_add_co_u32 v136, vcc_lo, s20, v5
	v_add_co_ci_u32_e64 v98, s4, s23, v98, s4
	v_add_co_ci_u32_e32 v137, vcc_lo, s21, v6, vcc_lo
	v_add_co_u32 v109, s4, s22, v109
	v_add_co_u32 v138, vcc_lo, s22, v5
	v_add_co_ci_u32_e64 v110, s4, s23, v110, s4
	v_add_co_ci_u32_e32 v139, vcc_lo, s23, v6, vcc_lo
	v_mov_b32_e32 v125, 0
	s_mov_b64 s[24:25], 31
	s_lshl_b64 s[26:27], s[26:27], 1
	s_mov_b64 s[28:29], s[6:7]
.LBB97_3:                               ; =>This Inner Loop Header: Depth=1
	s_add_u32 s34, s6, s24
	s_addc_u32 s35, 0, s25
	v_add_co_u32 v5, vcc_lo, s6, v10
	v_cmp_ge_i64_e64 s4, s[34:35], s[16:17]
	v_add_co_ci_u32_e32 v6, vcc_lo, 0, v12, vcc_lo
	s_delay_alu instid0(VALU_DEP_2)
	s_and_b32 vcc_lo, exec_lo, s4
	s_cbranch_vccz .LBB97_71
; %bb.4:                                ;   in Loop: Header=BB97_3 Depth=1
	s_load_b32 s4, s[12:13], 0xc
	v_mov_b32_e32 v143, 0
	v_dual_mov_b32 v141, 0 :: v_dual_mov_b32 v142, 0
	s_waitcnt lgkmcnt(0)
	s_and_b32 s4, s4, 0xffff
	s_delay_alu instid0(SALU_CYCLE_1) | instskip(SKIP_1) | instid1(VALU_DEP_1)
	v_mad_u32_u24 v7, v9, s4, v11
	s_mov_b32 s4, exec_lo
	v_and_b32_e32 v7, 31, v7
	s_delay_alu instid0(VALU_DEP_1) | instskip(SKIP_1) | instid1(VALU_DEP_1)
	v_add_co_u32 v7, vcc_lo, v5, v7
	v_add_co_ci_u32_e32 v8, vcc_lo, 0, v6, vcc_lo
	v_cmpx_gt_i64_e64 s[16:17], v[7:8]
	s_cbranch_execz .LBB97_6
; %bb.5:                                ;   in Loop: Header=BB97_3 Depth=1
	v_lshlrev_b64 v[7:8], 2, v[7:8]
	s_delay_alu instid0(VALU_DEP_1) | instskip(NEXT) | instid1(VALU_DEP_2)
	v_add_co_u32 v141, vcc_lo, s8, v7
	v_add_co_ci_u32_e32 v142, vcc_lo, s9, v8, vcc_lo
	v_add_co_u32 v7, vcc_lo, s10, v7
	v_add_co_ci_u32_e32 v8, vcc_lo, s11, v8, vcc_lo
	global_load_b32 v141, v[141:142], off
	global_load_b32 v142, v[7:8], off
.LBB97_6:                               ;   in Loop: Header=BB97_3 Depth=1
	s_or_b32 exec_lo, exec_lo, s4
	v_cmp_gt_i64_e32 vcc_lo, s[16:17], v[5:6]
	v_mov_b32_e32 v7, 0
	s_and_b32 s33, s3, vcc_lo
	s_delay_alu instid0(SALU_CYCLE_1)
	s_and_saveexec_b32 s4, s33
	s_cbranch_execz .LBB97_8
; %bb.7:                                ;   in Loop: Header=BB97_3 Depth=1
	v_add_co_u32 v7, vcc_lo, v138, v3
	v_add_co_ci_u32_e32 v8, vcc_lo, v139, v4, vcc_lo
	v_add_co_u32 v143, vcc_lo, v136, v3
	v_add_co_ci_u32_e32 v144, vcc_lo, v137, v4, vcc_lo
	global_load_u16 v7, v[7:8], off
	global_load_u16 v8, v[143:144], off
	s_waitcnt vmcnt(1)
	v_lshlrev_b32_e32 v143, 16, v7
	s_waitcnt vmcnt(0)
	v_lshlrev_b32_e32 v7, 16, v8
.LBB97_8:                               ;   in Loop: Header=BB97_3 Depth=1
	s_or_b32 exec_lo, exec_lo, s4
	v_add_co_u32 v144, vcc_lo, v5, 1
	v_add_co_ci_u32_e32 v145, vcc_lo, 0, v6, vcc_lo
	v_mov_b32_e32 v8, 0
	s_delay_alu instid0(VALU_DEP_2) | instskip(SKIP_2) | instid1(SALU_CYCLE_1)
	v_cmp_gt_i64_e32 vcc_lo, s[16:17], v[144:145]
	v_dual_mov_b32 v144, 0 :: v_dual_mov_b32 v145, 0
	s_and_b32 s33, s3, vcc_lo
	s_and_saveexec_b32 s4, s33
	s_cbranch_execz .LBB97_10
; %bb.9:                                ;   in Loop: Header=BB97_3 Depth=1
	v_add_co_u32 v145, vcc_lo, v134, v3
	v_add_co_ci_u32_e32 v146, vcc_lo, v135, v4, vcc_lo
	v_add_co_u32 v147, vcc_lo, v132, v3
	v_add_co_ci_u32_e32 v148, vcc_lo, v133, v4, vcc_lo
	global_load_u16 v8, v[145:146], off
	global_load_u16 v146, v[147:148], off
	s_waitcnt vmcnt(1)
	v_lshlrev_b32_e32 v145, 16, v8
	s_waitcnt vmcnt(0)
	v_lshlrev_b32_e32 v8, 16, v146
.LBB97_10:                              ;   in Loop: Header=BB97_3 Depth=1
	s_or_b32 exec_lo, exec_lo, s4
	v_add_co_u32 v146, vcc_lo, v5, 2
	v_add_co_ci_u32_e32 v147, vcc_lo, 0, v6, vcc_lo
	s_delay_alu instid0(VALU_DEP_1) | instskip(SKIP_2) | instid1(SALU_CYCLE_1)
	v_cmp_gt_i64_e32 vcc_lo, s[16:17], v[146:147]
	v_mov_b32_e32 v146, 0
	s_and_b32 s33, s3, vcc_lo
	s_and_saveexec_b32 s4, s33
	s_cbranch_execz .LBB97_12
; %bb.11:                               ;   in Loop: Header=BB97_3 Depth=1
	v_add_co_u32 v146, vcc_lo, v130, v3
	v_add_co_ci_u32_e32 v147, vcc_lo, v131, v4, vcc_lo
	v_add_co_u32 v148, vcc_lo, v128, v3
	v_add_co_ci_u32_e32 v149, vcc_lo, v129, v4, vcc_lo
	global_load_u16 v144, v[146:147], off
	global_load_u16 v146, v[148:149], off
	s_waitcnt vmcnt(1)
	v_lshlrev_b32_e32 v144, 16, v144
	s_waitcnt vmcnt(0)
	v_lshlrev_b32_e32 v146, 16, v146
.LBB97_12:                              ;   in Loop: Header=BB97_3 Depth=1
	s_or_b32 exec_lo, exec_lo, s4
	v_add_co_u32 v147, vcc_lo, v5, 3
	v_add_co_ci_u32_e32 v148, vcc_lo, 0, v6, vcc_lo
	v_mov_b32_e32 v149, 0
	s_delay_alu instid0(VALU_DEP_2) | instskip(SKIP_2) | instid1(SALU_CYCLE_1)
	v_cmp_gt_i64_e32 vcc_lo, s[16:17], v[147:148]
	v_dual_mov_b32 v148, 0 :: v_dual_mov_b32 v147, 0
	s_and_b32 s33, s3, vcc_lo
	s_and_saveexec_b32 s4, s33
	s_cbranch_execz .LBB97_14
; %bb.13:                               ;   in Loop: Header=BB97_3 Depth=1
	v_add_co_u32 v149, vcc_lo, v126, v3
	v_add_co_ci_u32_e32 v150, vcc_lo, v127, v4, vcc_lo
	v_add_co_u32 v151, vcc_lo, v123, v3
	v_add_co_ci_u32_e32 v152, vcc_lo, v124, v4, vcc_lo
	global_load_u16 v147, v[149:150], off
	global_load_u16 v150, v[151:152], off
	s_waitcnt vmcnt(1)
	v_lshlrev_b32_e32 v149, 16, v147
	s_waitcnt vmcnt(0)
	v_lshlrev_b32_e32 v147, 16, v150
.LBB97_14:                              ;   in Loop: Header=BB97_3 Depth=1
	s_or_b32 exec_lo, exec_lo, s4
	v_add_co_u32 v150, vcc_lo, v5, 4
	v_add_co_ci_u32_e32 v151, vcc_lo, 0, v6, vcc_lo
	s_delay_alu instid0(VALU_DEP_1) | instskip(SKIP_2) | instid1(SALU_CYCLE_1)
	v_cmp_gt_i64_e32 vcc_lo, s[16:17], v[150:151]
	v_mov_b32_e32 v150, 0
	s_and_b32 s33, s3, vcc_lo
	s_and_saveexec_b32 s4, s33
	s_cbranch_execz .LBB97_16
; %bb.15:                               ;   in Loop: Header=BB97_3 Depth=1
	v_add_co_u32 v150, vcc_lo, v121, v3
	v_add_co_ci_u32_e32 v151, vcc_lo, v122, v4, vcc_lo
	v_add_co_u32 v152, vcc_lo, v119, v3
	v_add_co_ci_u32_e32 v153, vcc_lo, v120, v4, vcc_lo
	global_load_u16 v148, v[150:151], off
	global_load_u16 v150, v[152:153], off
	s_waitcnt vmcnt(1)
	v_lshlrev_b32_e32 v148, 16, v148
	s_waitcnt vmcnt(0)
	v_lshlrev_b32_e32 v150, 16, v150
.LBB97_16:                              ;   in Loop: Header=BB97_3 Depth=1
	s_or_b32 exec_lo, exec_lo, s4
	v_add_co_u32 v151, vcc_lo, v5, 5
	v_add_co_ci_u32_e32 v152, vcc_lo, 0, v6, vcc_lo
	v_mov_b32_e32 v153, 0
	s_delay_alu instid0(VALU_DEP_2) | instskip(SKIP_2) | instid1(SALU_CYCLE_1)
	v_cmp_gt_i64_e32 vcc_lo, s[16:17], v[151:152]
	v_dual_mov_b32 v152, 0 :: v_dual_mov_b32 v151, 0
	s_and_b32 s33, s3, vcc_lo
	s_and_saveexec_b32 s4, s33
	s_cbranch_execz .LBB97_18
; %bb.17:                               ;   in Loop: Header=BB97_3 Depth=1
	v_add_co_u32 v153, vcc_lo, v117, v3
	v_add_co_ci_u32_e32 v154, vcc_lo, v118, v4, vcc_lo
	v_add_co_u32 v155, vcc_lo, v115, v3
	v_add_co_ci_u32_e32 v156, vcc_lo, v116, v4, vcc_lo
	global_load_u16 v151, v[153:154], off
	global_load_u16 v154, v[155:156], off
	s_waitcnt vmcnt(1)
	v_lshlrev_b32_e32 v153, 16, v151
	s_waitcnt vmcnt(0)
	v_lshlrev_b32_e32 v151, 16, v154
.LBB97_18:                              ;   in Loop: Header=BB97_3 Depth=1
	;; [unrolled: 43-line block ×7, first 2 shown]
	s_or_b32 exec_lo, exec_lo, s4
	v_add_co_u32 v173, vcc_lo, v5, 16
	v_add_co_ci_u32_e32 v174, vcc_lo, 0, v6, vcc_lo
	v_mov_b32_e32 v175, 0
	s_delay_alu instid0(VALU_DEP_2) | instskip(SKIP_1) | instid1(SALU_CYCLE_1)
	v_cmp_gt_i64_e32 vcc_lo, s[16:17], v[173:174]
	s_and_b32 s33, s3, vcc_lo
	s_and_saveexec_b32 s4, s33
	s_cbranch_execz .LBB97_40
; %bb.39:                               ;   in Loop: Header=BB97_3 Depth=1
	v_add_co_u32 v172, vcc_lo, v73, v3
	v_add_co_ci_u32_e32 v173, vcc_lo, v74, v4, vcc_lo
	v_add_co_u32 v174, vcc_lo, v71, v3
	v_add_co_ci_u32_e32 v175, vcc_lo, v72, v4, vcc_lo
	global_load_u16 v172, v[172:173], off
	global_load_u16 v173, v[174:175], off
	s_waitcnt vmcnt(1)
	v_lshlrev_b32_e32 v172, 16, v172
	s_waitcnt vmcnt(0)
	v_lshlrev_b32_e32 v175, 16, v173
.LBB97_40:                              ;   in Loop: Header=BB97_3 Depth=1
	s_or_b32 exec_lo, exec_lo, s4
	v_add_co_u32 v173, vcc_lo, v5, 17
	v_add_co_ci_u32_e32 v174, vcc_lo, 0, v6, vcc_lo
	v_dual_mov_b32 v178, 0 :: v_dual_mov_b32 v177, 0
	v_mov_b32_e32 v180, 0
	s_delay_alu instid0(VALU_DEP_3) | instskip(SKIP_1) | instid1(SALU_CYCLE_1)
	v_cmp_gt_i64_e32 vcc_lo, s[16:17], v[173:174]
	s_and_b32 s33, s3, vcc_lo
	s_and_saveexec_b32 s4, s33
	s_cbranch_execz .LBB97_42
; %bb.41:                               ;   in Loop: Header=BB97_3 Depth=1
	v_add_co_u32 v173, vcc_lo, v69, v3
	v_add_co_ci_u32_e32 v174, vcc_lo, v70, v4, vcc_lo
	v_add_co_u32 v179, vcc_lo, v67, v3
	v_add_co_ci_u32_e32 v180, vcc_lo, v68, v4, vcc_lo
	global_load_u16 v173, v[173:174], off
	global_load_u16 v174, v[179:180], off
	s_waitcnt vmcnt(1)
	v_lshlrev_b32_e32 v180, 16, v173
	s_waitcnt vmcnt(0)
	v_lshlrev_b32_e32 v177, 16, v174
.LBB97_42:                              ;   in Loop: Header=BB97_3 Depth=1
	s_or_b32 exec_lo, exec_lo, s4
	v_add_co_u32 v173, vcc_lo, v5, 18
	v_add_co_ci_u32_e32 v174, vcc_lo, 0, v6, vcc_lo
	v_mov_b32_e32 v179, 0
	s_delay_alu instid0(VALU_DEP_2) | instskip(SKIP_1) | instid1(SALU_CYCLE_1)
	v_cmp_gt_i64_e32 vcc_lo, s[16:17], v[173:174]
	s_and_b32 s33, s3, vcc_lo
	s_and_saveexec_b32 s4, s33
	s_cbranch_execz .LBB97_44
; %bb.43:                               ;   in Loop: Header=BB97_3 Depth=1
	v_add_co_u32 v173, vcc_lo, v65, v3
	v_add_co_ci_u32_e32 v174, vcc_lo, v66, v4, vcc_lo
	v_add_co_u32 v178, vcc_lo, v63, v3
	v_add_co_ci_u32_e32 v179, vcc_lo, v64, v4, vcc_lo
	global_load_u16 v173, v[173:174], off
	global_load_u16 v174, v[178:179], off
	s_waitcnt vmcnt(1)
	v_lshlrev_b32_e32 v178, 16, v173
	s_waitcnt vmcnt(0)
	v_lshlrev_b32_e32 v179, 16, v174
.LBB97_44:                              ;   in Loop: Header=BB97_3 Depth=1
	s_or_b32 exec_lo, exec_lo, s4
	v_add_co_u32 v173, vcc_lo, v5, 19
	v_add_co_ci_u32_e32 v174, vcc_lo, 0, v6, vcc_lo
	v_dual_mov_b32 v182, 0 :: v_dual_mov_b32 v181, 0
	v_mov_b32_e32 v184, 0
	s_delay_alu instid0(VALU_DEP_3) | instskip(SKIP_1) | instid1(SALU_CYCLE_1)
	v_cmp_gt_i64_e32 vcc_lo, s[16:17], v[173:174]
	s_and_b32 s33, s3, vcc_lo
	s_and_saveexec_b32 s4, s33
	s_cbranch_execz .LBB97_46
; %bb.45:                               ;   in Loop: Header=BB97_3 Depth=1
	v_add_co_u32 v173, vcc_lo, v61, v3
	v_add_co_ci_u32_e32 v174, vcc_lo, v62, v4, vcc_lo
	v_add_co_u32 v183, vcc_lo, v59, v3
	v_add_co_ci_u32_e32 v184, vcc_lo, v60, v4, vcc_lo
	global_load_u16 v173, v[173:174], off
	global_load_u16 v174, v[183:184], off
	s_waitcnt vmcnt(1)
	v_lshlrev_b32_e32 v184, 16, v173
	s_waitcnt vmcnt(0)
	v_lshlrev_b32_e32 v181, 16, v174
.LBB97_46:                              ;   in Loop: Header=BB97_3 Depth=1
	;; [unrolled: 43-line block ×7, first 2 shown]
	s_or_b32 exec_lo, exec_lo, s4
	v_add_co_u32 v173, vcc_lo, v5, 30
	v_add_co_ci_u32_e32 v174, vcc_lo, 0, v6, vcc_lo
	v_mov_b32_e32 v204, 0
	s_delay_alu instid0(VALU_DEP_2) | instskip(SKIP_1) | instid1(SALU_CYCLE_1)
	v_cmp_gt_i64_e32 vcc_lo, s[16:17], v[173:174]
	s_and_b32 s33, s3, vcc_lo
	s_and_saveexec_b32 s4, s33
	s_cbranch_execz .LBB97_68
; %bb.67:                               ;   in Loop: Header=BB97_3 Depth=1
	v_add_co_u32 v173, vcc_lo, v18, v3
	v_add_co_ci_u32_e32 v174, vcc_lo, v19, v4, vcc_lo
	v_add_co_u32 v204, vcc_lo, v16, v3
	v_add_co_ci_u32_e32 v205, vcc_lo, v17, v4, vcc_lo
	global_load_u16 v173, v[173:174], off
	global_load_u16 v174, v[204:205], off
	s_waitcnt vmcnt(1)
	v_lshlrev_b32_e32 v202, 16, v173
	s_waitcnt vmcnt(0)
	v_lshlrev_b32_e32 v204, 16, v174
.LBB97_68:                              ;   in Loop: Header=BB97_3 Depth=1
	s_or_b32 exec_lo, exec_lo, s4
	v_add_co_u32 v173, vcc_lo, v5, 31
	v_add_co_ci_u32_e32 v174, vcc_lo, 0, v6, vcc_lo
	s_mov_b32 s4, 0
	s_delay_alu instid0(VALU_DEP_1) | instskip(SKIP_2) | instid1(SALU_CYCLE_1)
	v_cmp_gt_i64_e32 vcc_lo, s[16:17], v[173:174]
	v_dual_mov_b32 v174, 0 :: v_dual_mov_b32 v173, 0
	s_and_b32 s34, s3, vcc_lo
	s_and_saveexec_b32 s33, s34
	s_cbranch_execz .LBB97_70
; %bb.69:                               ;   in Loop: Header=BB97_3 Depth=1
	v_add_co_u32 v173, vcc_lo, v14, v3
	v_add_co_ci_u32_e32 v174, vcc_lo, v15, v4, vcc_lo
	v_add_co_u32 v205, vcc_lo, v1, v3
	v_add_co_ci_u32_e32 v206, vcc_lo, v13, v4, vcc_lo
	global_load_u16 v173, v[173:174], off
	global_load_u16 v205, v[205:206], off
	s_waitcnt vmcnt(1)
	v_lshlrev_b32_e32 v174, 16, v173
	s_waitcnt vmcnt(0)
	v_lshlrev_b32_e32 v173, 16, v205
.LBB97_70:                              ;   in Loop: Header=BB97_3 Depth=1
	s_or_b32 exec_lo, exec_lo, s33
	s_waitcnt vmcnt(1)
	ds_bpermute_b32 v205, v2, v141
	ds_bpermute_b32 v209, v2, v141 offset:4
	ds_bpermute_b32 v211, v2, v141 offset:8
	;; [unrolled: 1-line block ×3, first 2 shown]
	s_waitcnt vmcnt(0)
	ds_bpermute_b32 v206, v2, v142
	ds_bpermute_b32 v208, v2, v142 offset:4
	v_add_f32_e32 v207, v125, v7
	ds_bpermute_b32 v210, v2, v142 offset:8
	ds_bpermute_b32 v215, v2, v141 offset:16
	;; [unrolled: 1-line block ×14, first 2 shown]
	s_waitcnt lgkmcnt(18)
	v_sub_f32_e32 v145, v145, v209
	ds_bpermute_b32 v209, v2, v141 offset:44
	s_waitcnt lgkmcnt(17)
	v_sub_f32_e32 v149, v149, v213
	v_sub_f32_e32 v211, v144, v211
	;; [unrolled: 1-line block ×3, first 2 shown]
	v_mul_f32_e32 v145, v8, v145
	ds_bpermute_b32 v205, v2, v141 offset:36
	v_add_f32_e32 v8, v207, v8
	ds_bpermute_b32 v225, v2, v142 offset:40
	v_mul_f32_e32 v7, v7, v143
	ds_bpermute_b32 v143, v2, v142 offset:44
	v_add_f32_e32 v8, v8, v146
	s_waitcnt lgkmcnt(19)
	v_fma_f32 v144, v7, v206, v140
	v_mul_f32_e32 v206, v146, v211
	s_waitcnt lgkmcnt(16)
	v_sub_f32_e32 v146, v148, v215
	v_mul_f32_e32 v148, v147, v149
	s_waitcnt lgkmcnt(14)
	v_dual_add_f32 v8, v8, v147 :: v_dual_sub_f32 v147, v153, v217
	v_fmac_f32_e32 v144, v145, v208
	ds_bpermute_b32 v145, v2, v141 offset:48
	v_mul_f32_e32 v146, v150, v146
	v_dual_add_f32 v8, v8, v150 :: v_dual_mul_f32 v147, v151, v147
	s_waitcnt lgkmcnt(3)
	v_dual_fmac_f32 v144, v206, v210 :: v_dual_sub_f32 v153, v161, v205
	v_sub_f32_e32 v150, v152, v219
	s_delay_alu instid0(VALU_DEP_3) | instskip(SKIP_1) | instid1(VALU_DEP_4)
	v_add_f32_e32 v8, v8, v151
	v_sub_f32_e32 v151, v156, v223
	v_dual_fmac_f32 v144, v148, v212 :: v_dual_mul_f32 v153, v159, v153
	s_delay_alu instid0(VALU_DEP_4)
	v_mul_f32_e32 v150, v154, v150
	v_sub_f32_e32 v152, v157, v221
	ds_bpermute_b32 v148, v2, v141 offset:52
	v_fmac_f32_e32 v144, v146, v214
	v_mul_f32_e32 v151, v158, v151
	ds_bpermute_b32 v7, v2, v142 offset:48
	ds_bpermute_b32 v149, v2, v142 offset:52
	;; [unrolled: 1-line block ×3, first 2 shown]
	s_waitcnt lgkmcnt(4)
	v_dual_sub_f32 v145, v164, v145 :: v_dual_fmac_f32 v144, v147, v216
	ds_bpermute_b32 v147, v2, v141 offset:56
	v_dual_mul_f32 v152, v155, v152 :: v_dual_mul_f32 v145, v166, v145
	v_fmac_f32_e32 v144, v150, v218
	ds_bpermute_b32 v150, v2, v142 offset:60
	s_waitcnt lgkmcnt(5)
	v_sub_f32_e32 v148, v169, v148
	s_waitcnt lgkmcnt(1)
	s_delay_alu instid0(VALU_DEP_1)
	v_dual_mul_f32 v148, v167, v148 :: v_dual_sub_f32 v147, v168, v147
	v_fmac_f32_e32 v144, v152, v220
	v_add_f32_e32 v8, v8, v154
	v_sub_f32_e32 v154, v160, v226
	ds_bpermute_b32 v152, v2, v141 offset:60
	v_dual_mul_f32 v147, v170, v147 :: v_dual_fmac_f32 v144, v151, v222
	v_dual_add_f32 v8, v8, v155 :: v_dual_sub_f32 v155, v165, v209
	v_mul_f32_e32 v154, v162, v154
	ds_bpermute_b32 v151, v2, v142 offset:64
	v_fmac_f32_e32 v144, v153, v224
	ds_bpermute_b32 v153, v2, v141 offset:64
	v_dual_mul_f32 v155, v163, v155 :: v_dual_fmac_f32 v144, v154, v225
	ds_bpermute_b32 v154, v2, v141 offset:68
	v_fmac_f32_e32 v144, v155, v143
	ds_bpermute_b32 v143, v2, v141 offset:72
	v_fmac_f32_e32 v144, v145, v7
	ds_bpermute_b32 v7, v2, v142 offset:68
	s_waitcnt lgkmcnt(5)
	v_sub_f32_e32 v145, v176, v152
	v_fmac_f32_e32 v144, v148, v149
	ds_bpermute_b32 v149, v2, v141 offset:76
	ds_bpermute_b32 v148, v2, v142 offset:72
	v_mul_f32_e32 v145, v171, v145
	v_fmac_f32_e32 v144, v147, v146
	s_waitcnt lgkmcnt(5)
	v_sub_f32_e32 v146, v172, v153
	ds_bpermute_b32 v147, v2, v141 offset:80
	s_waitcnt lgkmcnt(5)
	v_sub_f32_e32 v152, v180, v154
	v_fmac_f32_e32 v144, v145, v150
	v_mul_f32_e32 v145, v175, v146
	ds_bpermute_b32 v146, v2, v142 offset:76
	s_waitcnt lgkmcnt(5)
	v_dual_mul_f32 v150, v177, v152 :: v_dual_sub_f32 v143, v178, v143
	ds_bpermute_b32 v152, v2, v141 offset:84
	v_fmac_f32_e32 v144, v145, v151
	ds_bpermute_b32 v145, v2, v142 offset:80
	v_dual_add_f32 v8, v8, v158 :: v_dual_mul_f32 v143, v179, v143
	ds_bpermute_b32 v151, v2, v142 offset:116
	s_waitcnt lgkmcnt(6)
	v_dual_fmac_f32 v144, v150, v7 :: v_dual_sub_f32 v7, v184, v149
	ds_bpermute_b32 v149, v2, v141 offset:88
	ds_bpermute_b32 v150, v2, v142 offset:84
	v_add_f32_e32 v8, v8, v159
	s_waitcnt lgkmcnt(7)
	v_dual_fmac_f32 v144, v143, v148 :: v_dual_mul_f32 v7, v181, v7
	ds_bpermute_b32 v143, v2, v141 offset:92
	s_waitcnt lgkmcnt(7)
	v_sub_f32_e32 v147, v182, v147
	ds_bpermute_b32 v148, v2, v141 offset:96
	s_waitcnt lgkmcnt(7)
	v_fmac_f32_e32 v144, v7, v146
	ds_bpermute_b32 v7, v2, v142 offset:88
	s_waitcnt lgkmcnt(7)
	v_dual_mul_f32 v146, v183, v147 :: v_dual_sub_f32 v147, v188, v152
	s_waitcnt lgkmcnt(6)
	s_delay_alu instid0(VALU_DEP_1)
	v_fmac_f32_e32 v144, v146, v145
	ds_bpermute_b32 v145, v2, v142 offset:92
	s_waitcnt lgkmcnt(5)
	v_dual_mul_f32 v146, v185, v147 :: v_dual_sub_f32 v147, v186, v149
	ds_bpermute_b32 v149, v2, v141 offset:100
	v_add_f32_e32 v8, v8, v162
	s_waitcnt lgkmcnt(5)
	v_fmac_f32_e32 v144, v146, v150
	ds_bpermute_b32 v146, v2, v142 offset:96
	v_mul_f32_e32 v147, v187, v147
	s_waitcnt lgkmcnt(5)
	v_sub_f32_e32 v143, v192, v143
	ds_bpermute_b32 v150, v2, v141 offset:104
	v_add_f32_e32 v8, v8, v163
	s_waitcnt lgkmcnt(4)
	v_dual_fmac_f32 v144, v147, v7 :: v_dual_sub_f32 v147, v190, v148
	ds_bpermute_b32 v7, v2, v142 offset:100
	v_mul_f32_e32 v143, v189, v143
	ds_bpermute_b32 v148, v2, v141 offset:108
	v_add_f32_e32 v8, v8, v166
	s_waitcnt lgkmcnt(5)
	v_fmac_f32_e32 v144, v143, v145
	v_mul_f32_e32 v143, v191, v147
	ds_bpermute_b32 v145, v2, v142 offset:104
	s_waitcnt lgkmcnt(5)
	v_sub_f32_e32 v147, v195, v149
	ds_bpermute_b32 v149, v2, v141 offset:112
	s_waitcnt lgkmcnt(5)
	v_fmac_f32_e32 v144, v143, v146
	ds_bpermute_b32 v143, v2, v142 offset:108
	s_waitcnt lgkmcnt(5)
	v_dual_mul_f32 v146, v193, v147 :: v_dual_sub_f32 v147, v194, v150
	ds_bpermute_b32 v150, v2, v141 offset:116
	s_waitcnt lgkmcnt(5)
	v_fmac_f32_e32 v144, v146, v7
	s_waitcnt lgkmcnt(4)
	v_dual_mul_f32 v7, v196, v147 :: v_dual_sub_f32 v148, v199, v148
	v_add_f32_e32 v8, v8, v167
	ds_bpermute_b32 v146, v2, v142 offset:112
	ds_bpermute_b32 v147, v2, v141 offset:120
	s_waitcnt lgkmcnt(5)
	v_dual_fmac_f32 v144, v7, v145 :: v_dual_mul_f32 v7, v197, v148
	s_waitcnt lgkmcnt(4)
	v_dual_add_f32 v8, v8, v170 :: v_dual_sub_f32 v145, v198, v149
	ds_bpermute_b32 v148, v2, v142 offset:120
	s_waitcnt lgkmcnt(4)
	v_fmac_f32_e32 v144, v7, v143
	v_add_f32_e32 v8, v8, v171
	v_mul_f32_e32 v145, v200, v145
	s_waitcnt lgkmcnt(3)
	v_sub_f32_e32 v149, v203, v150
	ds_bpermute_b32 v7, v2, v141 offset:124
	v_dual_add_f32 v8, v8, v175 :: v_dual_mul_f32 v141, v201, v149
	s_waitcnt lgkmcnt(3)
	v_fmac_f32_e32 v144, v145, v146
	s_delay_alu instid0(VALU_DEP_2) | instskip(NEXT) | instid1(VALU_DEP_2)
	v_add_f32_e32 v8, v8, v177
	v_fmac_f32_e32 v144, v141, v151
	s_delay_alu instid0(VALU_DEP_2) | instskip(NEXT) | instid1(VALU_DEP_1)
	v_add_f32_e32 v8, v8, v179
	v_add_f32_e32 v8, v8, v181
	s_delay_alu instid0(VALU_DEP_1) | instskip(NEXT) | instid1(VALU_DEP_1)
	v_add_f32_e32 v8, v8, v183
	v_add_f32_e32 v8, v8, v185
	s_delay_alu instid0(VALU_DEP_1) | instskip(NEXT) | instid1(VALU_DEP_1)
	;; [unrolled: 3-line block ×4, first 2 shown]
	v_add_f32_e32 v8, v8, v196
	v_add_f32_e32 v143, v8, v197
	ds_bpermute_b32 v8, v2, v142 offset:124
	s_waitcnt lgkmcnt(3)
	v_dual_sub_f32 v142, v202, v147 :: v_dual_add_f32 v143, v143, v200
	s_delay_alu instid0(VALU_DEP_1) | instskip(SKIP_1) | instid1(VALU_DEP_1)
	v_dual_mul_f32 v141, v204, v142 :: v_dual_add_f32 v142, v143, v201
	s_waitcnt lgkmcnt(2)
	v_fmac_f32_e32 v144, v141, v148
	s_delay_alu instid0(VALU_DEP_2)
	v_add_f32_e32 v141, v142, v204
	s_and_b32 vcc_lo, exec_lo, s4
	s_cbranch_vccnz .LBB97_72
	s_branch .LBB97_139
.LBB97_71:                              ;   in Loop: Header=BB97_3 Depth=1
                                        ; implicit-def: $vgpr173
                                        ; implicit-def: $vgpr174
                                        ; implicit-def: $vgpr8
                                        ; implicit-def: $vgpr7
                                        ; implicit-def: $vgpr144
                                        ; implicit-def: $vgpr141
	s_cbranch_execz .LBB97_139
.LBB97_72:                              ;   in Loop: Header=BB97_3 Depth=1
	s_load_b32 s4, s[12:13], 0x0
	s_waitcnt lgkmcnt(0)
	v_dual_mov_b32 v141, 0 :: v_dual_mov_b32 v8, 0
	s_cmp_lt_u32 s14, s4
	s_cselect_b32 s4, 12, 18
	s_delay_alu instid0(SALU_CYCLE_1)
	s_add_u32 s34, s12, s4
	s_addc_u32 s35, s13, 0
	s_mov_b32 s4, exec_lo
	global_load_u16 v7, v2, s[34:35]
	s_waitcnt vmcnt(0)
	v_mad_u32_u24 v7, v9, v7, v11
	s_delay_alu instid0(VALU_DEP_1) | instskip(NEXT) | instid1(VALU_DEP_1)
	v_and_b32_e32 v7, 31, v7
	v_add_co_u32 v5, vcc_lo, v5, v7
	v_add_co_ci_u32_e32 v6, vcc_lo, 0, v6, vcc_lo
	v_mov_b32_e32 v7, 0
	s_delay_alu instid0(VALU_DEP_2)
	v_cmpx_gt_i64_e64 s[16:17], v[5:6]
	s_cbranch_execz .LBB97_74
; %bb.73:                               ;   in Loop: Header=BB97_3 Depth=1
	v_lshlrev_b64 v[5:6], 2, v[5:6]
	s_delay_alu instid0(VALU_DEP_1) | instskip(NEXT) | instid1(VALU_DEP_2)
	v_add_co_u32 v7, vcc_lo, s8, v5
	v_add_co_ci_u32_e32 v8, vcc_lo, s9, v6, vcc_lo
	v_add_co_u32 v5, vcc_lo, s10, v5
	v_add_co_ci_u32_e32 v6, vcc_lo, s11, v6, vcc_lo
	global_load_b32 v7, v[7:8], off
	global_load_b32 v8, v[5:6], off
.LBB97_74:                              ;   in Loop: Header=BB97_3 Depth=1
	s_or_b32 exec_lo, exec_lo, s4
	v_mov_b32_e32 v5, 0
	s_and_saveexec_b32 s4, s3
	s_cbranch_execz .LBB97_76
; %bb.75:                               ;   in Loop: Header=BB97_3 Depth=1
	v_add_co_u32 v5, vcc_lo, v138, v3
	v_add_co_ci_u32_e32 v6, vcc_lo, v139, v4, vcc_lo
	v_add_co_u32 v141, vcc_lo, v136, v3
	v_add_co_ci_u32_e32 v142, vcc_lo, v137, v4, vcc_lo
	global_load_u16 v5, v[5:6], off
	global_load_u16 v6, v[141:142], off
	s_waitcnt vmcnt(1)
	v_lshlrev_b32_e32 v141, 16, v5
	s_waitcnt vmcnt(0)
	v_lshlrev_b32_e32 v5, 16, v6
.LBB97_76:                              ;   in Loop: Header=BB97_3 Depth=1
	s_or_b32 exec_lo, exec_lo, s4
	v_dual_mov_b32 v142, 0 :: v_dual_mov_b32 v143, 0
	v_mov_b32_e32 v6, 0
	s_and_saveexec_b32 s4, s3
	s_cbranch_execz .LBB97_78
; %bb.77:                               ;   in Loop: Header=BB97_3 Depth=1
	v_add_co_u32 v143, vcc_lo, v134, v3
	v_add_co_ci_u32_e32 v144, vcc_lo, v135, v4, vcc_lo
	v_add_co_u32 v145, vcc_lo, v132, v3
	v_add_co_ci_u32_e32 v146, vcc_lo, v133, v4, vcc_lo
	global_load_u16 v6, v[143:144], off
	global_load_u16 v144, v[145:146], off
	s_waitcnt vmcnt(1)
	v_lshlrev_b32_e32 v143, 16, v6
	s_waitcnt vmcnt(0)
	v_lshlrev_b32_e32 v6, 16, v144
.LBB97_78:                              ;   in Loop: Header=BB97_3 Depth=1
	s_or_b32 exec_lo, exec_lo, s4
	v_mov_b32_e32 v144, 0
	s_and_saveexec_b32 s4, s3
	s_cbranch_execz .LBB97_80
; %bb.79:                               ;   in Loop: Header=BB97_3 Depth=1
	v_add_co_u32 v144, vcc_lo, v130, v3
	v_add_co_ci_u32_e32 v145, vcc_lo, v131, v4, vcc_lo
	v_add_co_u32 v146, vcc_lo, v128, v3
	v_add_co_ci_u32_e32 v147, vcc_lo, v129, v4, vcc_lo
	global_load_u16 v142, v[144:145], off
	global_load_u16 v144, v[146:147], off
	s_waitcnt vmcnt(1)
	v_lshlrev_b32_e32 v142, 16, v142
	s_waitcnt vmcnt(0)
	v_lshlrev_b32_e32 v144, 16, v144
.LBB97_80:                              ;   in Loop: Header=BB97_3 Depth=1
	s_or_b32 exec_lo, exec_lo, s4
	v_dual_mov_b32 v146, 0 :: v_dual_mov_b32 v147, 0
	v_mov_b32_e32 v145, 0
	s_and_saveexec_b32 s4, s3
	s_cbranch_execz .LBB97_82
; %bb.81:                               ;   in Loop: Header=BB97_3 Depth=1
	v_add_co_u32 v147, vcc_lo, v126, v3
	v_add_co_ci_u32_e32 v148, vcc_lo, v127, v4, vcc_lo
	v_add_co_u32 v149, vcc_lo, v123, v3
	v_add_co_ci_u32_e32 v150, vcc_lo, v124, v4, vcc_lo
	global_load_u16 v145, v[147:148], off
	global_load_u16 v148, v[149:150], off
	s_waitcnt vmcnt(1)
	v_lshlrev_b32_e32 v147, 16, v145
	s_waitcnt vmcnt(0)
	v_lshlrev_b32_e32 v145, 16, v148
.LBB97_82:                              ;   in Loop: Header=BB97_3 Depth=1
	;; [unrolled: 33-line block ×6, first 2 shown]
	s_or_b32 exec_lo, exec_lo, s4
	v_mov_b32_e32 v164, 0
	s_and_saveexec_b32 s4, s3
	s_cbranch_execz .LBB97_100
; %bb.99:                               ;   in Loop: Header=BB97_3 Depth=1
	v_add_co_u32 v164, vcc_lo, v89, v3
	v_add_co_ci_u32_e32 v165, vcc_lo, v90, v4, vcc_lo
	v_add_co_u32 v166, vcc_lo, v87, v3
	v_add_co_ci_u32_e32 v167, vcc_lo, v88, v4, vcc_lo
	global_load_u16 v162, v[164:165], off
	global_load_u16 v164, v[166:167], off
	s_waitcnt vmcnt(1)
	v_lshlrev_b32_e32 v162, 16, v162
	s_waitcnt vmcnt(0)
	v_lshlrev_b32_e32 v164, 16, v164
.LBB97_100:                             ;   in Loop: Header=BB97_3 Depth=1
	s_or_b32 exec_lo, exec_lo, s4
	v_dual_mov_b32 v166, 0 :: v_dual_mov_b32 v167, 0
	v_mov_b32_e32 v165, 0
	s_and_saveexec_b32 s4, s3
	s_cbranch_execz .LBB97_102
; %bb.101:                              ;   in Loop: Header=BB97_3 Depth=1
	v_add_co_u32 v167, vcc_lo, v85, v3
	v_add_co_ci_u32_e32 v168, vcc_lo, v86, v4, vcc_lo
	v_add_co_u32 v169, vcc_lo, v83, v3
	v_add_co_ci_u32_e32 v170, vcc_lo, v84, v4, vcc_lo
	global_load_u16 v165, v[167:168], off
	global_load_u16 v168, v[169:170], off
	s_waitcnt vmcnt(1)
	v_lshlrev_b32_e32 v167, 16, v165
	s_waitcnt vmcnt(0)
	v_lshlrev_b32_e32 v165, 16, v168
.LBB97_102:                             ;   in Loop: Header=BB97_3 Depth=1
	s_or_b32 exec_lo, exec_lo, s4
	v_mov_b32_e32 v168, 0
	s_and_saveexec_b32 s4, s3
	s_cbranch_execz .LBB97_104
; %bb.103:                              ;   in Loop: Header=BB97_3 Depth=1
	v_add_co_u32 v168, vcc_lo, v81, v3
	v_add_co_ci_u32_e32 v169, vcc_lo, v82, v4, vcc_lo
	v_add_co_u32 v170, vcc_lo, v79, v3
	v_add_co_ci_u32_e32 v171, vcc_lo, v80, v4, vcc_lo
	global_load_u16 v166, v[168:169], off
	global_load_u16 v168, v[170:171], off
	s_waitcnt vmcnt(1)
	v_lshlrev_b32_e32 v166, 16, v166
	s_waitcnt vmcnt(0)
	v_lshlrev_b32_e32 v168, 16, v168
.LBB97_104:                             ;   in Loop: Header=BB97_3 Depth=1
	s_or_b32 exec_lo, exec_lo, s4
	v_dual_mov_b32 v170, 0 :: v_dual_mov_b32 v169, 0
	v_mov_b32_e32 v172, 0
	s_and_saveexec_b32 s4, s3
	s_cbranch_execz .LBB97_106
; %bb.105:                              ;   in Loop: Header=BB97_3 Depth=1
	v_add_co_u32 v171, vcc_lo, v77, v3
	v_add_co_ci_u32_e32 v172, vcc_lo, v78, v4, vcc_lo
	v_add_co_u32 v173, vcc_lo, v75, v3
	v_add_co_ci_u32_e32 v174, vcc_lo, v76, v4, vcc_lo
	global_load_u16 v169, v[171:172], off
	global_load_u16 v171, v[173:174], off
	s_waitcnt vmcnt(1)
	v_lshlrev_b32_e32 v172, 16, v169
	s_waitcnt vmcnt(0)
	v_lshlrev_b32_e32 v169, 16, v171
.LBB97_106:                             ;   in Loop: Header=BB97_3 Depth=1
	s_or_b32 exec_lo, exec_lo, s4
	v_mov_b32_e32 v171, 0
	s_and_saveexec_b32 s4, s3
	s_cbranch_execz .LBB97_108
; %bb.107:                              ;   in Loop: Header=BB97_3 Depth=1
	v_add_co_u32 v170, vcc_lo, v73, v3
	v_add_co_ci_u32_e32 v171, vcc_lo, v74, v4, vcc_lo
	v_add_co_u32 v173, vcc_lo, v71, v3
	v_add_co_ci_u32_e32 v174, vcc_lo, v72, v4, vcc_lo
	global_load_u16 v170, v[170:171], off
	global_load_u16 v171, v[173:174], off
	s_waitcnt vmcnt(1)
	v_lshlrev_b32_e32 v170, 16, v170
	s_waitcnt vmcnt(0)
	v_lshlrev_b32_e32 v171, 16, v171
.LBB97_108:                             ;   in Loop: Header=BB97_3 Depth=1
	;; [unrolled: 33-line block ×9, first 2 shown]
	s_or_b32 exec_lo, exec_lo, s4
	v_dual_mov_b32 v174, 0 :: v_dual_mov_b32 v173, 0
	s_and_saveexec_b32 s4, s3
	s_cbranch_execz .LBB97_138
; %bb.137:                              ;   in Loop: Header=BB97_3 Depth=1
	v_add_co_u32 v173, vcc_lo, v14, v3
	v_add_co_ci_u32_e32 v174, vcc_lo, v15, v4, vcc_lo
	v_add_co_u32 v203, vcc_lo, v1, v3
	v_add_co_ci_u32_e32 v204, vcc_lo, v13, v4, vcc_lo
	global_load_u16 v173, v[173:174], off
	global_load_u16 v203, v[203:204], off
	s_waitcnt vmcnt(1)
	v_lshlrev_b32_e32 v174, 16, v173
	s_waitcnt vmcnt(0)
	v_lshlrev_b32_e32 v173, 16, v203
.LBB97_138:                             ;   in Loop: Header=BB97_3 Depth=1
	s_or_b32 exec_lo, exec_lo, s4
	s_waitcnt vmcnt(1)
	ds_bpermute_b32 v203, v2, v7
	ds_bpermute_b32 v208, v2, v7 offset:8
	ds_bpermute_b32 v206, v2, v7 offset:4
	s_waitcnt vmcnt(0)
	ds_bpermute_b32 v204, v2, v8
	ds_bpermute_b32 v205, v2, v8 offset:4
	ds_bpermute_b32 v210, v2, v7 offset:12
	ds_bpermute_b32 v212, v2, v7 offset:16
	ds_bpermute_b32 v216, v2, v7 offset:24
	ds_bpermute_b32 v218, v2, v7 offset:28
	v_add_f32_e32 v125, v125, v5
	ds_bpermute_b32 v207, v2, v8 offset:8
	ds_bpermute_b32 v209, v2, v8 offset:12
	;; [unrolled: 1-line block ×11, first 2 shown]
	s_waitcnt lgkmcnt(18)
	v_dual_sub_f32 v142, v142, v208 :: v_dual_sub_f32 v141, v141, v203
	ds_bpermute_b32 v203, v2, v7 offset:36
	ds_bpermute_b32 v222, v2, v8 offset:40
	v_dual_mul_f32 v142, v144, v142 :: v_dual_mul_f32 v5, v5, v141
	s_waitcnt lgkmcnt(19)
	v_sub_f32_e32 v143, v143, v206
	ds_bpermute_b32 v206, v2, v7 offset:44
	ds_bpermute_b32 v141, v2, v8 offset:44
	s_waitcnt lgkmcnt(20)
	v_dual_fmac_f32 v140, v5, v204 :: v_dual_mul_f32 v143, v6, v143
	v_add_f32_e32 v6, v125, v6
	s_waitcnt lgkmcnt(18)
	v_sub_f32_e32 v125, v147, v210
	s_waitcnt lgkmcnt(15)
	v_sub_f32_e32 v147, v155, v218
	ds_bpermute_b32 v5, v2, v8 offset:48
	v_fmac_f32_e32 v140, v143, v205
	ds_bpermute_b32 v143, v2, v7 offset:48
	v_dual_add_f32 v6, v6, v144 :: v_dual_mul_f32 v147, v153, v147
	v_sub_f32_e32 v144, v146, v212
	v_dual_sub_f32 v146, v150, v216 :: v_dual_mul_f32 v125, v145, v125
	s_waitcnt lgkmcnt(16)
	v_fmac_f32_e32 v140, v142, v207
	s_waitcnt lgkmcnt(14)
	v_dual_add_f32 v6, v6, v145 :: v_dual_sub_f32 v145, v151, v214
	v_mul_f32_e32 v144, v148, v144
	v_mul_f32_e32 v146, v152, v146
	v_fmac_f32_e32 v140, v125, v209
	s_delay_alu instid0(VALU_DEP_4)
	v_dual_add_f32 v6, v6, v148 :: v_dual_mul_f32 v145, v149, v145
	ds_bpermute_b32 v125, v2, v7 offset:52
	s_waitcnt lgkmcnt(4)
	v_dual_sub_f32 v151, v163, v206 :: v_dual_sub_f32 v148, v154, v220
	v_dual_add_f32 v6, v6, v149 :: v_dual_sub_f32 v149, v159, v203
	v_fmac_f32_e32 v140, v144, v211
	s_waitcnt lgkmcnt(1)
	v_sub_f32_e32 v143, v162, v143
	v_sub_f32_e32 v150, v158, v223
	ds_bpermute_b32 v142, v2, v8 offset:52
	v_mul_f32_e32 v149, v157, v149
	v_dual_fmac_f32 v140, v145, v213 :: v_dual_mul_f32 v143, v164, v143
	ds_bpermute_b32 v145, v2, v7 offset:56
	v_mul_f32_e32 v150, v160, v150
	ds_bpermute_b32 v144, v2, v8 offset:56
	v_mul_f32_e32 v151, v161, v151
	s_waitcnt lgkmcnt(3)
	v_dual_sub_f32 v125, v167, v125 :: v_dual_mul_f32 v148, v156, v148
	s_delay_alu instid0(VALU_DEP_1)
	v_dual_add_f32 v6, v6, v152 :: v_dual_mul_f32 v125, v165, v125
	s_waitcnt lgkmcnt(1)
	v_sub_f32_e32 v145, v166, v145
	v_fmac_f32_e32 v140, v146, v215
	ds_bpermute_b32 v146, v2, v8 offset:60
	v_mul_f32_e32 v145, v168, v145
	v_fmac_f32_e32 v140, v147, v217
	ds_bpermute_b32 v147, v2, v7 offset:60
	v_add_f32_e32 v6, v6, v153
	v_fmac_f32_e32 v140, v148, v219
	ds_bpermute_b32 v148, v2, v8 offset:64
	v_fmac_f32_e32 v140, v149, v221
	ds_bpermute_b32 v149, v2, v7 offset:64
	;; [unrolled: 2-line block ×5, first 2 shown]
	s_waitcnt lgkmcnt(5)
	v_sub_f32_e32 v143, v172, v147
	ds_bpermute_b32 v147, v2, v7 offset:80
	v_add_f32_e32 v6, v6, v156
	v_fmac_f32_e32 v140, v125, v142
	ds_bpermute_b32 v142, v2, v7 offset:76
	ds_bpermute_b32 v125, v2, v8 offset:72
	v_mul_f32_e32 v143, v169, v143
	v_fmac_f32_e32 v140, v145, v144
	s_waitcnt lgkmcnt(6)
	v_sub_f32_e32 v144, v170, v149
	s_waitcnt lgkmcnt(5)
	v_sub_f32_e32 v145, v178, v150
	v_fmac_f32_e32 v140, v143, v146
	s_delay_alu instid0(VALU_DEP_3) | instskip(NEXT) | instid1(VALU_DEP_3)
	v_mul_f32_e32 v143, v171, v144
	v_mul_f32_e32 v144, v175, v145
	ds_bpermute_b32 v145, v2, v8 offset:76
	ds_bpermute_b32 v146, v2, v7 offset:84
	s_waitcnt lgkmcnt(6)
	v_dual_sub_f32 v141, v177, v141 :: v_dual_fmac_f32 v140, v143, v148
	ds_bpermute_b32 v143, v2, v8 offset:80
	v_mul_f32_e32 v141, v176, v141
	s_waitcnt lgkmcnt(6)
	v_fmac_f32_e32 v140, v144, v5
	ds_bpermute_b32 v5, v2, v7 offset:88
	s_waitcnt lgkmcnt(5)
	v_sub_f32_e32 v142, v182, v142
	ds_bpermute_b32 v144, v2, v8 offset:84
	v_add_f32_e32 v6, v6, v157
	s_waitcnt lgkmcnt(5)
	v_fmac_f32_e32 v140, v141, v125
	ds_bpermute_b32 v141, v2, v7 offset:92
	v_dual_mul_f32 v125, v179, v142 :: v_dual_sub_f32 v142, v180, v147
	v_add_f32_e32 v6, v6, v160
	s_waitcnt lgkmcnt(5)
	s_delay_alu instid0(VALU_DEP_2)
	v_fmac_f32_e32 v140, v125, v145
	ds_bpermute_b32 v125, v2, v8 offset:88
	v_mul_f32_e32 v142, v181, v142
	s_waitcnt lgkmcnt(5)
	v_sub_f32_e32 v145, v186, v146
	ds_bpermute_b32 v146, v2, v7 offset:96
	s_waitcnt lgkmcnt(5)
	v_fmac_f32_e32 v140, v142, v143
	ds_bpermute_b32 v142, v2, v8 offset:92
	s_waitcnt lgkmcnt(5)
	v_sub_f32_e32 v5, v184, v5
	v_mul_f32_e32 v143, v183, v145
	ds_bpermute_b32 v145, v2, v7 offset:100
	v_add_f32_e32 v6, v6, v161
	s_waitcnt lgkmcnt(5)
	v_dual_mul_f32 v5, v185, v5 :: v_dual_fmac_f32 v140, v143, v144
	ds_bpermute_b32 v143, v2, v8 offset:96
	ds_bpermute_b32 v144, v2, v7 offset:104
	s_waitcnt lgkmcnt(6)
	v_sub_f32_e32 v141, v190, v141
	s_waitcnt lgkmcnt(5)
	v_fmac_f32_e32 v140, v5, v125
	ds_bpermute_b32 v5, v2, v8 offset:100
	v_mul_f32_e32 v125, v187, v141
	s_waitcnt lgkmcnt(5)
	v_sub_f32_e32 v141, v188, v146
	ds_bpermute_b32 v146, v2, v7 offset:108
	v_add_f32_e32 v6, v6, v164
	s_waitcnt lgkmcnt(5)
	v_fmac_f32_e32 v140, v125, v142
	v_mul_f32_e32 v125, v189, v141
	ds_bpermute_b32 v141, v2, v8 offset:104
	s_waitcnt lgkmcnt(5)
	v_sub_f32_e32 v142, v194, v145
	ds_bpermute_b32 v145, v2, v7 offset:112
	v_add_f32_e32 v6, v6, v165
	s_waitcnt lgkmcnt(5)
	v_dual_fmac_f32 v140, v125, v143 :: v_dual_mul_f32 v125, v191, v142
	ds_bpermute_b32 v142, v2, v8 offset:108
	s_waitcnt lgkmcnt(5)
	v_sub_f32_e32 v143, v192, v144
	ds_bpermute_b32 v144, v2, v7 offset:116
	v_add_f32_e32 v6, v6, v168
	s_waitcnt lgkmcnt(5)
	v_fmac_f32_e32 v140, v125, v5
	ds_bpermute_b32 v125, v2, v8 offset:112
	v_mul_f32_e32 v5, v193, v143
	s_waitcnt lgkmcnt(5)
	v_dual_sub_f32 v143, v197, v146 :: v_dual_add_f32 v6, v6, v169
	ds_bpermute_b32 v146, v2, v7 offset:120
	ds_bpermute_b32 v7, v2, v7 offset:124
	s_waitcnt lgkmcnt(6)
	v_dual_fmac_f32 v140, v5, v141 :: v_dual_mul_f32 v5, v195, v143
	s_waitcnt lgkmcnt(5)
	v_sub_f32_e32 v143, v196, v145
	ds_bpermute_b32 v141, v2, v8 offset:116
	s_waitcnt lgkmcnt(5)
	v_fmac_f32_e32 v140, v5, v142
	s_waitcnt lgkmcnt(4)
	v_dual_mul_f32 v142, v198, v143 :: v_dual_sub_f32 v143, v201, v144
	v_add_f32_e32 v6, v6, v171
	ds_bpermute_b32 v5, v2, v8 offset:120
	ds_bpermute_b32 v8, v2, v8 offset:124
	s_waitcnt lgkmcnt(5)
	v_dual_fmac_f32 v140, v142, v125 :: v_dual_mul_f32 v125, v199, v143
	v_add_f32_e32 v6, v6, v175
	s_waitcnt lgkmcnt(4)
	v_sub_f32_e32 v142, v200, v146
	s_delay_alu instid0(VALU_DEP_2) | instskip(SKIP_1) | instid1(VALU_DEP_2)
	v_add_f32_e32 v6, v6, v176
	s_waitcnt lgkmcnt(2)
	v_dual_fmac_f32 v140, v125, v141 :: v_dual_mul_f32 v125, v202, v142
	s_delay_alu instid0(VALU_DEP_2) | instskip(NEXT) | instid1(VALU_DEP_1)
	v_add_f32_e32 v6, v6, v179
	v_add_f32_e32 v6, v6, v181
	s_waitcnt lgkmcnt(1)
	s_delay_alu instid0(VALU_DEP_3) | instskip(NEXT) | instid1(VALU_DEP_2)
	v_fmac_f32_e32 v140, v125, v5
	v_add_f32_e32 v6, v6, v183
	s_delay_alu instid0(VALU_DEP_2) | instskip(NEXT) | instid1(VALU_DEP_2)
	v_mov_b32_e32 v144, v140
	v_add_f32_e32 v6, v6, v185
	s_delay_alu instid0(VALU_DEP_1) | instskip(NEXT) | instid1(VALU_DEP_1)
	v_add_f32_e32 v6, v6, v187
	v_add_f32_e32 v6, v6, v189
	s_delay_alu instid0(VALU_DEP_1) | instskip(NEXT) | instid1(VALU_DEP_1)
	v_add_f32_e32 v6, v6, v191
	;; [unrolled: 3-line block ×4, first 2 shown]
	v_add_f32_e32 v141, v6, v202
.LBB97_139:                             ;   in Loop: Header=BB97_3 Depth=1
	v_add_co_u32 v1, vcc_lo, v1, s26
	v_add_co_ci_u32_e32 v13, vcc_lo, s27, v13, vcc_lo
	v_add_co_u32 v14, vcc_lo, v14, s26
	v_add_co_ci_u32_e32 v15, vcc_lo, s27, v15, vcc_lo
	v_add_co_u32 v16, vcc_lo, v16, s26
	v_add_co_ci_u32_e32 v17, vcc_lo, s27, v17, vcc_lo
	v_add_co_u32 v18, vcc_lo, v18, s26
	v_add_co_ci_u32_e32 v19, vcc_lo, s27, v19, vcc_lo
	v_add_co_u32 v20, vcc_lo, v20, s26
	v_add_co_ci_u32_e32 v21, vcc_lo, s27, v21, vcc_lo
	v_add_co_u32 v22, vcc_lo, v22, s26
	v_add_co_ci_u32_e32 v23, vcc_lo, s27, v23, vcc_lo
	v_add_co_u32 v24, vcc_lo, v24, s26
	v_add_co_ci_u32_e32 v25, vcc_lo, s27, v25, vcc_lo
	v_add_co_u32 v26, vcc_lo, v26, s26
	v_add_co_ci_u32_e32 v27, vcc_lo, s27, v27, vcc_lo
	v_add_co_u32 v28, vcc_lo, v28, s26
	v_add_co_ci_u32_e32 v29, vcc_lo, s27, v29, vcc_lo
	v_add_co_u32 v30, vcc_lo, v30, s26
	v_add_co_ci_u32_e32 v31, vcc_lo, s27, v31, vcc_lo
	v_add_co_u32 v32, vcc_lo, v32, s26
	v_add_co_ci_u32_e32 v33, vcc_lo, s27, v33, vcc_lo
	v_add_co_u32 v34, vcc_lo, v34, s26
	v_add_co_ci_u32_e32 v35, vcc_lo, s27, v35, vcc_lo
	v_add_co_u32 v36, vcc_lo, v36, s26
	v_add_co_ci_u32_e32 v37, vcc_lo, s27, v37, vcc_lo
	v_add_co_u32 v38, vcc_lo, v38, s26
	v_add_co_ci_u32_e32 v39, vcc_lo, s27, v39, vcc_lo
	v_add_co_u32 v40, vcc_lo, v40, s26
	v_add_co_ci_u32_e32 v41, vcc_lo, s27, v41, vcc_lo
	v_add_co_u32 v42, vcc_lo, v42, s26
	v_add_co_ci_u32_e32 v43, vcc_lo, s27, v43, vcc_lo
	v_add_co_u32 v44, vcc_lo, v44, s26
	v_add_co_ci_u32_e32 v45, vcc_lo, s27, v45, vcc_lo
	v_add_co_u32 v46, vcc_lo, v46, s26
	v_add_co_ci_u32_e32 v47, vcc_lo, s27, v47, vcc_lo
	v_add_co_u32 v48, vcc_lo, v48, s26
	v_add_co_ci_u32_e32 v49, vcc_lo, s27, v49, vcc_lo
	v_add_co_u32 v50, vcc_lo, v50, s26
	v_add_co_ci_u32_e32 v51, vcc_lo, s27, v51, vcc_lo
	v_add_co_u32 v0, vcc_lo, v0, s26
	v_add_co_ci_u32_e32 v52, vcc_lo, s27, v52, vcc_lo
	v_add_co_u32 v53, vcc_lo, v53, s26
	v_add_co_ci_u32_e32 v54, vcc_lo, s27, v54, vcc_lo
	v_add_co_u32 v55, vcc_lo, v55, s26
	v_add_co_ci_u32_e32 v56, vcc_lo, s27, v56, vcc_lo
	v_add_co_u32 v57, vcc_lo, v57, s26
	v_add_co_ci_u32_e32 v58, vcc_lo, s27, v58, vcc_lo
	v_add_co_u32 v59, vcc_lo, v59, s26
	v_add_co_ci_u32_e32 v60, vcc_lo, s27, v60, vcc_lo
	v_add_co_u32 v61, vcc_lo, v61, s26
	v_add_co_ci_u32_e32 v62, vcc_lo, s27, v62, vcc_lo
	v_add_co_u32 v63, vcc_lo, v63, s26
	v_add_co_ci_u32_e32 v64, vcc_lo, s27, v64, vcc_lo
	v_add_co_u32 v65, vcc_lo, v65, s26
	v_add_co_ci_u32_e32 v66, vcc_lo, s27, v66, vcc_lo
	v_add_co_u32 v67, vcc_lo, v67, s26
	v_add_co_ci_u32_e32 v68, vcc_lo, s27, v68, vcc_lo
	v_add_co_u32 v69, vcc_lo, v69, s26
	v_add_co_ci_u32_e32 v70, vcc_lo, s27, v70, vcc_lo
	v_add_co_u32 v71, vcc_lo, v71, s26
	v_add_co_ci_u32_e32 v72, vcc_lo, s27, v72, vcc_lo
	v_add_co_u32 v73, vcc_lo, v73, s26
	v_add_co_ci_u32_e32 v74, vcc_lo, s27, v74, vcc_lo
	v_add_co_u32 v75, vcc_lo, v75, s26
	v_add_co_ci_u32_e32 v76, vcc_lo, s27, v76, vcc_lo
	v_add_co_u32 v77, vcc_lo, v77, s26
	v_add_co_ci_u32_e32 v78, vcc_lo, s27, v78, vcc_lo
	v_add_co_u32 v79, vcc_lo, v79, s26
	v_add_co_ci_u32_e32 v80, vcc_lo, s27, v80, vcc_lo
	v_add_co_u32 v81, vcc_lo, v81, s26
	v_add_co_ci_u32_e32 v82, vcc_lo, s27, v82, vcc_lo
	v_add_co_u32 v83, vcc_lo, v83, s26
	v_add_co_ci_u32_e32 v84, vcc_lo, s27, v84, vcc_lo
	v_add_co_u32 v85, vcc_lo, v85, s26
	v_add_co_ci_u32_e32 v86, vcc_lo, s27, v86, vcc_lo
	v_add_co_u32 v87, vcc_lo, v87, s26
	v_add_co_ci_u32_e32 v88, vcc_lo, s27, v88, vcc_lo
	v_add_co_u32 v89, vcc_lo, v89, s26
	v_add_co_ci_u32_e32 v90, vcc_lo, s27, v90, vcc_lo
	v_add_co_u32 v91, vcc_lo, v91, s26
	v_add_co_ci_u32_e32 v92, vcc_lo, s27, v92, vcc_lo
	v_add_co_u32 v93, vcc_lo, v93, s26
	v_add_co_ci_u32_e32 v94, vcc_lo, s27, v94, vcc_lo
	v_add_co_u32 v95, vcc_lo, v95, s26
	v_add_co_ci_u32_e32 v96, vcc_lo, s27, v96, vcc_lo
	v_add_co_u32 v97, vcc_lo, v97, s26
	v_add_co_ci_u32_e32 v98, vcc_lo, s27, v98, vcc_lo
	v_add_co_u32 v99, vcc_lo, v99, s26
	v_add_co_ci_u32_e32 v100, vcc_lo, s27, v100, vcc_lo
	v_add_co_u32 v101, vcc_lo, v101, s26
	v_add_co_ci_u32_e32 v102, vcc_lo, s27, v102, vcc_lo
	v_add_co_u32 v103, vcc_lo, v103, s26
	v_add_co_ci_u32_e32 v104, vcc_lo, s27, v104, vcc_lo
	v_add_co_u32 v105, vcc_lo, v105, s26
	v_add_co_ci_u32_e32 v106, vcc_lo, s27, v106, vcc_lo
	v_add_co_u32 v107, vcc_lo, v107, s26
	v_add_co_ci_u32_e32 v108, vcc_lo, s27, v108, vcc_lo
	v_add_co_u32 v109, vcc_lo, v109, s26
	v_add_co_ci_u32_e32 v110, vcc_lo, s27, v110, vcc_lo
	v_add_co_u32 v111, vcc_lo, v111, s26
	v_add_co_ci_u32_e32 v112, vcc_lo, s27, v112, vcc_lo
	v_add_co_u32 v113, vcc_lo, v113, s26
	v_add_co_ci_u32_e32 v114, vcc_lo, s27, v114, vcc_lo
	v_add_co_u32 v115, vcc_lo, v115, s26
	v_add_co_ci_u32_e32 v116, vcc_lo, s27, v116, vcc_lo
	v_add_co_u32 v117, vcc_lo, v117, s26
	v_add_co_ci_u32_e32 v118, vcc_lo, s27, v118, vcc_lo
	v_add_co_u32 v119, vcc_lo, v119, s26
	v_add_co_ci_u32_e32 v120, vcc_lo, s27, v120, vcc_lo
	v_add_co_u32 v121, vcc_lo, v121, s26
	v_add_co_ci_u32_e32 v122, vcc_lo, s27, v122, vcc_lo
	v_add_co_u32 v123, vcc_lo, v123, s26
	v_add_co_ci_u32_e32 v124, vcc_lo, s27, v124, vcc_lo
	v_add_co_u32 v126, vcc_lo, v126, s26
	v_add_co_ci_u32_e32 v127, vcc_lo, s27, v127, vcc_lo
	v_add_co_u32 v128, vcc_lo, v128, s26
	v_add_co_ci_u32_e32 v129, vcc_lo, s27, v129, vcc_lo
	v_add_co_u32 v130, vcc_lo, v130, s26
	v_add_co_ci_u32_e32 v131, vcc_lo, s27, v131, vcc_lo
	v_add_co_u32 v132, vcc_lo, v132, s26
	v_add_co_ci_u32_e32 v133, vcc_lo, s27, v133, vcc_lo
	v_add_co_u32 v134, vcc_lo, v134, s26
	s_waitcnt lgkmcnt(1)
	v_sub_f32_e32 v5, v174, v7
	v_add_co_ci_u32_e32 v135, vcc_lo, s27, v135, vcc_lo
	v_add_co_u32 v136, vcc_lo, v136, s26
	s_add_u32 s28, s28, s31
	v_add_co_ci_u32_e32 v137, vcc_lo, s27, v137, vcc_lo
	v_mul_f32_e32 v5, v173, v5
	s_addc_u32 s29, s29, 0
	v_add_co_u32 v138, vcc_lo, v138, s26
	v_add_co_ci_u32_e32 v139, vcc_lo, s27, v139, vcc_lo
	v_cmp_lt_i64_e64 s4, s[28:29], s[16:17]
	v_add_co_u32 v10, vcc_lo, v10, s31
	v_add_f32_e32 v125, v141, v173
	s_waitcnt lgkmcnt(0)
	v_fmac_f32_e32 v144, v5, v8
	v_add_co_ci_u32_e32 v12, vcc_lo, 0, v12, vcc_lo
	s_add_u32 s24, s24, s31
	s_addc_u32 s25, s25, 0
	s_and_b32 vcc_lo, exec_lo, s4
	s_cbranch_vccz .LBB97_142
; %bb.140:                              ;   in Loop: Header=BB97_3 Depth=1
	v_mov_b32_e32 v140, v144
	s_branch .LBB97_3
.LBB97_141:
	s_mov_b32 s5, -1
                                        ; implicit-def: $vgpr144
                                        ; implicit-def: $vgpr125
.LBB97_142:
	s_delay_alu instid0(SALU_CYCLE_1)
	s_and_not1_b32 vcc_lo, exec_lo, s5
	s_cbranch_vccnz .LBB97_220
; %bb.143:
	v_dual_mov_b32 v144, 0 :: v_dual_mov_b32 v125, 0
	s_and_not1_b32 vcc_lo, exec_lo, s30
	s_cbranch_vccnz .LBB97_220
; %bb.144:
	v_bfe_u32 v7, v227, 10, 10
	s_add_u32 s4, s0, 64
	s_addc_u32 s5, s1, 0
	s_lshl_b64 s[12:13], s[6:7], 1
	s_delay_alu instid0(VALU_DEP_1) | instskip(SKIP_2) | instid1(VALU_DEP_1)
	v_dual_mov_b32 v177, v227 :: v_dual_lshlrev_b32 v0, 6, v7
	scratch_store_b32 off, v177, off offset:304 ; 4-byte Folded Spill
	v_add_co_u32 v121, s3, v0, s12
	v_add_co_ci_u32_e64 v122, null, 0, s13, s3
	s_delay_alu instid0(VALU_DEP_2) | instskip(NEXT) | instid1(VALU_DEP_2)
	v_add_co_u32 v11, vcc_lo, v121, 2
	v_add_co_ci_u32_e32 v0, vcc_lo, 0, v122, vcc_lo
	v_add_co_u32 v15, vcc_lo, v121, 4
	v_add_co_ci_u32_e32 v5, vcc_lo, 0, v122, vcc_lo
	v_add_co_u32 v19, vcc_lo, v121, 6
	s_delay_alu instid0(VALU_DEP_4) | instskip(SKIP_3) | instid1(VALU_DEP_3)
	v_mul_lo_u32 v18, s18, v0
	v_add_co_ci_u32_e32 v0, vcc_lo, 0, v122, vcc_lo
	v_add_co_u32 v24, vcc_lo, v121, 8
	v_add_co_ci_u32_e32 v9, vcc_lo, 0, v122, vcc_lo
	v_mul_lo_u32 v22, s18, v0
	v_lshlrev_b32_e32 v0, 5, v7
	scratch_store_b32 off, v7, off offset:296 ; 4-byte Folded Spill
	v_add_co_u32 v25, vcc_lo, v121, 10
	v_mad_u64_u32 v[1:2], null, s18, v11, s[20:21]
	scratch_store_b32 off, v0, off          ; 4-byte Folded Spill
	v_add_co_u32 v0, s3, v0, s6
	s_delay_alu instid0(VALU_DEP_1) | instskip(SKIP_1) | instid1(VALU_DEP_3)
	v_add_co_ci_u32_e64 v133, null, 0, 0, s3
	v_mul_lo_u32 v17, s19, v11
	v_mul_lo_u32 v14, s19, v0
	v_mad_u64_u32 v[135:136], null, s18, v0, 0
	s_delay_alu instid0(VALU_DEP_4)
	v_mul_lo_u32 v16, s18, v133
	v_add_co_ci_u32_e32 v13, vcc_lo, 0, v122, vcc_lo
	v_mul_lo_u32 v26, s18, v9
	v_mad_u64_u32 v[9:10], null, s18, v11, s[22:23]
	v_mad_u64_u32 v[3:4], null, s18, v15, s[20:21]
	v_mul_lo_u32 v20, s18, v5
	v_mul_lo_u32 v21, s19, v15
	v_mad_u64_u32 v[5:6], null, s18, v19, s[20:21]
	v_mul_lo_u32 v23, s19, v19
	v_mul_lo_u32 v28, s18, v13
	v_add3_u32 v136, v136, v16, v14
	v_mad_u64_u32 v[13:14], null, s18, v15, s[22:23]
	v_mad_u64_u32 v[15:16], null, s18, v19, s[22:23]
	v_add3_u32 v2, v17, v2, v18
	v_mad_u64_u32 v[7:8], null, s18, v24, s[20:21]
	v_mul_lo_u32 v27, s19, v24
	v_add3_u32 v10, v17, v10, v18
	v_mad_u64_u32 v[17:18], null, s18, v24, s[22:23]
	v_add_co_u32 v30, vcc_lo, v121, 12
	v_add3_u32 v4, v21, v4, v20
	v_add3_u32 v6, v23, v6, v22
	v_mad_u64_u32 v[11:12], null, s18, v25, s[20:21]
	v_mul_lo_u32 v29, s19, v25
	v_add_co_ci_u32_e32 v31, vcc_lo, 0, v122, vcc_lo
	v_add3_u32 v14, v21, v14, v20
	v_add3_u32 v16, v23, v16, v22
	v_mad_u64_u32 v[21:22], null, s18, v25, s[22:23]
	v_mad_u64_u32 v[19:20], null, s18, v30, s[20:21]
	v_mul_lo_u32 v32, s19, v30
	v_mad_u64_u32 v[23:24], null, s18, v30, s[22:23]
	v_add_co_u32 v30, vcc_lo, v121, 14
	v_add3_u32 v8, v27, v8, v26
	v_add3_u32 v18, v27, v18, v26
	v_add_co_ci_u32_e32 v27, vcc_lo, 0, v122, vcc_lo
	v_mul_lo_u32 v31, s18, v31
	v_add3_u32 v12, v29, v12, v28
	v_add3_u32 v22, v29, v22, v28
	v_mad_u64_u32 v[25:26], null, s18, v30, s[20:21]
	v_mul_lo_u32 v29, s18, v27
	v_mul_lo_u32 v33, s19, v30
	v_mad_u64_u32 v[27:28], null, s18, v30, s[22:23]
	v_add_co_u32 v34, vcc_lo, v121, 16
	v_add_co_ci_u32_e32 v30, vcc_lo, 0, v122, vcc_lo
	v_add3_u32 v20, v32, v20, v31
	v_add3_u32 v24, v32, v24, v31
	;; [unrolled: 1-line block ×4, first 2 shown]
	v_mul_lo_u32 v33, s18, v30
	v_mul_lo_u32 v35, s19, v34
	v_mad_u64_u32 v[29:30], null, s18, v34, s[20:21]
	v_mad_u64_u32 v[31:32], null, s18, v34, s[22:23]
	v_add_co_u32 v37, vcc_lo, v121, 18
	v_lshlrev_b64 v[137:138], 1, v[135:136]
	s_load_b32 s3, s[0:1], 0x44
	s_delay_alu instid0(VALU_DEP_4) | instskip(NEXT) | instid1(VALU_DEP_3)
	v_add3_u32 v30, v35, v30, v33
	v_mul_lo_u32 v39, s19, v37
	v_add3_u32 v32, v35, v32, v33
	v_add_co_ci_u32_e32 v33, vcc_lo, 0, v122, vcc_lo
	v_mad_u64_u32 v[35:36], null, s18, v37, s[22:23]
	v_add_co_u32 v41, vcc_lo, v121, 20
	s_delay_alu instid0(VALU_DEP_3) | instskip(SKIP_2) | instid1(VALU_DEP_4)
	v_mul_lo_u32 v38, s18, v33
	v_mad_u64_u32 v[33:34], null, s18, v37, s[20:21]
	v_add_co_ci_u32_e32 v37, vcc_lo, 0, v122, vcc_lo
	v_mul_lo_u32 v43, s19, v41
	v_add_co_u32 v45, vcc_lo, v121, 22
	v_add3_u32 v36, v39, v36, v38
	v_add3_u32 v34, v39, v34, v38
	v_mul_lo_u32 v42, s18, v37
	v_mad_u64_u32 v[37:38], null, s18, v41, s[20:21]
	v_mad_u64_u32 v[39:40], null, s18, v41, s[22:23]
	v_add_co_ci_u32_e32 v41, vcc_lo, 0, v122, vcc_lo
	v_mul_lo_u32 v47, s19, v45
	v_add_co_u32 v49, vcc_lo, v121, 24
	v_add3_u32 v38, v43, v38, v42
	v_add3_u32 v40, v43, v40, v42
	v_mul_lo_u32 v46, s18, v41
	v_mad_u64_u32 v[41:42], null, s18, v45, s[20:21]
	;; [unrolled: 8-line block ×20, first 2 shown]
	v_mad_u64_u32 v[115:116], null, s18, v117, s[22:23]
	v_add_co_ci_u32_e32 v117, vcc_lo, 0, v122, vcc_lo
	v_mul_lo_u32 v125, s19, v123
	s_waitcnt lgkmcnt(0)
	s_lshl_b32 s3, s3, 5
	s_delay_alu instid0(VALU_DEP_4)
	v_add3_u32 v114, v119, v114, v118
	v_mul_lo_u32 v124, s18, v117
	v_add3_u32 v116, v119, v116, v118
	v_mad_u64_u32 v[117:118], null, s18, v123, s[20:21]
	v_mad_u64_u32 v[119:120], null, s18, v123, s[22:23]
	s_mul_i32 s12, s19, s3
	s_mul_hi_u32 s13, s18, s3
	s_delay_alu instid0(SALU_CYCLE_1) | instskip(NEXT) | instid1(VALU_DEP_2)
	s_add_i32 s13, s13, s12
	v_add3_u32 v118, v125, v118, v124
	s_mul_i32 s12, s18, s3
	s_delay_alu instid0(VALU_DEP_2) | instskip(SKIP_3) | instid1(VALU_DEP_2)
	v_add3_u32 v120, v125, v120, v124
	v_add_co_u32 v125, vcc_lo, v121, 62
	v_add_co_ci_u32_e32 v121, vcc_lo, 0, v122, vcc_lo
	s_lshl_b64 s[12:13], s[12:13], 1
	v_mul_lo_u32 v127, s19, v125
	v_mad_u64_u32 v[123:124], null, s18, v125, s[22:23]
	s_delay_alu instid0(VALU_DEP_3) | instskip(SKIP_2) | instid1(VALU_DEP_3)
	v_mul_lo_u32 v126, s18, v121
	v_mad_u64_u32 v[121:122], null, s18, v125, s[20:21]
	v_add_co_u32 v125, vcc_lo, v0, 31
	v_add3_u32 v124, v127, v124, v126
	s_delay_alu instid0(VALU_DEP_3) | instskip(SKIP_1) | instid1(VALU_DEP_4)
	v_add3_u32 v122, v127, v122, v126
	v_add_co_ci_u32_e32 v126, vcc_lo, 0, v133, vcc_lo
	v_mul_lo_u32 v129, s19, v125
	v_mad_u64_u32 v[127:128], null, s18, v125, 0
	s_delay_alu instid0(VALU_DEP_3) | instskip(SKIP_1) | instid1(VALU_DEP_1)
	v_mul_lo_u32 v126, s18, v126
	v_add_co_u32 v125, vcc_lo, v0, 30
	v_mul_lo_u32 v131, s19, v125
	s_delay_alu instid0(VALU_DEP_3) | instskip(SKIP_3) | instid1(VALU_DEP_3)
	v_add3_u32 v128, v128, v126, v129
	v_add_co_ci_u32_e32 v126, vcc_lo, 0, v133, vcc_lo
	v_mad_u64_u32 v[129:130], null, s18, v125, 0
	v_add_co_u32 v125, vcc_lo, v0, 29
	v_mul_lo_u32 v126, s18, v126
	v_lshlrev_b64 v[127:128], 1, v[127:128]
	s_delay_alu instid0(VALU_DEP_3) | instskip(NEXT) | instid1(VALU_DEP_3)
	v_mul_lo_u32 v134, s19, v125
	v_add3_u32 v130, v130, v126, v131
	v_add_co_ci_u32_e32 v126, vcc_lo, 0, v133, vcc_lo
	v_mad_u64_u32 v[131:132], null, s18, v125, 0
	v_add_co_u32 v125, vcc_lo, v0, 28
	s_delay_alu instid0(VALU_DEP_3) | instskip(NEXT) | instid1(VALU_DEP_2)
	v_mul_lo_u32 v126, s18, v126
	v_mad_u64_u32 v[139:140], null, s18, v125, 0
	s_delay_alu instid0(VALU_DEP_2) | instskip(SKIP_3) | instid1(VALU_DEP_3)
	v_add3_u32 v132, v132, v126, v134
	v_add_co_ci_u32_e32 v126, vcc_lo, 0, v133, vcc_lo
	v_mul_lo_u32 v134, s19, v125
	v_add_co_u32 v125, vcc_lo, v0, 27
	v_mul_lo_u32 v126, s18, v126
	s_delay_alu instid0(VALU_DEP_2) | instskip(NEXT) | instid1(VALU_DEP_2)
	v_mad_u64_u32 v[141:142], null, s18, v125, 0
	v_add3_u32 v140, v140, v126, v134
	v_add_co_ci_u32_e32 v126, vcc_lo, 0, v133, vcc_lo
	v_mul_lo_u32 v134, s19, v125
	v_add_co_u32 v125, vcc_lo, v0, 26
	s_delay_alu instid0(VALU_DEP_3) | instskip(NEXT) | instid1(VALU_DEP_2)
	v_mul_lo_u32 v126, s18, v126
	v_mad_u64_u32 v[143:144], null, s18, v125, 0
	s_delay_alu instid0(VALU_DEP_2) | instskip(SKIP_3) | instid1(VALU_DEP_3)
	v_add3_u32 v142, v142, v126, v134
	v_add_co_ci_u32_e32 v126, vcc_lo, 0, v133, vcc_lo
	v_mul_lo_u32 v134, s19, v125
	v_add_co_u32 v125, vcc_lo, v0, 25
	v_mul_lo_u32 v126, s18, v126
	s_delay_alu instid0(VALU_DEP_2) | instskip(NEXT) | instid1(VALU_DEP_2)
	v_mad_u64_u32 v[145:146], null, s18, v125, 0
	v_add3_u32 v144, v144, v126, v134
	v_add_co_ci_u32_e32 v126, vcc_lo, 0, v133, vcc_lo
	v_mul_lo_u32 v134, s19, v125
	;; [unrolled: 15-line block ×13, first 2 shown]
	v_add_co_u32 v0, vcc_lo, v0, 2
	s_delay_alu instid0(VALU_DEP_3) | instskip(SKIP_1) | instid1(VALU_DEP_1)
	v_mul_lo_u32 v126, s18, v126
	v_add_co_ci_u32_e32 v125, vcc_lo, 0, v133, vcc_lo
	v_mul_lo_u32 v125, s18, v125
	s_delay_alu instid0(VALU_DEP_3) | instskip(SKIP_2) | instid1(VALU_DEP_1)
	v_add3_u32 v252, v252, v126, v134
	v_mul_lo_u32 v126, s19, v0
	v_mad_u64_u32 v[133:134], null, s18, v0, 0
	v_add3_u32 v134, v134, v125, v126
	v_add_co_u32 v125, vcc_lo, v135, s18
	v_add_co_ci_u32_e32 v126, vcc_lo, s19, v136, vcc_lo
	v_add_co_u32 v135, vcc_lo, s20, v137
	v_add_co_ci_u32_e32 v136, vcc_lo, s21, v138, vcc_lo
	;; [unrolled: 2-line block ×3, first 2 shown]
	v_add_co_u32 v0, vcc_lo, s20, v127
	v_lshlrev_b64 v[125:126], 1, v[125:126]
	scratch_store_b32 off, v0, off offset:4 ; 4-byte Folded Spill
	v_add_co_ci_u32_e32 v0, vcc_lo, s21, v128, vcc_lo
	scratch_store_b32 off, v0, off offset:8 ; 4-byte Folded Spill
	v_add_co_u32 v0, vcc_lo, s22, v127
	scratch_store_b32 off, v0, off offset:12 ; 4-byte Folded Spill
	v_add_co_ci_u32_e32 v0, vcc_lo, s23, v128, vcc_lo
	v_lshlrev_b64 v[127:128], 1, v[129:130]
	scratch_store_b32 off, v0, off offset:16 ; 4-byte Folded Spill
	v_add_co_u32 v0, vcc_lo, s20, v127
	scratch_store_b32 off, v0, off offset:20 ; 4-byte Folded Spill
	v_add_co_ci_u32_e32 v0, vcc_lo, s21, v128, vcc_lo
	scratch_store_b32 off, v0, off offset:24 ; 4-byte Folded Spill
	v_add_co_u32 v0, vcc_lo, s22, v127
	scratch_store_b32 off, v0, off offset:28 ; 4-byte Folded Spill
	v_add_co_ci_u32_e32 v0, vcc_lo, s23, v128, vcc_lo
	v_lshlrev_b64 v[127:128], 1, v[131:132]
	v_mov_b32_e32 v131, 0
	scratch_store_b32 off, v0, off offset:32 ; 4-byte Folded Spill
	v_add_co_u32 v0, vcc_lo, s20, v127
	scratch_store_b32 off, v0, off offset:36 ; 4-byte Folded Spill
	v_add_co_ci_u32_e32 v0, vcc_lo, s21, v128, vcc_lo
	scratch_store_b32 off, v0, off offset:40 ; 4-byte Folded Spill
	v_add_co_u32 v0, vcc_lo, s22, v127
	scratch_store_b32 off, v0, off offset:44 ; 4-byte Folded Spill
	v_add_co_ci_u32_e32 v0, vcc_lo, s23, v128, vcc_lo
	v_lshlrev_b64 v[127:128], 1, v[139:140]
	scratch_store_b32 off, v0, off offset:48 ; 4-byte Folded Spill
	v_add_co_u32 v0, vcc_lo, s20, v127
	scratch_store_b32 off, v0, off offset:52 ; 4-byte Folded Spill
	v_add_co_ci_u32_e32 v0, vcc_lo, s21, v128, vcc_lo
	scratch_store_b32 off, v0, off offset:56 ; 4-byte Folded Spill
	v_add_co_u32 v0, vcc_lo, s22, v127
	scratch_store_b32 off, v0, off offset:60 ; 4-byte Folded Spill
	v_add_co_ci_u32_e32 v0, vcc_lo, s23, v128, vcc_lo
	v_lshlrev_b64 v[127:128], 1, v[141:142]
	;; [unrolled: 9-line block ×4, first 2 shown]
	v_mov_b32_e32 v145, 0
	scratch_store_b32 off, v0, off offset:96 ; 4-byte Folded Spill
	v_add_co_u32 v0, vcc_lo, s20, v127
	scratch_store_b32 off, v0, off offset:100 ; 4-byte Folded Spill
	v_add_co_ci_u32_e32 v0, vcc_lo, s21, v128, vcc_lo
	scratch_store_b32 off, v0, off offset:104 ; 4-byte Folded Spill
	v_add_co_u32 v0, vcc_lo, s22, v127
	scratch_store_b32 off, v0, off offset:108 ; 4-byte Folded Spill
	v_add_co_ci_u32_e32 v0, vcc_lo, s23, v128, vcc_lo
	v_lshlrev_b64 v[127:128], 1, v[147:148]
	scratch_store_b32 off, v0, off offset:112 ; 4-byte Folded Spill
	v_add_co_u32 v0, vcc_lo, s20, v127
	scratch_store_b32 off, v0, off offset:116 ; 4-byte Folded Spill
	v_add_co_ci_u32_e32 v0, vcc_lo, s21, v128, vcc_lo
	scratch_store_b32 off, v0, off offset:120 ; 4-byte Folded Spill
	v_add_co_u32 v0, vcc_lo, s22, v127
	scratch_store_b32 off, v0, off offset:124 ; 4-byte Folded Spill
	v_add_co_ci_u32_e32 v0, vcc_lo, s23, v128, vcc_lo
	v_lshlrev_b64 v[127:128], 1, v[149:150]
	;; [unrolled: 9-line block ×6, first 2 shown]
	scratch_store_b32 off, v0, off offset:192 ; 4-byte Folded Spill
	v_add_co_u32 v0, vcc_lo, s20, v127
	scratch_store_b32 off, v0, off offset:196 ; 4-byte Folded Spill
	v_add_co_ci_u32_e32 v0, vcc_lo, s21, v128, vcc_lo
	scratch_store_b32 off, v0, off offset:200 ; 4-byte Folded Spill
	v_add_co_u32 v0, vcc_lo, s22, v127
	v_add_co_ci_u32_e32 v190, vcc_lo, s23, v128, vcc_lo
	v_lshlrev_b64 v[127:128], 1, v[159:160]
	scratch_store_b32 off, v0, off offset:204 ; 4-byte Folded Spill
	v_add_co_u32 v191, vcc_lo, s20, v127
	v_add_co_ci_u32_e32 v192, vcc_lo, s21, v128, vcc_lo
	v_add_co_u32 v193, vcc_lo, s22, v127
	v_add_co_ci_u32_e32 v194, vcc_lo, s23, v128, vcc_lo
	v_lshlrev_b64 v[127:128], 1, v[161:162]
	s_delay_alu instid0(VALU_DEP_1) | instskip(NEXT) | instid1(VALU_DEP_2)
	v_add_co_u32 v195, vcc_lo, s20, v127
	v_add_co_ci_u32_e32 v196, vcc_lo, s21, v128, vcc_lo
	v_add_co_u32 v197, vcc_lo, s22, v127
	v_add_co_ci_u32_e32 v198, vcc_lo, s23, v128, vcc_lo
	v_lshlrev_b64 v[127:128], 1, v[163:164]
	s_delay_alu instid0(VALU_DEP_1) | instskip(NEXT) | instid1(VALU_DEP_2)
	;; [unrolled: 6-line block ×16, first 2 shown]
	v_add_co_u32 v255, vcc_lo, s20, v127
	v_add_co_ci_u32_e32 v133, vcc_lo, s21, v128, vcc_lo
	v_add_co_u32 v0, vcc_lo, s22, v127
	v_add_co_ci_u32_e32 v134, vcc_lo, s23, v128, vcc_lo
	;; [unrolled: 2-line block ×3, first 2 shown]
	v_add_co_u32 v141, vcc_lo, s22, v125
	v_and_b32_e32 v125, 0x3ff, v177
	v_add_co_ci_u32_e32 v142, vcc_lo, s23, v126, vcc_lo
	v_mov_b32_e32 v126, 0
	s_mov_b64 s[20:21], 31
	scratch_store_b32 off, v125, off offset:300 ; 4-byte Folded Spill
	v_add_nc_u32_e32 v125, s15, v125
	s_mov_b64 s[22:23], s[6:7]
	v_mov_b32_e32 v143, v126
	s_delay_alu instid0(VALU_DEP_2)
	v_lshlrev_b64 v[127:128], 1, v[125:126]
.LBB97_145:                             ; =>This Inner Loop Header: Depth=1
	scratch_load_b32 v125, off, off         ; 4-byte Folded Reload
	s_add_u32 s24, s6, s20
	s_addc_u32 s25, 0, s21
	scratch_store_b32 off, v131, off offset:208 ; 4-byte Folded Spill
	v_cmp_ge_i64_e64 s7, s[24:25], s[16:17]
	s_waitcnt vmcnt(0)
	v_add_co_u32 v129, vcc_lo, s6, v125
	v_add_co_ci_u32_e32 v130, vcc_lo, 0, v143, vcc_lo
	s_delay_alu instid0(VALU_DEP_3)
	s_and_b32 vcc_lo, exec_lo, s7
	s_cbranch_vccz .LBB97_213
; %bb.146:                              ;   in Loop: Header=BB97_145 Depth=1
	s_load_b32 s7, s[4:5], 0xc
	s_clause 0x1
	scratch_load_b32 v125, off, off offset:296
	scratch_load_b32 v131, off, off offset:300
	v_mov_b32_e32 v146, 0
	s_waitcnt lgkmcnt(0)
	s_and_b32 s7, s7, 0xffff
	s_waitcnt vmcnt(0)
	v_mad_u32_u24 v125, v125, s7, v131
	s_mov_b32 s7, exec_lo
	s_delay_alu instid0(VALU_DEP_1) | instskip(NEXT) | instid1(VALU_DEP_1)
	v_and_b32_e32 v125, 31, v125
	v_add_co_u32 v131, vcc_lo, v129, v125
	v_mov_b32_e32 v125, 0
	v_add_co_ci_u32_e32 v132, vcc_lo, 0, v130, vcc_lo
	scratch_store_b32 off, v125, off offset:212 ; 4-byte Folded Spill
	v_mov_b32_e32 v125, 0
	v_cmpx_gt_i64_e64 s[16:17], v[131:132]
	s_cbranch_execz .LBB97_148
; %bb.147:                              ;   in Loop: Header=BB97_145 Depth=1
	v_lshlrev_b64 v[131:132], 2, v[131:132]
	s_delay_alu instid0(VALU_DEP_1) | instskip(NEXT) | instid1(VALU_DEP_2)
	v_add_co_u32 v146, vcc_lo, s8, v131
	v_add_co_ci_u32_e32 v147, vcc_lo, s9, v132, vcc_lo
	v_add_co_u32 v131, vcc_lo, s10, v131
	v_add_co_ci_u32_e32 v132, vcc_lo, s11, v132, vcc_lo
	global_load_b32 v146, v[146:147], off
	global_load_b32 v125, v[131:132], off
.LBB97_148:                             ;   in Loop: Header=BB97_145 Depth=1
	s_or_b32 exec_lo, exec_lo, s7
	v_mov_b32_e32 v178, 0
	s_mov_b32 s7, exec_lo
	v_cmpx_gt_i64_e64 s[16:17], v[129:130]
	s_cbranch_execz .LBB97_150
; %bb.149:                              ;   in Loop: Header=BB97_145 Depth=1
	v_add_co_u32 v131, vcc_lo, v137, v127
	v_add_co_ci_u32_e32 v132, vcc_lo, v138, v128, vcc_lo
	v_add_co_u32 v147, vcc_lo, v135, v127
	v_add_co_ci_u32_e32 v148, vcc_lo, v136, v128, vcc_lo
	global_load_u16 v131, v[131:132], off
	global_load_u16 v132, v[147:148], off
	s_waitcnt vmcnt(1)
	v_lshlrev_b32_e32 v131, 16, v131
	s_waitcnt vmcnt(0)
	v_lshlrev_b32_e32 v178, 16, v132
	scratch_store_b32 off, v131, off offset:212 ; 4-byte Folded Spill
.LBB97_150:                             ;   in Loop: Header=BB97_145 Depth=1
	s_or_b32 exec_lo, exec_lo, s7
	v_add_co_u32 v131, vcc_lo, v129, 1
	v_add_co_ci_u32_e32 v132, vcc_lo, 0, v130, vcc_lo
	v_dual_mov_b32 v187, 0 :: v_dual_mov_b32 v188, 0
	v_mov_b32_e32 v179, 0
	s_mov_b32 s7, exec_lo
	s_delay_alu instid0(VALU_DEP_3)
	v_cmpx_gt_i64_e64 s[16:17], v[131:132]
	s_cbranch_execz .LBB97_152
; %bb.151:                              ;   in Loop: Header=BB97_145 Depth=1
	v_add_co_u32 v131, vcc_lo, v141, v127
	v_add_co_ci_u32_e32 v132, vcc_lo, v142, v128, vcc_lo
	v_add_co_u32 v147, vcc_lo, v139, v127
	v_add_co_ci_u32_e32 v148, vcc_lo, v140, v128, vcc_lo
	global_load_u16 v131, v[131:132], off
	global_load_u16 v132, v[147:148], off
	s_waitcnt vmcnt(1)
	v_lshlrev_b32_e32 v188, 16, v131
	s_waitcnt vmcnt(0)
	v_lshlrev_b32_e32 v179, 16, v132
.LBB97_152:                             ;   in Loop: Header=BB97_145 Depth=1
	s_or_b32 exec_lo, exec_lo, s7
	v_add_co_u32 v131, vcc_lo, v129, 2
	v_add_co_ci_u32_e32 v132, vcc_lo, 0, v130, vcc_lo
	v_mov_b32_e32 v180, 0
	s_mov_b32 s7, exec_lo
	s_delay_alu instid0(VALU_DEP_2)
	v_cmpx_gt_i64_e64 s[16:17], v[131:132]
	s_cbranch_execz .LBB97_154
; %bb.153:                              ;   in Loop: Header=BB97_145 Depth=1
	v_add_co_u32 v131, vcc_lo, v0, v127
	v_add_co_ci_u32_e32 v132, vcc_lo, v134, v128, vcc_lo
	v_add_co_u32 v147, vcc_lo, v255, v127
	v_add_co_ci_u32_e32 v148, vcc_lo, v133, v128, vcc_lo
	global_load_u16 v131, v[131:132], off
	global_load_u16 v132, v[147:148], off
	s_waitcnt vmcnt(1)
	v_lshlrev_b32_e32 v187, 16, v131
	s_waitcnt vmcnt(0)
	v_lshlrev_b32_e32 v180, 16, v132
.LBB97_154:                             ;   in Loop: Header=BB97_145 Depth=1
	s_or_b32 exec_lo, exec_lo, s7
	v_add_co_u32 v131, vcc_lo, v129, 3
	v_add_co_ci_u32_e32 v132, vcc_lo, 0, v130, vcc_lo
	v_mov_b32_e32 v189, 0
	v_mov_b32_e32 v181, 0
	s_delay_alu instid0(VALU_DEP_3)
	v_cmp_gt_i64_e32 vcc_lo, s[16:17], v[131:132]
	v_mov_b32_e32 v131, 0
	scratch_store_b32 off, v131, off offset:228 ; 4-byte Folded Spill
	s_and_saveexec_b32 s7, vcc_lo
	s_cbranch_execz .LBB97_156
; %bb.155:                              ;   in Loop: Header=BB97_145 Depth=1
	v_add_co_u32 v131, vcc_lo, v253, v127
	v_add_co_ci_u32_e32 v132, vcc_lo, v254, v128, vcc_lo
	v_add_co_u32 v147, vcc_lo, v251, v127
	v_add_co_ci_u32_e32 v148, vcc_lo, v252, v128, vcc_lo
	global_load_u16 v131, v[131:132], off
	global_load_u16 v132, v[147:148], off
	s_waitcnt vmcnt(1)
	v_lshlrev_b32_e32 v131, 16, v131
	s_waitcnt vmcnt(0)
	v_lshlrev_b32_e32 v181, 16, v132
	scratch_store_b32 off, v131, off offset:228 ; 4-byte Folded Spill
.LBB97_156:                             ;   in Loop: Header=BB97_145 Depth=1
	s_or_b32 exec_lo, exec_lo, s7
	v_add_co_u32 v131, vcc_lo, v129, 4
	v_add_co_ci_u32_e32 v132, vcc_lo, 0, v130, vcc_lo
	v_mov_b32_e32 v182, 0
	s_mov_b32 s7, exec_lo
	s_delay_alu instid0(VALU_DEP_2)
	v_cmpx_gt_i64_e64 s[16:17], v[131:132]
	s_cbranch_execz .LBB97_158
; %bb.157:                              ;   in Loop: Header=BB97_145 Depth=1
	v_add_co_u32 v131, vcc_lo, v249, v127
	v_add_co_ci_u32_e32 v132, vcc_lo, v250, v128, vcc_lo
	v_add_co_u32 v147, vcc_lo, v247, v127
	v_add_co_ci_u32_e32 v148, vcc_lo, v248, v128, vcc_lo
	global_load_u16 v131, v[131:132], off
	global_load_u16 v132, v[147:148], off
	s_waitcnt vmcnt(1)
	v_lshlrev_b32_e32 v189, 16, v131
	s_waitcnt vmcnt(0)
	v_lshlrev_b32_e32 v182, 16, v132
.LBB97_158:                             ;   in Loop: Header=BB97_145 Depth=1
	s_or_b32 exec_lo, exec_lo, s7
	v_add_co_u32 v131, vcc_lo, v129, 5
	v_add_co_ci_u32_e32 v132, vcc_lo, 0, v130, vcc_lo
	v_dual_mov_b32 v144, 0 :: v_dual_mov_b32 v185, 0
	s_delay_alu instid0(VALU_DEP_2)
	v_cmp_gt_i64_e32 vcc_lo, s[16:17], v[131:132]
	v_mov_b32_e32 v131, 0
	s_clause 0x1
	scratch_store_b32 off, v144, off offset:232
	scratch_store_b32 off, v131, off offset:236
	s_and_saveexec_b32 s7, vcc_lo
	s_cbranch_execz .LBB97_160
; %bb.159:                              ;   in Loop: Header=BB97_145 Depth=1
	v_add_co_u32 v131, vcc_lo, v245, v127
	v_add_co_ci_u32_e32 v132, vcc_lo, v246, v128, vcc_lo
	v_add_co_u32 v147, vcc_lo, v243, v127
	v_add_co_ci_u32_e32 v148, vcc_lo, v244, v128, vcc_lo
	global_load_u16 v131, v[131:132], off
	global_load_u16 v132, v[147:148], off
	s_waitcnt vmcnt(1)
	v_lshlrev_b32_e32 v131, 16, v131
	s_waitcnt vmcnt(0)
	v_lshlrev_b32_e32 v185, 16, v132
	scratch_store_b32 off, v131, off offset:236 ; 4-byte Folded Spill
.LBB97_160:                             ;   in Loop: Header=BB97_145 Depth=1
	s_or_b32 exec_lo, exec_lo, s7
	v_add_co_u32 v131, vcc_lo, v129, 6
	v_add_co_ci_u32_e32 v132, vcc_lo, 0, v130, vcc_lo
	v_mov_b32_e32 v186, 0
	s_mov_b32 s7, exec_lo
	s_delay_alu instid0(VALU_DEP_2)
	v_cmpx_gt_i64_e64 s[16:17], v[131:132]
	s_cbranch_execz .LBB97_162
; %bb.161:                              ;   in Loop: Header=BB97_145 Depth=1
	v_add_co_u32 v131, vcc_lo, v241, v127
	v_add_co_ci_u32_e32 v132, vcc_lo, v242, v128, vcc_lo
	v_add_co_u32 v147, vcc_lo, v239, v127
	v_add_co_ci_u32_e32 v148, vcc_lo, v240, v128, vcc_lo
	global_load_u16 v131, v[131:132], off
	global_load_u16 v132, v[147:148], off
	s_waitcnt vmcnt(1)
	v_lshlrev_b32_e32 v131, 16, v131
	s_waitcnt vmcnt(0)
	v_lshlrev_b32_e32 v186, 16, v132
	scratch_store_b32 off, v131, off offset:232 ; 4-byte Folded Spill
.LBB97_162:                             ;   in Loop: Header=BB97_145 Depth=1
	s_or_b32 exec_lo, exec_lo, s7
	v_add_co_u32 v131, vcc_lo, v129, 7
	v_add_co_ci_u32_e32 v132, vcc_lo, 0, v130, vcc_lo
	v_mov_b32_e32 v144, 0
	s_delay_alu instid0(VALU_DEP_2)
	v_cmp_gt_i64_e32 vcc_lo, s[16:17], v[131:132]
	v_mov_b32_e32 v131, 0
	scratch_store_b32 off, v131, off offset:244 ; 4-byte Folded Spill
	v_mov_b32_e32 v131, 0
	s_clause 0x1
	scratch_store_b32 off, v144, off offset:240
	scratch_store_b32 off, v131, off offset:216
	s_and_saveexec_b32 s7, vcc_lo
	s_cbranch_execz .LBB97_164
; %bb.163:                              ;   in Loop: Header=BB97_145 Depth=1
	v_add_co_u32 v131, vcc_lo, v237, v127
	v_add_co_ci_u32_e32 v132, vcc_lo, v238, v128, vcc_lo
	v_add_co_u32 v147, vcc_lo, v235, v127
	v_add_co_ci_u32_e32 v148, vcc_lo, v236, v128, vcc_lo
	global_load_u16 v131, v[131:132], off
	global_load_u16 v132, v[147:148], off
	s_waitcnt vmcnt(1)
	v_lshlrev_b32_e32 v131, 16, v131
	scratch_store_b32 off, v131, off offset:244 ; 4-byte Folded Spill
	s_waitcnt vmcnt(0)
	v_lshlrev_b32_e32 v131, 16, v132
	scratch_store_b32 off, v131, off offset:216 ; 4-byte Folded Spill
.LBB97_164:                             ;   in Loop: Header=BB97_145 Depth=1
	s_or_b32 exec_lo, exec_lo, s7
	v_add_co_u32 v131, vcc_lo, v129, 8
	v_add_co_ci_u32_e32 v132, vcc_lo, 0, v130, vcc_lo
	s_delay_alu instid0(VALU_DEP_1)
	v_cmp_gt_i64_e32 vcc_lo, s[16:17], v[131:132]
	v_mov_b32_e32 v131, 0
	scratch_store_b32 off, v131, off offset:220 ; 4-byte Folded Spill
	s_and_saveexec_b32 s7, vcc_lo
	s_cbranch_execz .LBB97_166
; %bb.165:                              ;   in Loop: Header=BB97_145 Depth=1
	v_add_co_u32 v131, vcc_lo, v233, v127
	v_add_co_ci_u32_e32 v132, vcc_lo, v234, v128, vcc_lo
	v_add_co_u32 v147, vcc_lo, v231, v127
	v_add_co_ci_u32_e32 v148, vcc_lo, v232, v128, vcc_lo
	global_load_u16 v131, v[131:132], off
	global_load_u16 v132, v[147:148], off
	s_waitcnt vmcnt(1)
	v_lshlrev_b32_e32 v131, 16, v131
	scratch_store_b32 off, v131, off offset:240 ; 4-byte Folded Spill
	s_waitcnt vmcnt(0)
	v_lshlrev_b32_e32 v131, 16, v132
	scratch_store_b32 off, v131, off offset:220 ; 4-byte Folded Spill
.LBB97_166:                             ;   in Loop: Header=BB97_145 Depth=1
	s_or_b32 exec_lo, exec_lo, s7
	v_add_co_u32 v131, vcc_lo, v129, 9
	v_add_co_ci_u32_e32 v132, vcc_lo, 0, v130, vcc_lo
	v_mov_b32_e32 v144, 0
	s_delay_alu instid0(VALU_DEP_2)
	v_cmp_gt_i64_e32 vcc_lo, s[16:17], v[131:132]
	v_mov_b32_e32 v131, 0
	scratch_store_b32 off, v131, off offset:252 ; 4-byte Folded Spill
	v_mov_b32_e32 v131, 0
	s_clause 0x1
	scratch_store_b32 off, v144, off offset:248
	scratch_store_b32 off, v131, off offset:224
	s_and_saveexec_b32 s7, vcc_lo
	s_cbranch_execz .LBB97_168
; %bb.167:                              ;   in Loop: Header=BB97_145 Depth=1
	v_add_co_u32 v131, vcc_lo, v229, v127
	v_add_co_ci_u32_e32 v132, vcc_lo, v230, v128, vcc_lo
	v_add_co_u32 v147, vcc_lo, v227, v127
	v_add_co_ci_u32_e32 v148, vcc_lo, v228, v128, vcc_lo
	global_load_u16 v131, v[131:132], off
	global_load_u16 v132, v[147:148], off
	s_waitcnt vmcnt(1)
	v_lshlrev_b32_e32 v131, 16, v131
	scratch_store_b32 off, v131, off offset:252 ; 4-byte Folded Spill
	s_waitcnt vmcnt(0)
	v_lshlrev_b32_e32 v131, 16, v132
	scratch_store_b32 off, v131, off offset:224 ; 4-byte Folded Spill
.LBB97_168:                             ;   in Loop: Header=BB97_145 Depth=1
	s_or_b32 exec_lo, exec_lo, s7
	v_add_co_u32 v131, vcc_lo, v129, 10
	v_add_co_ci_u32_e32 v132, vcc_lo, 0, v130, vcc_lo
	s_delay_alu instid0(VALU_DEP_1)
	v_cmp_gt_i64_e32 vcc_lo, s[16:17], v[131:132]
	v_mov_b32_e32 v131, 0
	s_and_saveexec_b32 s7, vcc_lo
	s_cbranch_execz .LBB97_170
; %bb.169:                              ;   in Loop: Header=BB97_145 Depth=1
	v_add_co_u32 v131, vcc_lo, v225, v127
	v_add_co_ci_u32_e32 v132, vcc_lo, v226, v128, vcc_lo
	v_add_co_u32 v147, vcc_lo, v223, v127
	v_add_co_ci_u32_e32 v148, vcc_lo, v224, v128, vcc_lo
	global_load_u16 v131, v[131:132], off
	global_load_u16 v132, v[147:148], off
	s_waitcnt vmcnt(1)
	v_lshlrev_b32_e32 v131, 16, v131
	scratch_store_b32 off, v131, off offset:248 ; 4-byte Folded Spill
	s_waitcnt vmcnt(0)
	v_lshlrev_b32_e32 v131, 16, v132
.LBB97_170:                             ;   in Loop: Header=BB97_145 Depth=1
	s_or_b32 exec_lo, exec_lo, s7
	v_mov_b32_e32 v132, 0
	v_add_co_u32 v147, vcc_lo, v129, 11
	v_add_co_ci_u32_e32 v148, vcc_lo, 0, v130, vcc_lo
	scratch_store_b32 off, v132, off offset:256 ; 4-byte Folded Spill
	v_mov_b32_e32 v132, 0
	s_mov_b32 s7, exec_lo
	scratch_store_b32 off, v132, off offset:260 ; 4-byte Folded Spill
	v_mov_b32_e32 v132, 0
	v_cmpx_gt_i64_e64 s[16:17], v[147:148]
	s_cbranch_execz .LBB97_172
; %bb.171:                              ;   in Loop: Header=BB97_145 Depth=1
	v_add_co_u32 v147, vcc_lo, v221, v127
	v_add_co_ci_u32_e32 v148, vcc_lo, v222, v128, vcc_lo
	v_add_co_u32 v149, vcc_lo, v219, v127
	v_add_co_ci_u32_e32 v150, vcc_lo, v220, v128, vcc_lo
	global_load_u16 v132, v[147:148], off
	global_load_u16 v147, v[149:150], off
	s_waitcnt vmcnt(1)
	v_lshlrev_b32_e32 v132, 16, v132
	scratch_store_b32 off, v132, off offset:260 ; 4-byte Folded Spill
	s_waitcnt vmcnt(0)
	v_lshlrev_b32_e32 v132, 16, v147
.LBB97_172:                             ;   in Loop: Header=BB97_145 Depth=1
	s_or_b32 exec_lo, exec_lo, s7
	v_add_co_u32 v147, vcc_lo, v129, 12
	v_add_co_ci_u32_e32 v148, vcc_lo, 0, v130, vcc_lo
	s_delay_alu instid0(VALU_DEP_1)
	v_cmp_gt_i64_e32 vcc_lo, s[16:17], v[147:148]
	v_mov_b32_e32 v147, 0
	s_and_saveexec_b32 s7, vcc_lo
	s_cbranch_execz .LBB97_174
; %bb.173:                              ;   in Loop: Header=BB97_145 Depth=1
	v_add_co_u32 v147, vcc_lo, v217, v127
	v_add_co_ci_u32_e32 v148, vcc_lo, v218, v128, vcc_lo
	v_add_co_u32 v149, vcc_lo, v215, v127
	v_add_co_ci_u32_e32 v150, vcc_lo, v216, v128, vcc_lo
	global_load_u16 v147, v[147:148], off
	global_load_u16 v148, v[149:150], off
	s_waitcnt vmcnt(1)
	v_lshlrev_b32_e32 v144, 16, v147
	s_waitcnt vmcnt(0)
	v_lshlrev_b32_e32 v147, 16, v148
	scratch_store_b32 off, v144, off offset:256 ; 4-byte Folded Spill
.LBB97_174:                             ;   in Loop: Header=BB97_145 Depth=1
	s_or_b32 exec_lo, exec_lo, s7
	v_add_co_u32 v148, vcc_lo, v129, 13
	v_add_co_ci_u32_e32 v149, vcc_lo, 0, v130, vcc_lo
	v_mov_b32_e32 v144, 0
	s_delay_alu instid0(VALU_DEP_2)
	v_cmp_gt_i64_e32 vcc_lo, s[16:17], v[148:149]
	v_mov_b32_e32 v148, 0
	scratch_store_b32 off, v144, off offset:264 ; 4-byte Folded Spill
	v_mov_b32_e32 v144, 0
	scratch_store_b32 off, v144, off offset:268 ; 4-byte Folded Spill
	s_and_saveexec_b32 s7, vcc_lo
	s_cbranch_execz .LBB97_176
; %bb.175:                              ;   in Loop: Header=BB97_145 Depth=1
	v_add_co_u32 v148, vcc_lo, v213, v127
	v_add_co_ci_u32_e32 v149, vcc_lo, v214, v128, vcc_lo
	v_add_co_u32 v150, vcc_lo, v211, v127
	v_add_co_ci_u32_e32 v151, vcc_lo, v212, v128, vcc_lo
	global_load_u16 v148, v[148:149], off
	global_load_u16 v149, v[150:151], off
	s_waitcnt vmcnt(1)
	v_lshlrev_b32_e32 v144, 16, v148
	s_waitcnt vmcnt(0)
	v_lshlrev_b32_e32 v148, 16, v149
	scratch_store_b32 off, v144, off offset:268 ; 4-byte Folded Spill
.LBB97_176:                             ;   in Loop: Header=BB97_145 Depth=1
	s_or_b32 exec_lo, exec_lo, s7
	v_add_co_u32 v149, vcc_lo, v129, 14
	v_add_co_ci_u32_e32 v150, vcc_lo, 0, v130, vcc_lo
	s_delay_alu instid0(VALU_DEP_1)
	v_cmp_gt_i64_e32 vcc_lo, s[16:17], v[149:150]
	v_mov_b32_e32 v149, 0
	s_and_saveexec_b32 s7, vcc_lo
	s_cbranch_execz .LBB97_178
; %bb.177:                              ;   in Loop: Header=BB97_145 Depth=1
	v_add_co_u32 v149, vcc_lo, v209, v127
	v_add_co_ci_u32_e32 v150, vcc_lo, v210, v128, vcc_lo
	v_add_co_u32 v151, vcc_lo, v207, v127
	v_add_co_ci_u32_e32 v152, vcc_lo, v208, v128, vcc_lo
	global_load_u16 v149, v[149:150], off
	global_load_u16 v150, v[151:152], off
	s_waitcnt vmcnt(1)
	v_lshlrev_b32_e32 v144, 16, v149
	s_waitcnt vmcnt(0)
	v_lshlrev_b32_e32 v149, 16, v150
	scratch_store_b32 off, v144, off offset:264 ; 4-byte Folded Spill
.LBB97_178:                             ;   in Loop: Header=BB97_145 Depth=1
	s_or_b32 exec_lo, exec_lo, s7
	v_add_co_u32 v150, vcc_lo, v129, 15
	v_add_co_ci_u32_e32 v151, vcc_lo, 0, v130, vcc_lo
	v_mov_b32_e32 v144, 0
	s_delay_alu instid0(VALU_DEP_2)
	v_cmp_gt_i64_e32 vcc_lo, s[16:17], v[150:151]
	v_mov_b32_e32 v150, 0
	scratch_store_b32 off, v144, off offset:276 ; 4-byte Folded Spill
	v_mov_b32_e32 v144, 0
	scratch_store_b32 off, v144, off offset:280 ; 4-byte Folded Spill
	s_and_saveexec_b32 s7, vcc_lo
	s_cbranch_execz .LBB97_180
; %bb.179:                              ;   in Loop: Header=BB97_145 Depth=1
	v_add_co_u32 v150, vcc_lo, v205, v127
	v_add_co_ci_u32_e32 v151, vcc_lo, v206, v128, vcc_lo
	v_add_co_u32 v152, vcc_lo, v203, v127
	v_add_co_ci_u32_e32 v153, vcc_lo, v204, v128, vcc_lo
	global_load_u16 v150, v[150:151], off
	global_load_u16 v151, v[152:153], off
	s_waitcnt vmcnt(1)
	v_lshlrev_b32_e32 v144, 16, v150
	s_waitcnt vmcnt(0)
	v_lshlrev_b32_e32 v150, 16, v151
	scratch_store_b32 off, v144, off offset:280 ; 4-byte Folded Spill
.LBB97_180:                             ;   in Loop: Header=BB97_145 Depth=1
	;; [unrolled: 46-line block ×3, first 2 shown]
	s_or_b32 exec_lo, exec_lo, s7
	v_add_co_u32 v153, vcc_lo, v129, 18
	v_add_co_ci_u32_e32 v154, vcc_lo, 0, v130, vcc_lo
	s_delay_alu instid0(VALU_DEP_1)
	v_cmp_gt_i64_e32 vcc_lo, s[16:17], v[153:154]
	v_mov_b32_e32 v153, 0
	s_and_saveexec_b32 s7, vcc_lo
	s_cbranch_execz .LBB97_186
; %bb.185:                              ;   in Loop: Header=BB97_145 Depth=1
	v_add_co_u32 v153, vcc_lo, v193, v127
	v_add_co_ci_u32_e32 v154, vcc_lo, v194, v128, vcc_lo
	v_add_co_u32 v155, vcc_lo, v191, v127
	v_add_co_ci_u32_e32 v156, vcc_lo, v192, v128, vcc_lo
	global_load_u16 v153, v[153:154], off
	global_load_u16 v154, v[155:156], off
	s_waitcnt vmcnt(1)
	v_lshlrev_b32_e32 v144, 16, v153
	s_waitcnt vmcnt(0)
	v_lshlrev_b32_e32 v153, 16, v154
	scratch_store_b32 off, v144, off offset:272 ; 4-byte Folded Spill
.LBB97_186:                             ;   in Loop: Header=BB97_145 Depth=1
	s_or_b32 exec_lo, exec_lo, s7
	v_add_co_u32 v154, vcc_lo, v129, 19
	v_add_co_ci_u32_e32 v155, vcc_lo, 0, v130, vcc_lo
	v_mov_b32_e32 v144, 0
	s_delay_alu instid0(VALU_DEP_2)
	v_cmp_gt_i64_e32 vcc_lo, s[16:17], v[154:155]
	v_mov_b32_e32 v154, 0
	scratch_store_b32 off, v144, off offset:284 ; 4-byte Folded Spill
	v_mov_b32_e32 v144, 0
	scratch_store_b32 off, v144, off offset:288 ; 4-byte Folded Spill
	s_and_saveexec_b32 s7, vcc_lo
	s_cbranch_execz .LBB97_188
; %bb.187:                              ;   in Loop: Header=BB97_145 Depth=1
	scratch_load_b32 v144, off, off offset:204 ; 4-byte Folded Reload
	s_waitcnt vmcnt(0)
	v_add_co_u32 v154, vcc_lo, v144, v127
	scratch_load_b32 v144, off, off offset:196 ; 4-byte Folded Reload
	v_add_co_ci_u32_e32 v155, vcc_lo, v190, v128, vcc_lo
	s_waitcnt vmcnt(0)
	v_add_co_u32 v156, vcc_lo, v144, v127
	scratch_load_b32 v144, off, off offset:200 ; 4-byte Folded Reload
	s_waitcnt vmcnt(0)
	v_add_co_ci_u32_e32 v157, vcc_lo, v144, v128, vcc_lo
	global_load_u16 v154, v[154:155], off
	global_load_u16 v155, v[156:157], off
	s_waitcnt vmcnt(1)
	v_lshlrev_b32_e32 v144, 16, v154
	s_waitcnt vmcnt(0)
	v_lshlrev_b32_e32 v154, 16, v155
	scratch_store_b32 off, v144, off offset:288 ; 4-byte Folded Spill
.LBB97_188:                             ;   in Loop: Header=BB97_145 Depth=1
	s_or_b32 exec_lo, exec_lo, s7
	v_add_co_u32 v155, vcc_lo, v129, 20
	v_add_co_ci_u32_e32 v156, vcc_lo, 0, v130, vcc_lo
	s_delay_alu instid0(VALU_DEP_1)
	v_cmp_gt_i64_e32 vcc_lo, s[16:17], v[155:156]
	v_mov_b32_e32 v155, 0
	s_and_saveexec_b32 s7, vcc_lo
	s_cbranch_execz .LBB97_190
; %bb.189:                              ;   in Loop: Header=BB97_145 Depth=1
	scratch_load_b32 v144, off, off offset:188 ; 4-byte Folded Reload
	s_waitcnt vmcnt(0)
	v_add_co_u32 v155, vcc_lo, v144, v127
	scratch_load_b32 v144, off, off offset:192 ; 4-byte Folded Reload
	s_waitcnt vmcnt(0)
	v_add_co_ci_u32_e32 v156, vcc_lo, v144, v128, vcc_lo
	scratch_load_b32 v144, off, off offset:180 ; 4-byte Folded Reload
	s_waitcnt vmcnt(0)
	v_add_co_u32 v157, vcc_lo, v144, v127
	scratch_load_b32 v144, off, off offset:184 ; 4-byte Folded Reload
	s_waitcnt vmcnt(0)
	v_add_co_ci_u32_e32 v158, vcc_lo, v144, v128, vcc_lo
	global_load_u16 v155, v[155:156], off
	global_load_u16 v156, v[157:158], off
	s_waitcnt vmcnt(1)
	v_lshlrev_b32_e32 v144, 16, v155
	s_waitcnt vmcnt(0)
	v_lshlrev_b32_e32 v155, 16, v156
	scratch_store_b32 off, v144, off offset:284 ; 4-byte Folded Spill
.LBB97_190:                             ;   in Loop: Header=BB97_145 Depth=1
	s_or_b32 exec_lo, exec_lo, s7
	v_add_co_u32 v158, vcc_lo, v129, 21
	v_add_co_ci_u32_e32 v159, vcc_lo, 0, v130, vcc_lo
	v_dual_mov_b32 v157, 0 :: v_dual_mov_b32 v156, 0
	s_delay_alu instid0(VALU_DEP_2)
	v_cmp_gt_i64_e32 vcc_lo, s[16:17], v[158:159]
	v_mov_b32_e32 v158, 0
	s_and_saveexec_b32 s7, vcc_lo
	s_cbranch_execz .LBB97_192
; %bb.191:                              ;   in Loop: Header=BB97_145 Depth=1
	s_clause 0x1
	scratch_load_b32 v144, off, off offset:172
	scratch_load_b32 v156, off, off offset:164
	s_waitcnt vmcnt(1)
	v_add_co_u32 v158, vcc_lo, v144, v127
	scratch_load_b32 v144, off, off offset:176 ; 4-byte Folded Reload
	s_waitcnt vmcnt(0)
	v_add_co_ci_u32_e32 v159, vcc_lo, v144, v128, vcc_lo
	v_add_co_u32 v160, vcc_lo, v156, v127
	scratch_load_b32 v156, off, off offset:168 ; 4-byte Folded Reload
	s_waitcnt vmcnt(0)
	v_add_co_ci_u32_e32 v161, vcc_lo, v156, v128, vcc_lo
	global_load_u16 v156, v[158:159], off
	global_load_u16 v159, v[160:161], off
	s_waitcnt vmcnt(1)
	v_lshlrev_b32_e32 v158, 16, v156
	s_waitcnt vmcnt(0)
	v_lshlrev_b32_e32 v156, 16, v159
.LBB97_192:                             ;   in Loop: Header=BB97_145 Depth=1
	s_or_b32 exec_lo, exec_lo, s7
	v_add_co_u32 v159, vcc_lo, v129, 22
	v_add_co_ci_u32_e32 v160, vcc_lo, 0, v130, vcc_lo
	s_delay_alu instid0(VALU_DEP_1)
	v_cmp_gt_i64_e32 vcc_lo, s[16:17], v[159:160]
	v_mov_b32_e32 v159, 0
	s_and_saveexec_b32 s7, vcc_lo
	s_cbranch_execz .LBB97_194
; %bb.193:                              ;   in Loop: Header=BB97_145 Depth=1
	scratch_load_b32 v157, off, off offset:156 ; 4-byte Folded Reload
	s_waitcnt vmcnt(0)
	v_add_co_u32 v159, vcc_lo, v157, v127
	scratch_load_b32 v157, off, off offset:160 ; 4-byte Folded Reload
	s_waitcnt vmcnt(0)
	v_add_co_ci_u32_e32 v160, vcc_lo, v157, v128, vcc_lo
	scratch_load_b32 v157, off, off offset:148 ; 4-byte Folded Reload
	s_waitcnt vmcnt(0)
	v_add_co_u32 v161, vcc_lo, v157, v127
	scratch_load_b32 v157, off, off offset:152 ; 4-byte Folded Reload
	s_waitcnt vmcnt(0)
	v_add_co_ci_u32_e32 v162, vcc_lo, v157, v128, vcc_lo
	global_load_u16 v157, v[159:160], off
	global_load_u16 v159, v[161:162], off
	s_waitcnt vmcnt(1)
	v_lshlrev_b32_e32 v157, 16, v157
	s_waitcnt vmcnt(0)
	v_lshlrev_b32_e32 v159, 16, v159
.LBB97_194:                             ;   in Loop: Header=BB97_145 Depth=1
	s_or_b32 exec_lo, exec_lo, s7
	v_add_co_u32 v162, vcc_lo, v129, 23
	v_add_co_ci_u32_e32 v163, vcc_lo, 0, v130, vcc_lo
	v_dual_mov_b32 v161, 0 :: v_dual_mov_b32 v160, 0
	s_delay_alu instid0(VALU_DEP_2)
	v_cmp_gt_i64_e32 vcc_lo, s[16:17], v[162:163]
	v_mov_b32_e32 v163, 0
	s_and_saveexec_b32 s7, vcc_lo
	s_cbranch_execz .LBB97_196
; %bb.195:                              ;   in Loop: Header=BB97_145 Depth=1
	scratch_load_b32 v160, off, off offset:140 ; 4-byte Folded Reload
	s_waitcnt vmcnt(0)
	v_add_co_u32 v162, vcc_lo, v160, v127
	scratch_load_b32 v160, off, off offset:144 ; 4-byte Folded Reload
	s_waitcnt vmcnt(0)
	v_add_co_ci_u32_e32 v163, vcc_lo, v160, v128, vcc_lo
	scratch_load_b32 v160, off, off offset:132 ; 4-byte Folded Reload
	s_waitcnt vmcnt(0)
	v_add_co_u32 v164, vcc_lo, v160, v127
	scratch_load_b32 v160, off, off offset:136 ; 4-byte Folded Reload
	s_waitcnt vmcnt(0)
	v_add_co_ci_u32_e32 v165, vcc_lo, v160, v128, vcc_lo
	global_load_u16 v160, v[162:163], off
	global_load_u16 v162, v[164:165], off
	s_waitcnt vmcnt(1)
	v_lshlrev_b32_e32 v163, 16, v160
	s_waitcnt vmcnt(0)
	v_lshlrev_b32_e32 v160, 16, v162
.LBB97_196:                             ;   in Loop: Header=BB97_145 Depth=1
	s_or_b32 exec_lo, exec_lo, s7
	v_add_co_u32 v164, vcc_lo, v129, 24
	v_add_co_ci_u32_e32 v165, vcc_lo, 0, v130, vcc_lo
	v_mov_b32_e32 v162, 0
	s_mov_b32 s7, exec_lo
	s_delay_alu instid0(VALU_DEP_2)
	v_cmpx_gt_i64_e64 s[16:17], v[164:165]
	s_cbranch_execz .LBB97_198
; %bb.197:                              ;   in Loop: Header=BB97_145 Depth=1
	s_clause 0x3
	scratch_load_b32 v161, off, off offset:124
	scratch_load_b32 v162, off, off offset:128
	;; [unrolled: 1-line block ×4, first 2 shown]
	s_waitcnt vmcnt(3)
	v_add_co_u32 v161, vcc_lo, v161, v127
	s_waitcnt vmcnt(2)
	v_add_co_ci_u32_e32 v162, vcc_lo, v162, v128, vcc_lo
	s_waitcnt vmcnt(1)
	v_add_co_u32 v164, vcc_lo, v164, v127
	s_waitcnt vmcnt(0)
	v_add_co_ci_u32_e32 v165, vcc_lo, v165, v128, vcc_lo
	global_load_u16 v161, v[161:162], off
	global_load_u16 v162, v[164:165], off
	s_waitcnt vmcnt(1)
	v_lshlrev_b32_e32 v161, 16, v161
	s_waitcnt vmcnt(0)
	v_lshlrev_b32_e32 v162, 16, v162
.LBB97_198:                             ;   in Loop: Header=BB97_145 Depth=1
	s_or_b32 exec_lo, exec_lo, s7
	v_add_co_u32 v166, vcc_lo, v129, 25
	v_add_co_ci_u32_e32 v167, vcc_lo, 0, v130, vcc_lo
	v_dual_mov_b32 v165, 0 :: v_dual_mov_b32 v164, 0
	s_delay_alu instid0(VALU_DEP_2)
	v_cmp_gt_i64_e32 vcc_lo, s[16:17], v[166:167]
	v_mov_b32_e32 v167, 0
	s_and_saveexec_b32 s7, vcc_lo
	s_cbranch_execz .LBB97_200
; %bb.199:                              ;   in Loop: Header=BB97_145 Depth=1
	scratch_load_b32 v164, off, off offset:108 ; 4-byte Folded Reload
	s_waitcnt vmcnt(0)
	v_add_co_u32 v166, vcc_lo, v164, v127
	scratch_load_b32 v164, off, off offset:112 ; 4-byte Folded Reload
	s_waitcnt vmcnt(0)
	v_add_co_ci_u32_e32 v167, vcc_lo, v164, v128, vcc_lo
	scratch_load_b32 v164, off, off offset:100 ; 4-byte Folded Reload
	s_waitcnt vmcnt(0)
	v_add_co_u32 v168, vcc_lo, v164, v127
	scratch_load_b32 v164, off, off offset:104 ; 4-byte Folded Reload
	s_waitcnt vmcnt(0)
	v_add_co_ci_u32_e32 v169, vcc_lo, v164, v128, vcc_lo
	global_load_u16 v164, v[166:167], off
	global_load_u16 v166, v[168:169], off
	s_waitcnt vmcnt(1)
	v_lshlrev_b32_e32 v167, 16, v164
	s_waitcnt vmcnt(0)
	v_lshlrev_b32_e32 v164, 16, v166
.LBB97_200:                             ;   in Loop: Header=BB97_145 Depth=1
	s_or_b32 exec_lo, exec_lo, s7
	v_add_co_u32 v168, vcc_lo, v129, 26
	v_add_co_ci_u32_e32 v169, vcc_lo, 0, v130, vcc_lo
	v_mov_b32_e32 v166, 0
	s_mov_b32 s7, exec_lo
	s_delay_alu instid0(VALU_DEP_2)
	v_cmpx_gt_i64_e64 s[16:17], v[168:169]
	s_cbranch_execz .LBB97_202
; %bb.201:                              ;   in Loop: Header=BB97_145 Depth=1
	s_clause 0x3
	scratch_load_b32 v165, off, off offset:92
	scratch_load_b32 v166, off, off offset:96
	;; [unrolled: 1-line block ×4, first 2 shown]
	s_waitcnt vmcnt(3)
	v_add_co_u32 v165, vcc_lo, v165, v127
	s_waitcnt vmcnt(2)
	v_add_co_ci_u32_e32 v166, vcc_lo, v166, v128, vcc_lo
	s_waitcnt vmcnt(1)
	v_add_co_u32 v168, vcc_lo, v168, v127
	s_waitcnt vmcnt(0)
	v_add_co_ci_u32_e32 v169, vcc_lo, v169, v128, vcc_lo
	global_load_u16 v165, v[165:166], off
	global_load_u16 v166, v[168:169], off
	s_waitcnt vmcnt(1)
	v_lshlrev_b32_e32 v165, 16, v165
	s_waitcnt vmcnt(0)
	v_lshlrev_b32_e32 v166, 16, v166
.LBB97_202:                             ;   in Loop: Header=BB97_145 Depth=1
	s_or_b32 exec_lo, exec_lo, s7
	v_add_co_u32 v170, vcc_lo, v129, 27
	v_add_co_ci_u32_e32 v171, vcc_lo, 0, v130, vcc_lo
	v_dual_mov_b32 v169, 0 :: v_dual_mov_b32 v168, 0
	s_delay_alu instid0(VALU_DEP_2)
	v_cmp_gt_i64_e32 vcc_lo, s[16:17], v[170:171]
	v_mov_b32_e32 v170, 0
	s_and_saveexec_b32 s7, vcc_lo
	s_cbranch_execz .LBB97_204
; %bb.203:                              ;   in Loop: Header=BB97_145 Depth=1
	scratch_load_b32 v168, off, off offset:76 ; 4-byte Folded Reload
	s_waitcnt vmcnt(0)
	v_add_co_u32 v170, vcc_lo, v168, v127
	scratch_load_b32 v168, off, off offset:80 ; 4-byte Folded Reload
	s_waitcnt vmcnt(0)
	v_add_co_ci_u32_e32 v171, vcc_lo, v168, v128, vcc_lo
	scratch_load_b32 v168, off, off offset:68 ; 4-byte Folded Reload
	s_waitcnt vmcnt(0)
	v_add_co_u32 v172, vcc_lo, v168, v127
	scratch_load_b32 v168, off, off offset:72 ; 4-byte Folded Reload
	s_waitcnt vmcnt(0)
	v_add_co_ci_u32_e32 v173, vcc_lo, v168, v128, vcc_lo
	global_load_u16 v168, v[170:171], off
	global_load_u16 v171, v[172:173], off
	s_waitcnt vmcnt(1)
	v_lshlrev_b32_e32 v170, 16, v168
	s_waitcnt vmcnt(0)
	v_lshlrev_b32_e32 v168, 16, v171
.LBB97_204:                             ;   in Loop: Header=BB97_145 Depth=1
	s_or_b32 exec_lo, exec_lo, s7
	v_add_co_u32 v171, vcc_lo, v129, 28
	v_add_co_ci_u32_e32 v172, vcc_lo, 0, v130, vcc_lo
	s_delay_alu instid0(VALU_DEP_1)
	v_cmp_gt_i64_e32 vcc_lo, s[16:17], v[171:172]
	v_mov_b32_e32 v171, 0
	s_and_saveexec_b32 s7, vcc_lo
	s_cbranch_execz .LBB97_206
; %bb.205:                              ;   in Loop: Header=BB97_145 Depth=1
	scratch_load_b32 v169, off, off offset:60 ; 4-byte Folded Reload
	s_waitcnt vmcnt(0)
	v_add_co_u32 v171, vcc_lo, v169, v127
	scratch_load_b32 v169, off, off offset:64 ; 4-byte Folded Reload
	s_waitcnt vmcnt(0)
	v_add_co_ci_u32_e32 v172, vcc_lo, v169, v128, vcc_lo
	scratch_load_b32 v169, off, off offset:52 ; 4-byte Folded Reload
	s_waitcnt vmcnt(0)
	v_add_co_u32 v173, vcc_lo, v169, v127
	scratch_load_b32 v169, off, off offset:56 ; 4-byte Folded Reload
	s_waitcnt vmcnt(0)
	v_add_co_ci_u32_e32 v174, vcc_lo, v169, v128, vcc_lo
	global_load_u16 v169, v[171:172], off
	global_load_u16 v171, v[173:174], off
	s_waitcnt vmcnt(1)
	v_lshlrev_b32_e32 v169, 16, v169
	s_waitcnt vmcnt(0)
	v_lshlrev_b32_e32 v171, 16, v171
.LBB97_206:                             ;   in Loop: Header=BB97_145 Depth=1
	s_or_b32 exec_lo, exec_lo, s7
	v_add_co_u32 v174, vcc_lo, v129, 29
	v_add_co_ci_u32_e32 v175, vcc_lo, 0, v130, vcc_lo
	v_dual_mov_b32 v173, 0 :: v_dual_mov_b32 v172, 0
	s_delay_alu instid0(VALU_DEP_2)
	v_cmp_gt_i64_e32 vcc_lo, s[16:17], v[174:175]
	v_mov_b32_e32 v174, 0
	s_and_saveexec_b32 s7, vcc_lo
	s_cbranch_execz .LBB97_208
; %bb.207:                              ;   in Loop: Header=BB97_145 Depth=1
	scratch_load_b32 v172, off, off offset:44 ; 4-byte Folded Reload
	s_waitcnt vmcnt(0)
	v_add_co_u32 v174, vcc_lo, v172, v127
	scratch_load_b32 v172, off, off offset:48 ; 4-byte Folded Reload
	s_waitcnt vmcnt(0)
	v_add_co_ci_u32_e32 v175, vcc_lo, v172, v128, vcc_lo
	scratch_load_b32 v172, off, off offset:36 ; 4-byte Folded Reload
	s_waitcnt vmcnt(0)
	v_add_co_u32 v176, vcc_lo, v172, v127
	scratch_load_b32 v172, off, off offset:40 ; 4-byte Folded Reload
	s_waitcnt vmcnt(0)
	v_add_co_ci_u32_e32 v177, vcc_lo, v172, v128, vcc_lo
	global_load_u16 v172, v[174:175], off
	global_load_u16 v175, v[176:177], off
	s_waitcnt vmcnt(1)
	v_lshlrev_b32_e32 v174, 16, v172
	s_waitcnt vmcnt(0)
	v_lshlrev_b32_e32 v172, 16, v175
.LBB97_208:                             ;   in Loop: Header=BB97_145 Depth=1
	s_or_b32 exec_lo, exec_lo, s7
	v_add_co_u32 v175, vcc_lo, v129, 30
	v_add_co_ci_u32_e32 v176, vcc_lo, 0, v130, vcc_lo
	v_mov_b32_e32 v144, v178
	s_delay_alu instid0(VALU_DEP_2)
	v_cmp_gt_i64_e32 vcc_lo, s[16:17], v[175:176]
	v_mov_b32_e32 v175, 0
	s_and_saveexec_b32 s7, vcc_lo
	s_cbranch_execz .LBB97_210
; %bb.209:                              ;   in Loop: Header=BB97_145 Depth=1
	scratch_load_b32 v173, off, off offset:28 ; 4-byte Folded Reload
	s_waitcnt vmcnt(0)
	v_add_co_u32 v175, vcc_lo, v173, v127
	scratch_load_b32 v173, off, off offset:32 ; 4-byte Folded Reload
	s_waitcnt vmcnt(0)
	v_add_co_ci_u32_e32 v176, vcc_lo, v173, v128, vcc_lo
	scratch_load_b32 v173, off, off offset:20 ; 4-byte Folded Reload
	s_waitcnt vmcnt(0)
	v_add_co_u32 v177, vcc_lo, v173, v127
	scratch_load_b32 v173, off, off offset:24 ; 4-byte Folded Reload
	s_waitcnt vmcnt(0)
	v_add_co_ci_u32_e32 v178, vcc_lo, v173, v128, vcc_lo
	global_load_u16 v173, v[175:176], off
	global_load_u16 v175, v[177:178], off
	s_waitcnt vmcnt(1)
	v_lshlrev_b32_e32 v173, 16, v173
	s_waitcnt vmcnt(0)
	v_lshlrev_b32_e32 v175, 16, v175
.LBB97_210:                             ;   in Loop: Header=BB97_145 Depth=1
	s_or_b32 exec_lo, exec_lo, s7
	v_add_co_u32 v176, vcc_lo, v129, 31
	v_add_co_ci_u32_e32 v177, vcc_lo, 0, v130, vcc_lo
	v_mov_b32_e32 v183, v181
	v_mov_b32_e32 v181, v179
	s_mov_b32 s7, 0
	s_delay_alu instid0(VALU_DEP_3)
	v_cmp_gt_i64_e32 vcc_lo, s[16:17], v[176:177]
	v_dual_mov_b32 v176, 0 :: v_dual_mov_b32 v177, 0
	s_and_saveexec_b32 s15, vcc_lo
	s_cbranch_execz .LBB97_212
; %bb.211:                              ;   in Loop: Header=BB97_145 Depth=1
	s_clause 0x3
	scratch_load_b32 v176, off, off offset:12
	scratch_load_b32 v177, off, off offset:16
	;; [unrolled: 1-line block ×4, first 2 shown]
	s_waitcnt vmcnt(3)
	v_add_co_u32 v176, vcc_lo, v176, v127
	s_waitcnt vmcnt(2)
	v_add_co_ci_u32_e32 v177, vcc_lo, v177, v128, vcc_lo
	s_waitcnt vmcnt(1)
	v_add_co_u32 v178, vcc_lo, v178, v127
	s_waitcnt vmcnt(0)
	v_add_co_ci_u32_e32 v179, vcc_lo, v179, v128, vcc_lo
	global_load_u16 v176, v[176:177], off
	global_load_u16 v178, v[178:179], off
	s_waitcnt vmcnt(1)
	v_lshlrev_b32_e32 v177, 16, v176
	s_waitcnt vmcnt(0)
	v_lshlrev_b32_e32 v176, 16, v178
.LBB97_212:                             ;   in Loop: Header=BB97_145 Depth=1
	s_or_b32 exec_lo, exec_lo, s15
	scratch_load_b32 v179, off, off offset:212 ; 4-byte Folded Reload
	s_waitcnt vmcnt(2)
	ds_bpermute_b32 v178, v126, v146
	v_mov_b32_e32 v184, v144
	s_waitcnt vmcnt(0) lgkmcnt(0)
	v_sub_f32_e32 v178, v179, v178
	ds_bpermute_b32 v179, v126, v146 offset:4
	s_waitcnt lgkmcnt(0)
	v_sub_f32_e32 v179, v188, v179
	v_mul_f32_e32 v144, v184, v178
	ds_bpermute_b32 v178, v126, v125
	scratch_load_b32 v188, off, off offset:220 ; 4-byte Folded Reload
	s_waitcnt lgkmcnt(0)
	v_fma_f32 v144, v144, v178, v145
	v_mul_f32_e32 v178, v181, v179
	ds_bpermute_b32 v179, v126, v125 offset:4
	s_waitcnt lgkmcnt(0)
	v_fmac_f32_e32 v144, v178, v179
	ds_bpermute_b32 v178, v126, v146 offset:8
	ds_bpermute_b32 v179, v126, v125 offset:8
	s_waitcnt lgkmcnt(1)
	v_sub_f32_e32 v178, v187, v178
	scratch_load_b32 v187, off, off offset:216 ; 4-byte Folded Reload
	v_mul_f32_e32 v178, v180, v178
	s_waitcnt lgkmcnt(0)
	s_delay_alu instid0(VALU_DEP_1)
	v_fmac_f32_e32 v144, v178, v179
	scratch_load_b32 v179, off, off offset:228 ; 4-byte Folded Reload
	ds_bpermute_b32 v178, v126, v146 offset:12
	s_waitcnt vmcnt(0) lgkmcnt(0)
	v_sub_f32_e32 v178, v179, v178
	ds_bpermute_b32 v179, v126, v125 offset:12
	v_mul_f32_e32 v178, v183, v178
	s_waitcnt lgkmcnt(0)
	s_delay_alu instid0(VALU_DEP_1)
	v_fmac_f32_e32 v144, v178, v179
	ds_bpermute_b32 v178, v126, v146 offset:16
	ds_bpermute_b32 v179, v126, v125 offset:16
	s_waitcnt lgkmcnt(1)
	v_sub_f32_e32 v178, v189, v178
	scratch_load_b32 v189, off, off offset:224 ; 4-byte Folded Reload
	v_mul_f32_e32 v178, v182, v178
	s_waitcnt lgkmcnt(0)
	s_delay_alu instid0(VALU_DEP_1)
	v_fmac_f32_e32 v144, v178, v179
	scratch_load_b32 v179, off, off offset:236 ; 4-byte Folded Reload
	ds_bpermute_b32 v178, v126, v146 offset:20
	s_waitcnt vmcnt(0) lgkmcnt(0)
	v_sub_f32_e32 v178, v179, v178
	ds_bpermute_b32 v179, v126, v125 offset:20
	v_mul_f32_e32 v178, v185, v178
	s_waitcnt lgkmcnt(0)
	s_delay_alu instid0(VALU_DEP_1)
	v_fmac_f32_e32 v144, v178, v179
	scratch_load_b32 v179, off, off offset:232 ; 4-byte Folded Reload
	ds_bpermute_b32 v178, v126, v146 offset:24
	s_waitcnt vmcnt(0) lgkmcnt(0)
	v_sub_f32_e32 v178, v179, v178
	ds_bpermute_b32 v179, v126, v125 offset:24
	;; [unrolled: 9-line block ×13, first 2 shown]
	v_mul_f32_e32 v178, v152, v178
	s_waitcnt lgkmcnt(0)
	s_delay_alu instid0(VALU_DEP_1)
	v_fmac_f32_e32 v144, v178, v179
	s_clause 0x1
	scratch_load_b32 v178, off, off offset:208
	scratch_load_b32 v179, off, off offset:272
	s_waitcnt vmcnt(1)
	v_add_f32_e32 v178, v178, v184
	s_delay_alu instid0(VALU_DEP_1) | instskip(SKIP_4) | instid1(VALU_DEP_1)
	v_add_f32_e32 v178, v178, v181
	scratch_load_b32 v181, off, off offset:284 ; 4-byte Folded Reload
	v_add_f32_e32 v178, v178, v180
	scratch_load_b32 v180, off, off offset:288 ; 4-byte Folded Reload
	v_add_f32_e32 v178, v178, v183
	v_add_f32_e32 v178, v178, v182
	s_delay_alu instid0(VALU_DEP_1) | instskip(NEXT) | instid1(VALU_DEP_1)
	v_add_f32_e32 v178, v178, v185
	v_add_f32_e32 v178, v178, v186
	s_delay_alu instid0(VALU_DEP_1) | instskip(NEXT) | instid1(VALU_DEP_1)
	;; [unrolled: 3-line block ×3, first 2 shown]
	v_add_f32_e32 v178, v178, v189
	v_add_f32_e32 v131, v178, v131
	ds_bpermute_b32 v178, v126, v146 offset:72
	v_add_f32_e32 v131, v131, v132
	ds_bpermute_b32 v132, v126, v146 offset:76
	;; [unrolled: 2-line block ×5, first 2 shown]
	s_waitcnt vmcnt(2) lgkmcnt(4)
	v_sub_f32_e32 v178, v179, v178
	ds_bpermute_b32 v179, v126, v146 offset:84
	v_add_f32_e32 v131, v131, v150
	ds_bpermute_b32 v150, v126, v125 offset:80
	v_dual_mul_f32 v178, v153, v178 :: v_dual_add_f32 v131, v131, v151
	ds_bpermute_b32 v151, v126, v125 offset:84
	v_add_f32_e32 v131, v131, v152
	s_waitcnt lgkmcnt(4)
	v_fmac_f32_e32 v144, v178, v148
	ds_bpermute_b32 v148, v126, v146 offset:92
	v_add_f32_e32 v131, v131, v153
	ds_bpermute_b32 v153, v126, v146 offset:100
	s_waitcnt lgkmcnt(4)
	v_dual_sub_f32 v152, v158, v179 :: v_dual_add_f32 v131, v131, v154
	s_delay_alu instid0(VALU_DEP_1) | instskip(NEXT) | instid1(VALU_DEP_1)
	v_add_f32_e32 v131, v131, v155
	v_add_f32_e32 v131, v131, v156
	s_waitcnt lgkmcnt(1)
	v_sub_f32_e32 v148, v163, v148
	s_delay_alu instid0(VALU_DEP_1) | instskip(NEXT) | instid1(VALU_DEP_1)
	v_dual_add_f32 v131, v131, v159 :: v_dual_mul_f32 v148, v160, v148
	v_add_f32_e32 v131, v131, v160
	s_delay_alu instid0(VALU_DEP_1) | instskip(NEXT) | instid1(VALU_DEP_1)
	v_add_f32_e32 v131, v131, v162
	v_add_f32_e32 v131, v131, v164
	s_delay_alu instid0(VALU_DEP_1) | instskip(NEXT) | instid1(VALU_DEP_1)
	v_add_f32_e32 v131, v131, v166
	;; [unrolled: 3-line block ×3, first 2 shown]
	v_add_f32_e32 v131, v131, v172
	s_delay_alu instid0(VALU_DEP_1)
	v_add_f32_e32 v131, v131, v175
	s_waitcnt vmcnt(0)
	v_dual_sub_f32 v147, v181, v147 :: v_dual_sub_f32 v132, v180, v132
	ds_bpermute_b32 v180, v126, v146 offset:88
	v_dual_mul_f32 v147, v155, v147 :: v_dual_mul_f32 v132, v154, v132
	ds_bpermute_b32 v154, v126, v125 offset:116
	v_fmac_f32_e32 v144, v132, v149
	ds_bpermute_b32 v132, v126, v125 offset:88
	ds_bpermute_b32 v149, v126, v146 offset:96
	v_fmac_f32_e32 v144, v147, v150
	ds_bpermute_b32 v147, v126, v125 offset:92
	v_mul_f32_e32 v150, v156, v152
	s_waitcnt lgkmcnt(4)
	v_sub_f32_e32 v152, v157, v180
	s_delay_alu instid0(VALU_DEP_2)
	v_fmac_f32_e32 v144, v150, v151
	ds_bpermute_b32 v150, v126, v125 offset:96
	v_mul_f32_e32 v151, v159, v152
	ds_bpermute_b32 v152, v126, v146 offset:104
	s_waitcnt lgkmcnt(4)
	v_fmac_f32_e32 v144, v151, v132
	ds_bpermute_b32 v132, v126, v125 offset:100
	s_waitcnt lgkmcnt(4)
	v_sub_f32_e32 v149, v161, v149
	ds_bpermute_b32 v151, v126, v146 offset:108
	s_waitcnt lgkmcnt(4)
	v_fmac_f32_e32 v144, v148, v147
	ds_bpermute_b32 v148, v126, v125 offset:104
	v_mul_f32_e32 v147, v162, v149
	v_sub_f32_e32 v149, v167, v153
	ds_bpermute_b32 v153, v126, v146 offset:112
	s_waitcnt lgkmcnt(5)
	v_dual_fmac_f32 v144, v147, v150 :: v_dual_mul_f32 v147, v164, v149
	ds_bpermute_b32 v149, v126, v125 offset:108
	s_waitcnt lgkmcnt(5)
	v_sub_f32_e32 v150, v165, v152
	ds_bpermute_b32 v152, v126, v146 offset:116
	s_waitcnt lgkmcnt(5)
	v_dual_fmac_f32 v144, v147, v132 :: v_dual_mul_f32 v147, v166, v150
	ds_bpermute_b32 v132, v126, v125 offset:112
	ds_bpermute_b32 v150, v126, v146 offset:120
	s_waitcnt lgkmcnt(6)
	v_sub_f32_e32 v151, v170, v151
	ds_bpermute_b32 v146, v126, v146 offset:124
	s_waitcnt lgkmcnt(6)
	v_fmac_f32_e32 v144, v147, v148
	s_waitcnt lgkmcnt(5)
	v_dual_sub_f32 v148, v169, v153 :: v_dual_mul_f32 v147, v168, v151
	ds_bpermute_b32 v151, v126, v125 offset:120
	ds_bpermute_b32 v125, v126, v125 offset:124
	s_waitcnt lgkmcnt(6)
	v_fmac_f32_e32 v144, v147, v149
	v_mul_f32_e32 v147, v171, v148
	s_waitcnt lgkmcnt(5)
	v_sub_f32_e32 v148, v174, v152
	s_waitcnt lgkmcnt(4)
	s_delay_alu instid0(VALU_DEP_2) | instskip(SKIP_1) | instid1(VALU_DEP_2)
	v_fmac_f32_e32 v144, v147, v132
	s_waitcnt lgkmcnt(3)
	v_dual_mul_f32 v132, v172, v148 :: v_dual_sub_f32 v147, v173, v150
	s_waitcnt lgkmcnt(2)
	v_sub_f32_e32 v146, v177, v146
	s_delay_alu instid0(VALU_DEP_2) | instskip(NEXT) | instid1(VALU_DEP_3)
	v_fmac_f32_e32 v144, v132, v154
	v_mul_f32_e32 v132, v175, v147
	s_waitcnt lgkmcnt(1)
	s_delay_alu instid0(VALU_DEP_1) | instskip(SKIP_2) | instid1(VALU_DEP_1)
	v_fmac_f32_e32 v144, v132, v151
	v_mul_f32_e32 v132, v176, v146
	s_waitcnt lgkmcnt(0)
	v_dual_fmac_f32 v144, v132, v125 :: v_dual_add_f32 v125, v131, v176
	s_and_b32 vcc_lo, exec_lo, s7
	s_cbranch_vccnz .LBB97_214
	s_branch .LBB97_217
.LBB97_213:                             ;   in Loop: Header=BB97_145 Depth=1
                                        ; implicit-def: $vgpr125
                                        ; implicit-def: $vgpr144
	s_cbranch_execz .LBB97_217
.LBB97_214:                             ;   in Loop: Header=BB97_145 Depth=1
	s_load_b32 s7, s[4:5], 0x0
	s_waitcnt lgkmcnt(0)
	s_cmp_lt_u32 s14, s7
	s_cselect_b32 s7, 12, 18
	s_delay_alu instid0(SALU_CYCLE_1)
	s_add_u32 s24, s4, s7
	s_addc_u32 s25, s5, 0
	s_mov_b32 s7, exec_lo
	global_load_u16 v125, v126, s[24:25]
	s_clause 0x1
	scratch_load_b32 v131, off, off offset:296
	scratch_load_b32 v132, off, off offset:300
	s_waitcnt vmcnt(0)
	v_mad_u32_u24 v125, v131, v125, v132
	v_mov_b32_e32 v131, 0
	s_delay_alu instid0(VALU_DEP_2) | instskip(NEXT) | instid1(VALU_DEP_1)
	v_and_b32_e32 v125, 31, v125
	v_add_co_u32 v129, vcc_lo, v129, v125
	v_add_co_ci_u32_e32 v130, vcc_lo, 0, v130, vcc_lo
	v_mov_b32_e32 v125, 0
	s_delay_alu instid0(VALU_DEP_2)
	v_cmpx_gt_i64_e64 s[16:17], v[129:130]
	s_cbranch_execz .LBB97_216
; %bb.215:                              ;   in Loop: Header=BB97_145 Depth=1
	v_lshlrev_b64 v[129:130], 2, v[129:130]
	s_delay_alu instid0(VALU_DEP_1) | instskip(NEXT) | instid1(VALU_DEP_2)
	v_add_co_u32 v131, vcc_lo, s8, v129
	v_add_co_ci_u32_e32 v132, vcc_lo, s9, v130, vcc_lo
	v_add_co_u32 v129, vcc_lo, s10, v129
	v_add_co_ci_u32_e32 v130, vcc_lo, s11, v130, vcc_lo
	global_load_b32 v131, v[131:132], off
	global_load_b32 v125, v[129:130], off
.LBB97_216:                             ;   in Loop: Header=BB97_145 Depth=1
	s_or_b32 exec_lo, exec_lo, s7
	v_add_co_u32 v129, vcc_lo, v137, v127
	v_add_co_ci_u32_e32 v130, vcc_lo, v138, v128, vcc_lo
	s_waitcnt vmcnt(1)
	ds_bpermute_b32 v144, v126, v131 offset:4
	global_load_u16 v132, v[129:130], off
	v_add_co_u32 v129, vcc_lo, v135, v127
	v_add_co_ci_u32_e32 v130, vcc_lo, v136, v128, vcc_lo
	v_add_co_u32 v146, vcc_lo, v9, v127
	v_add_co_ci_u32_e32 v147, vcc_lo, v10, v128, vcc_lo
	global_load_u16 v129, v[129:130], off
	s_waitcnt vmcnt(1)
	v_lshlrev_b32_e32 v130, 16, v132
	ds_bpermute_b32 v132, v126, v131
	s_waitcnt vmcnt(0) lgkmcnt(0)
	v_dual_sub_f32 v130, v130, v132 :: v_dual_lshlrev_b32 v129, 16, v129
	ds_bpermute_b32 v132, v126, v125
	v_mul_f32_e32 v130, v130, v129
	s_waitcnt lgkmcnt(0)
	s_delay_alu instid0(VALU_DEP_1)
	v_fmac_f32_e32 v145, v130, v132
	global_load_u16 v130, v[146:147], off
	v_add_co_u32 v146, vcc_lo, v1, v127
	v_add_co_ci_u32_e32 v147, vcc_lo, v2, v128, vcc_lo
	global_load_u16 v132, v[146:147], off
	v_add_co_u32 v146, vcc_lo, v13, v127
	v_add_co_ci_u32_e32 v147, vcc_lo, v14, v128, vcc_lo
	s_waitcnt vmcnt(1)
	v_lshlrev_b32_e32 v130, 16, v130
	s_delay_alu instid0(VALU_DEP_1) | instskip(SKIP_2) | instid1(VALU_DEP_1)
	v_sub_f32_e32 v144, v130, v144
	s_waitcnt vmcnt(0)
	v_lshlrev_b32_e32 v130, 16, v132
	v_mul_f32_e32 v132, v144, v130
	ds_bpermute_b32 v144, v126, v125 offset:4
	s_waitcnt lgkmcnt(0)
	v_fmac_f32_e32 v145, v132, v144
	global_load_u16 v132, v[146:147], off
	v_add_co_u32 v146, vcc_lo, v3, v127
	v_add_co_ci_u32_e32 v147, vcc_lo, v4, v128, vcc_lo
	global_load_u16 v144, v[146:147], off
	ds_bpermute_b32 v146, v126, v131 offset:8
	s_waitcnt vmcnt(1)
	v_lshlrev_b32_e32 v132, 16, v132
	s_waitcnt lgkmcnt(0)
	s_delay_alu instid0(VALU_DEP_1) | instskip(SKIP_2) | instid1(VALU_DEP_1)
	v_sub_f32_e32 v146, v132, v146
	s_waitcnt vmcnt(0)
	v_lshlrev_b32_e32 v132, 16, v144
	v_mul_f32_e32 v144, v146, v132
	ds_bpermute_b32 v146, v126, v125 offset:8
	s_waitcnt lgkmcnt(0)
	v_fmac_f32_e32 v145, v144, v146
	v_add_co_u32 v146, vcc_lo, v15, v127
	v_add_co_ci_u32_e32 v147, vcc_lo, v16, v128, vcc_lo
	global_load_u16 v144, v[146:147], off
	v_add_co_u32 v146, vcc_lo, v5, v127
	v_add_co_ci_u32_e32 v147, vcc_lo, v6, v128, vcc_lo
	global_load_u16 v146, v[146:147], off
	ds_bpermute_b32 v147, v126, v131 offset:12
	s_waitcnt vmcnt(1)
	v_lshlrev_b32_e32 v144, 16, v144
	s_waitcnt vmcnt(0) lgkmcnt(0)
	s_delay_alu instid0(VALU_DEP_1) | instskip(NEXT) | instid1(VALU_DEP_1)
	v_dual_sub_f32 v147, v144, v147 :: v_dual_lshlrev_b32 v144, 16, v146
	v_mul_f32_e32 v146, v147, v144
	ds_bpermute_b32 v147, v126, v125 offset:12
	s_waitcnt lgkmcnt(0)
	v_fmac_f32_e32 v145, v146, v147
	v_add_co_u32 v146, vcc_lo, v17, v127
	v_add_co_ci_u32_e32 v147, vcc_lo, v18, v128, vcc_lo
	global_load_u16 v148, v[146:147], off
	v_add_co_u32 v146, vcc_lo, v7, v127
	v_add_co_ci_u32_e32 v147, vcc_lo, v8, v128, vcc_lo
	global_load_u16 v146, v[146:147], off
	s_waitcnt vmcnt(1)
	v_lshlrev_b32_e32 v147, 16, v148
	ds_bpermute_b32 v148, v126, v131 offset:16
	s_waitcnt lgkmcnt(0)
	v_sub_f32_e32 v147, v147, v148
	ds_bpermute_b32 v148, v126, v125 offset:16
	s_waitcnt vmcnt(0)
	v_lshlrev_b32_e32 v146, 16, v146
	s_delay_alu instid0(VALU_DEP_1) | instskip(SKIP_1) | instid1(VALU_DEP_1)
	v_mul_f32_e32 v147, v147, v146
	s_waitcnt lgkmcnt(0)
	v_fmac_f32_e32 v145, v147, v148
	v_add_co_u32 v147, vcc_lo, v21, v127
	v_add_co_ci_u32_e32 v148, vcc_lo, v22, v128, vcc_lo
	global_load_u16 v149, v[147:148], off
	v_add_co_u32 v147, vcc_lo, v11, v127
	v_add_co_ci_u32_e32 v148, vcc_lo, v12, v128, vcc_lo
	global_load_u16 v147, v[147:148], off
	s_waitcnt vmcnt(1)
	v_lshlrev_b32_e32 v148, 16, v149
	ds_bpermute_b32 v149, v126, v131 offset:20
	s_waitcnt vmcnt(0) lgkmcnt(0)
	v_dual_sub_f32 v148, v148, v149 :: v_dual_lshlrev_b32 v147, 16, v147
	ds_bpermute_b32 v149, v126, v125 offset:20
	v_mul_f32_e32 v148, v148, v147
	s_waitcnt lgkmcnt(0)
	s_delay_alu instid0(VALU_DEP_1)
	v_fmac_f32_e32 v145, v148, v149
	v_add_co_u32 v148, vcc_lo, v23, v127
	v_add_co_ci_u32_e32 v149, vcc_lo, v24, v128, vcc_lo
	global_load_u16 v150, v[148:149], off
	v_add_co_u32 v148, vcc_lo, v19, v127
	v_add_co_ci_u32_e32 v149, vcc_lo, v20, v128, vcc_lo
	global_load_u16 v148, v[148:149], off
	s_waitcnt vmcnt(1)
	v_lshlrev_b32_e32 v149, 16, v150
	ds_bpermute_b32 v150, v126, v131 offset:24
	s_waitcnt vmcnt(0) lgkmcnt(0)
	v_dual_sub_f32 v149, v149, v150 :: v_dual_lshlrev_b32 v148, 16, v148
	ds_bpermute_b32 v150, v126, v125 offset:24
	v_mul_f32_e32 v149, v149, v148
	s_waitcnt lgkmcnt(0)
	s_delay_alu instid0(VALU_DEP_1)
	;; [unrolled: 16-line block ×5, first 2 shown]
	v_fmac_f32_e32 v145, v152, v153
	v_add_co_u32 v152, vcc_lo, v39, v127
	v_add_co_ci_u32_e32 v153, vcc_lo, v40, v128, vcc_lo
	global_load_u16 v154, v[152:153], off
	v_add_co_u32 v152, vcc_lo, v37, v127
	v_add_co_ci_u32_e32 v153, vcc_lo, v38, v128, vcc_lo
	global_load_u16 v152, v[152:153], off
	s_waitcnt vmcnt(1)
	v_lshlrev_b32_e32 v153, 16, v154
	ds_bpermute_b32 v154, v126, v131 offset:40
	s_waitcnt vmcnt(0) lgkmcnt(0)
	v_dual_sub_f32 v153, v153, v154 :: v_dual_lshlrev_b32 v154, 16, v152
	s_delay_alu instid0(VALU_DEP_1)
	v_mul_f32_e32 v152, v153, v154
	ds_bpermute_b32 v153, v126, v125 offset:40
	s_waitcnt lgkmcnt(0)
	v_fmac_f32_e32 v145, v152, v153
	v_add_co_u32 v152, vcc_lo, v43, v127
	v_add_co_ci_u32_e32 v153, vcc_lo, v44, v128, vcc_lo
	global_load_u16 v155, v[152:153], off
	v_add_co_u32 v152, vcc_lo, v41, v127
	v_add_co_ci_u32_e32 v153, vcc_lo, v42, v128, vcc_lo
	global_load_u16 v152, v[152:153], off
	s_waitcnt vmcnt(1)
	v_lshlrev_b32_e32 v153, 16, v155
	ds_bpermute_b32 v155, v126, v131 offset:44
	s_waitcnt lgkmcnt(0)
	v_sub_f32_e32 v153, v153, v155
	s_waitcnt vmcnt(0)
	v_lshlrev_b32_e32 v155, 16, v152
	s_delay_alu instid0(VALU_DEP_1)
	v_mul_f32_e32 v152, v153, v155
	ds_bpermute_b32 v153, v126, v125 offset:44
	s_waitcnt lgkmcnt(0)
	v_fmac_f32_e32 v145, v152, v153
	v_add_co_u32 v152, vcc_lo, v47, v127
	v_add_co_ci_u32_e32 v153, vcc_lo, v48, v128, vcc_lo
	global_load_u16 v156, v[152:153], off
	v_add_co_u32 v152, vcc_lo, v45, v127
	v_add_co_ci_u32_e32 v153, vcc_lo, v46, v128, vcc_lo
	global_load_u16 v152, v[152:153], off
	s_waitcnt vmcnt(1)
	v_lshlrev_b32_e32 v153, 16, v156
	ds_bpermute_b32 v156, v126, v131 offset:48
	s_waitcnt lgkmcnt(0)
	v_sub_f32_e32 v153, v153, v156
	s_waitcnt vmcnt(0)
	v_lshlrev_b32_e32 v156, 16, v152
	;; [unrolled: 18-line block ×3, first 2 shown]
	s_delay_alu instid0(VALU_DEP_1)
	v_mul_f32_e32 v152, v153, v157
	ds_bpermute_b32 v153, v126, v125 offset:52
	s_waitcnt lgkmcnt(0)
	v_fmac_f32_e32 v145, v152, v153
	v_add_co_u32 v152, vcc_lo, v55, v127
	v_add_co_ci_u32_e32 v153, vcc_lo, v56, v128, vcc_lo
	global_load_u16 v158, v[152:153], off
	v_add_co_u32 v152, vcc_lo, v53, v127
	v_add_co_ci_u32_e32 v153, vcc_lo, v54, v128, vcc_lo
	global_load_u16 v152, v[152:153], off
	s_waitcnt vmcnt(1)
	v_lshlrev_b32_e32 v153, 16, v158
	ds_bpermute_b32 v158, v126, v131 offset:56
	s_waitcnt vmcnt(0) lgkmcnt(0)
	v_dual_sub_f32 v153, v153, v158 :: v_dual_lshlrev_b32 v158, 16, v152
	s_delay_alu instid0(VALU_DEP_1)
	v_mul_f32_e32 v152, v153, v158
	ds_bpermute_b32 v153, v126, v125 offset:56
	s_waitcnt lgkmcnt(0)
	v_fmac_f32_e32 v145, v152, v153
	v_add_co_u32 v152, vcc_lo, v59, v127
	v_add_co_ci_u32_e32 v153, vcc_lo, v60, v128, vcc_lo
	global_load_u16 v159, v[152:153], off
	v_add_co_u32 v152, vcc_lo, v57, v127
	v_add_co_ci_u32_e32 v153, vcc_lo, v58, v128, vcc_lo
	global_load_u16 v152, v[152:153], off
	s_waitcnt vmcnt(1)
	v_lshlrev_b32_e32 v153, 16, v159
	ds_bpermute_b32 v159, v126, v131 offset:60
	s_waitcnt lgkmcnt(0)
	v_sub_f32_e32 v153, v153, v159
	s_waitcnt vmcnt(0)
	v_lshlrev_b32_e32 v159, 16, v152
	s_delay_alu instid0(VALU_DEP_1)
	v_mul_f32_e32 v152, v153, v159
	ds_bpermute_b32 v153, v126, v125 offset:60
	s_waitcnt lgkmcnt(0)
	v_fmac_f32_e32 v145, v152, v153
	v_add_co_u32 v152, vcc_lo, v63, v127
	v_add_co_ci_u32_e32 v153, vcc_lo, v64, v128, vcc_lo
	global_load_u16 v160, v[152:153], off
	v_add_co_u32 v152, vcc_lo, v61, v127
	v_add_co_ci_u32_e32 v153, vcc_lo, v62, v128, vcc_lo
	global_load_u16 v152, v[152:153], off
	s_waitcnt vmcnt(1)
	v_lshlrev_b32_e32 v153, 16, v160
	ds_bpermute_b32 v160, v126, v131 offset:64
	s_waitcnt lgkmcnt(0)
	v_sub_f32_e32 v153, v153, v160
	s_waitcnt vmcnt(0)
	v_lshlrev_b32_e32 v160, 16, v152
	s_delay_alu instid0(VALU_DEP_1)
	v_mul_f32_e32 v152, v153, v160
	ds_bpermute_b32 v153, v126, v125 offset:64
	s_waitcnt lgkmcnt(0)
	v_fmac_f32_e32 v145, v152, v153
	v_add_co_u32 v152, vcc_lo, v67, v127
	v_add_co_ci_u32_e32 v153, vcc_lo, v68, v128, vcc_lo
	global_load_u16 v161, v[152:153], off
	v_add_co_u32 v152, vcc_lo, v65, v127
	v_add_co_ci_u32_e32 v153, vcc_lo, v66, v128, vcc_lo
	global_load_u16 v152, v[152:153], off
	s_waitcnt vmcnt(1)
	v_lshlrev_b32_e32 v153, 16, v161
	ds_bpermute_b32 v161, v126, v131 offset:68
	s_waitcnt lgkmcnt(0)
	v_sub_f32_e32 v153, v153, v161
	s_waitcnt vmcnt(0)
	v_lshlrev_b32_e32 v161, 16, v152
	s_delay_alu instid0(VALU_DEP_1)
	v_mul_f32_e32 v152, v153, v161
	ds_bpermute_b32 v153, v126, v125 offset:68
	s_waitcnt lgkmcnt(0)
	v_fmac_f32_e32 v145, v152, v153
	v_add_co_u32 v152, vcc_lo, v71, v127
	v_add_co_ci_u32_e32 v153, vcc_lo, v72, v128, vcc_lo
	global_load_u16 v162, v[152:153], off
	v_add_co_u32 v152, vcc_lo, v69, v127
	v_add_co_ci_u32_e32 v153, vcc_lo, v70, v128, vcc_lo
	global_load_u16 v152, v[152:153], off
	s_waitcnt vmcnt(1)
	v_lshlrev_b32_e32 v153, 16, v162
	ds_bpermute_b32 v162, v126, v131 offset:72
	s_waitcnt vmcnt(0) lgkmcnt(0)
	v_dual_sub_f32 v153, v153, v162 :: v_dual_lshlrev_b32 v162, 16, v152
	s_delay_alu instid0(VALU_DEP_1)
	v_mul_f32_e32 v152, v153, v162
	ds_bpermute_b32 v153, v126, v125 offset:72
	s_waitcnt lgkmcnt(0)
	v_fmac_f32_e32 v145, v152, v153
	v_add_co_u32 v152, vcc_lo, v75, v127
	v_add_co_ci_u32_e32 v153, vcc_lo, v76, v128, vcc_lo
	global_load_u16 v163, v[152:153], off
	v_add_co_u32 v152, vcc_lo, v73, v127
	v_add_co_ci_u32_e32 v153, vcc_lo, v74, v128, vcc_lo
	global_load_u16 v152, v[152:153], off
	s_waitcnt vmcnt(1)
	v_lshlrev_b32_e32 v153, 16, v163
	ds_bpermute_b32 v163, v126, v131 offset:76
	s_waitcnt lgkmcnt(0)
	v_sub_f32_e32 v153, v153, v163
	s_waitcnt vmcnt(0)
	v_lshlrev_b32_e32 v163, 16, v152
	s_delay_alu instid0(VALU_DEP_1)
	v_mul_f32_e32 v152, v153, v163
	ds_bpermute_b32 v153, v126, v125 offset:76
	s_waitcnt lgkmcnt(0)
	v_fmac_f32_e32 v145, v152, v153
	v_add_co_u32 v152, vcc_lo, v79, v127
	v_add_co_ci_u32_e32 v153, vcc_lo, v80, v128, vcc_lo
	global_load_u16 v164, v[152:153], off
	v_add_co_u32 v152, vcc_lo, v77, v127
	v_add_co_ci_u32_e32 v153, vcc_lo, v78, v128, vcc_lo
	global_load_u16 v152, v[152:153], off
	s_waitcnt vmcnt(1)
	v_lshlrev_b32_e32 v153, 16, v164
	ds_bpermute_b32 v164, v126, v131 offset:80
	s_waitcnt lgkmcnt(0)
	v_sub_f32_e32 v153, v153, v164
	s_waitcnt vmcnt(0)
	v_lshlrev_b32_e32 v164, 16, v152
	;; [unrolled: 18-line block ×3, first 2 shown]
	s_delay_alu instid0(VALU_DEP_1)
	v_mul_f32_e32 v152, v153, v165
	ds_bpermute_b32 v153, v126, v125 offset:84
	s_waitcnt lgkmcnt(0)
	v_fmac_f32_e32 v145, v152, v153
	v_add_co_u32 v152, vcc_lo, v87, v127
	v_add_co_ci_u32_e32 v153, vcc_lo, v88, v128, vcc_lo
	global_load_u16 v166, v[152:153], off
	v_add_co_u32 v152, vcc_lo, v85, v127
	v_add_co_ci_u32_e32 v153, vcc_lo, v86, v128, vcc_lo
	global_load_u16 v152, v[152:153], off
	s_waitcnt vmcnt(1)
	v_lshlrev_b32_e32 v153, 16, v166
	ds_bpermute_b32 v166, v126, v131 offset:88
	s_waitcnt vmcnt(0) lgkmcnt(0)
	v_dual_sub_f32 v153, v153, v166 :: v_dual_lshlrev_b32 v166, 16, v152
	s_delay_alu instid0(VALU_DEP_1)
	v_mul_f32_e32 v152, v153, v166
	ds_bpermute_b32 v153, v126, v125 offset:88
	s_waitcnt lgkmcnt(0)
	v_fmac_f32_e32 v145, v152, v153
	v_add_co_u32 v152, vcc_lo, v91, v127
	v_add_co_ci_u32_e32 v153, vcc_lo, v92, v128, vcc_lo
	global_load_u16 v167, v[152:153], off
	v_add_co_u32 v152, vcc_lo, v89, v127
	v_add_co_ci_u32_e32 v153, vcc_lo, v90, v128, vcc_lo
	global_load_u16 v152, v[152:153], off
	s_waitcnt vmcnt(1)
	v_lshlrev_b32_e32 v153, 16, v167
	ds_bpermute_b32 v167, v126, v131 offset:92
	s_waitcnt lgkmcnt(0)
	v_sub_f32_e32 v153, v153, v167
	s_waitcnt vmcnt(0)
	v_lshlrev_b32_e32 v167, 16, v152
	s_delay_alu instid0(VALU_DEP_1)
	v_mul_f32_e32 v152, v153, v167
	ds_bpermute_b32 v153, v126, v125 offset:92
	s_waitcnt lgkmcnt(0)
	v_fmac_f32_e32 v145, v152, v153
	v_add_co_u32 v152, vcc_lo, v95, v127
	v_add_co_ci_u32_e32 v153, vcc_lo, v96, v128, vcc_lo
	global_load_u16 v168, v[152:153], off
	v_add_co_u32 v152, vcc_lo, v93, v127
	v_add_co_ci_u32_e32 v153, vcc_lo, v94, v128, vcc_lo
	global_load_u16 v152, v[152:153], off
	s_waitcnt vmcnt(1)
	v_lshlrev_b32_e32 v153, 16, v168
	ds_bpermute_b32 v168, v126, v131 offset:96
	s_waitcnt lgkmcnt(0)
	v_sub_f32_e32 v153, v153, v168
	s_waitcnt vmcnt(0)
	v_lshlrev_b32_e32 v168, 16, v152
	;; [unrolled: 18-line block ×3, first 2 shown]
	s_delay_alu instid0(VALU_DEP_1)
	v_mul_f32_e32 v152, v153, v169
	ds_bpermute_b32 v153, v126, v125 offset:100
	s_waitcnt lgkmcnt(0)
	v_fmac_f32_e32 v145, v152, v153
	v_add_co_u32 v152, vcc_lo, v103, v127
	v_add_co_ci_u32_e32 v153, vcc_lo, v104, v128, vcc_lo
	global_load_u16 v170, v[152:153], off
	v_add_co_u32 v152, vcc_lo, v101, v127
	v_add_co_ci_u32_e32 v153, vcc_lo, v102, v128, vcc_lo
	global_load_u16 v152, v[152:153], off
	s_waitcnt vmcnt(1)
	v_lshlrev_b32_e32 v153, 16, v170
	ds_bpermute_b32 v170, v126, v131 offset:104
	s_waitcnt vmcnt(0) lgkmcnt(0)
	v_dual_sub_f32 v153, v153, v170 :: v_dual_lshlrev_b32 v170, 16, v152
	s_delay_alu instid0(VALU_DEP_1)
	v_mul_f32_e32 v152, v153, v170
	ds_bpermute_b32 v153, v126, v125 offset:104
	s_waitcnt lgkmcnt(0)
	v_fmac_f32_e32 v145, v152, v153
	v_add_co_u32 v152, vcc_lo, v107, v127
	v_add_co_ci_u32_e32 v153, vcc_lo, v108, v128, vcc_lo
	global_load_u16 v171, v[152:153], off
	v_add_co_u32 v152, vcc_lo, v105, v127
	v_add_co_ci_u32_e32 v153, vcc_lo, v106, v128, vcc_lo
	global_load_u16 v152, v[152:153], off
	s_waitcnt vmcnt(1)
	v_lshlrev_b32_e32 v153, 16, v171
	ds_bpermute_b32 v171, v126, v131 offset:108
	s_waitcnt lgkmcnt(0)
	v_sub_f32_e32 v153, v153, v171
	s_waitcnt vmcnt(0)
	v_lshlrev_b32_e32 v171, 16, v152
	s_delay_alu instid0(VALU_DEP_1)
	v_mul_f32_e32 v152, v153, v171
	ds_bpermute_b32 v153, v126, v125 offset:108
	s_waitcnt lgkmcnt(0)
	v_fmac_f32_e32 v145, v152, v153
	v_add_co_u32 v152, vcc_lo, v111, v127
	v_add_co_ci_u32_e32 v153, vcc_lo, v112, v128, vcc_lo
	global_load_u16 v172, v[152:153], off
	v_add_co_u32 v152, vcc_lo, v109, v127
	v_add_co_ci_u32_e32 v153, vcc_lo, v110, v128, vcc_lo
	global_load_u16 v152, v[152:153], off
	s_waitcnt vmcnt(1)
	v_lshlrev_b32_e32 v153, 16, v172
	ds_bpermute_b32 v172, v126, v131 offset:112
	s_waitcnt lgkmcnt(0)
	v_sub_f32_e32 v153, v153, v172
	s_waitcnt vmcnt(0)
	v_lshlrev_b32_e32 v172, 16, v152
	;; [unrolled: 18-line block ×3, first 2 shown]
	s_delay_alu instid0(VALU_DEP_1)
	v_mul_f32_e32 v152, v153, v173
	ds_bpermute_b32 v153, v126, v125 offset:116
	s_waitcnt lgkmcnt(0)
	v_fmac_f32_e32 v145, v152, v153
	v_add_co_u32 v152, vcc_lo, v119, v127
	v_add_co_ci_u32_e32 v153, vcc_lo, v120, v128, vcc_lo
	global_load_u16 v174, v[152:153], off
	v_add_co_u32 v152, vcc_lo, v117, v127
	v_add_co_ci_u32_e32 v153, vcc_lo, v118, v128, vcc_lo
	global_load_u16 v152, v[152:153], off
	s_waitcnt vmcnt(1)
	v_lshlrev_b32_e32 v153, 16, v174
	ds_bpermute_b32 v174, v126, v131 offset:120
	ds_bpermute_b32 v131, v126, v131 offset:124
	s_waitcnt vmcnt(0) lgkmcnt(1)
	v_dual_sub_f32 v153, v153, v174 :: v_dual_lshlrev_b32 v174, 16, v152
	s_delay_alu instid0(VALU_DEP_1)
	v_mul_f32_e32 v152, v153, v174
	ds_bpermute_b32 v153, v126, v125 offset:120
	ds_bpermute_b32 v125, v126, v125 offset:124
	s_waitcnt lgkmcnt(1)
	v_fmac_f32_e32 v145, v152, v153
	v_add_co_u32 v152, vcc_lo, v123, v127
	v_add_co_ci_u32_e32 v153, vcc_lo, v124, v128, vcc_lo
	global_load_u16 v175, v[152:153], off
	v_add_co_u32 v152, vcc_lo, v121, v127
	v_add_co_ci_u32_e32 v153, vcc_lo, v122, v128, vcc_lo
	global_load_u16 v152, v[152:153], off
	s_waitcnt vmcnt(1)
	v_lshlrev_b32_e32 v153, 16, v175
	s_waitcnt vmcnt(0)
	s_delay_alu instid0(VALU_DEP_1) | instskip(NEXT) | instid1(VALU_DEP_1)
	v_dual_sub_f32 v131, v153, v131 :: v_dual_lshlrev_b32 v152, 16, v152
	v_mul_f32_e32 v131, v131, v152
	s_waitcnt lgkmcnt(0)
	s_delay_alu instid0(VALU_DEP_1) | instskip(SKIP_3) | instid1(VALU_DEP_1)
	v_fmac_f32_e32 v145, v131, v125
	scratch_load_b32 v125, off, off offset:208 ; 4-byte Folded Reload
	s_waitcnt vmcnt(0)
	v_add_f32_e32 v125, v125, v129
	v_add_f32_e32 v125, v125, v130
	s_delay_alu instid0(VALU_DEP_1) | instskip(NEXT) | instid1(VALU_DEP_1)
	v_add_f32_e32 v125, v125, v132
	v_add_f32_e32 v125, v125, v144
	v_mov_b32_e32 v144, v145
	s_delay_alu instid0(VALU_DEP_2) | instskip(NEXT) | instid1(VALU_DEP_1)
	v_add_f32_e32 v125, v125, v146
	v_add_f32_e32 v125, v125, v147
	s_delay_alu instid0(VALU_DEP_1) | instskip(NEXT) | instid1(VALU_DEP_1)
	v_add_f32_e32 v125, v125, v148
	v_add_f32_e32 v125, v125, v149
	s_delay_alu instid0(VALU_DEP_1) | instskip(NEXT) | instid1(VALU_DEP_1)
	;; [unrolled: 3-line block ×13, first 2 shown]
	v_add_f32_e32 v125, v125, v174
	v_add_f32_e32 v125, v125, v152
.LBB97_217:                             ;   in Loop: Header=BB97_145 Depth=1
	scratch_load_b32 v129, off, off         ; 4-byte Folded Reload
	v_add_co_u32 v1, vcc_lo, v1, s12
	v_add_co_ci_u32_e32 v2, vcc_lo, s13, v2, vcc_lo
	v_add_co_u32 v3, vcc_lo, v3, s12
	v_add_co_ci_u32_e32 v4, vcc_lo, s13, v4, vcc_lo
	;; [unrolled: 2-line block ×64, first 2 shown]
	s_add_u32 s22, s22, s3
	s_addc_u32 s23, s23, 0
	s_add_u32 s20, s20, s3
	v_cmp_ge_i64_e64 s7, s[22:23], s[16:17]
	s_addc_u32 s21, s21, 0
	s_waitcnt vmcnt(0)
	v_add_co_u32 v129, vcc_lo, v129, s3
	v_add_co_ci_u32_e32 v143, vcc_lo, 0, v143, vcc_lo
	scratch_store_b32 off, v129, off        ; 4-byte Folded Spill
	scratch_load_b32 v129, off, off offset:4 ; 4-byte Folded Reload
	s_waitcnt vmcnt(0)
	v_add_co_u32 v129, vcc_lo, v129, s12
	scratch_store_b32 off, v129, off offset:4 ; 4-byte Folded Spill
	scratch_load_b32 v129, off, off offset:8 ; 4-byte Folded Reload
	s_waitcnt vmcnt(0)
	v_add_co_ci_u32_e32 v129, vcc_lo, s13, v129, vcc_lo
	scratch_store_b32 off, v129, off offset:8 ; 4-byte Folded Spill
	scratch_load_b32 v129, off, off offset:12 ; 4-byte Folded Reload
	s_waitcnt vmcnt(0)
	v_add_co_u32 v129, vcc_lo, v129, s12
	scratch_store_b32 off, v129, off offset:12 ; 4-byte Folded Spill
	scratch_load_b32 v129, off, off offset:16 ; 4-byte Folded Reload
	s_waitcnt vmcnt(0)
	v_add_co_ci_u32_e32 v129, vcc_lo, s13, v129, vcc_lo
	scratch_store_b32 off, v129, off offset:16 ; 4-byte Folded Spill
	;; [unrolled: 8-line block ×25, first 2 shown]
	scratch_load_b32 v129, off, off offset:204 ; 4-byte Folded Reload
	s_waitcnt vmcnt(0)
	v_add_co_u32 v129, vcc_lo, v129, s12
	v_add_co_ci_u32_e32 v190, vcc_lo, s13, v190, vcc_lo
	v_add_co_u32 v191, vcc_lo, v191, s12
	v_add_co_ci_u32_e32 v192, vcc_lo, s13, v192, vcc_lo
	;; [unrolled: 2-line block ×37, first 2 shown]
	s_and_b32 vcc_lo, exec_lo, s7
	scratch_store_b32 off, v129, off offset:204 ; 4-byte Folded Spill
	s_cbranch_vccnz .LBB97_219
; %bb.218:                              ;   in Loop: Header=BB97_145 Depth=1
	v_mov_b32_e32 v131, v125
	v_mov_b32_e32 v145, v144
	s_branch .LBB97_145
.LBB97_219:
	scratch_load_b32 v227, off, off offset:304 ; 4-byte Folded Reload
.LBB97_220:
	s_mov_b32 s15, 0
	s_mov_b32 s3, exec_lo
	s_lshl_b64 s[4:5], s[14:15], 6
	s_waitcnt vmcnt(0)
	v_dual_mov_b32 v5, s5 :: v_dual_and_b32 v0, 0x3ff, v227
	s_delay_alu instid0(VALU_DEP_1) | instskip(NEXT) | instid1(VALU_DEP_1)
	v_or_b32_e32 v4, s4, v0
	v_cmpx_gt_i64_e64 s[18:19], v[4:5]
	s_cbranch_execz .LBB97_225
; %bb.221:
	s_clause 0x1
	s_load_b32 s3, s[0:1], 0x4c
	s_load_b128 s[4:7], s[0:1], 0x30
	v_bfe_u32 v0, v227, 10, 10
	v_mov_b32_e32 v1, 0
	s_waitcnt lgkmcnt(0)
	s_lshr_b32 s0, s3, 16
	s_cmp_eq_u64 s[4:5], 0
	s_delay_alu instid0(VALU_DEP_1) | instskip(SKIP_1) | instid1(VALU_DEP_2)
	v_mad_u64_u32 v[2:3], null, s0, s2, v[0:1]
	v_lshlrev_b64 v[0:1], 1, v[4:5]
	v_mul_lo_u32 v3, v3, s18
	s_delay_alu instid0(VALU_DEP_3)
	v_mul_lo_u32 v6, v2, s19
	s_cbranch_scc1 .LBB97_223
; %bb.222:
	v_mad_u64_u32 v[4:5], null, v2, s18, 0
	v_bfe_u32 v7, v144, 16, 1
	s_delay_alu instid0(VALU_DEP_1) | instskip(NEXT) | instid1(VALU_DEP_3)
	v_add3_u32 v7, v144, v7, 0x7fff
	v_add3_u32 v5, v5, v6, v3
	s_delay_alu instid0(VALU_DEP_2) | instskip(NEXT) | instid1(VALU_DEP_2)
	v_lshrrev_b32_e32 v7, 16, v7
	v_lshlrev_b64 v[4:5], 1, v[4:5]
	s_delay_alu instid0(VALU_DEP_1) | instskip(NEXT) | instid1(VALU_DEP_2)
	v_add_co_u32 v4, vcc_lo, s4, v4
	v_add_co_ci_u32_e32 v5, vcc_lo, s5, v5, vcc_lo
	v_cmp_o_f32_e32 vcc_lo, v144, v144
	v_cndmask_b32_e32 v7, 0x7fc0, v7, vcc_lo
	s_delay_alu instid0(VALU_DEP_4) | instskip(NEXT) | instid1(VALU_DEP_4)
	v_add_co_u32 v4, vcc_lo, v4, v0
	v_add_co_ci_u32_e32 v5, vcc_lo, v5, v1, vcc_lo
	global_store_b16 v[4:5], v7, off
.LBB97_223:
	s_cmp_eq_u64 s[6:7], 0
	s_cbranch_scc1 .LBB97_225
; %bb.224:
	v_mad_u64_u32 v[4:5], null, v2, s18, 0
	v_bfe_u32 v2, v125, 16, 1
	s_delay_alu instid0(VALU_DEP_2) | instskip(NEXT) | instid1(VALU_DEP_2)
	v_add3_u32 v5, v5, v6, v3
	v_add3_u32 v6, v125, v2, 0x7fff
	s_delay_alu instid0(VALU_DEP_2) | instskip(NEXT) | instid1(VALU_DEP_2)
	v_lshlrev_b64 v[2:3], 1, v[4:5]
	v_lshrrev_b32_e32 v4, 16, v6
	s_delay_alu instid0(VALU_DEP_2) | instskip(NEXT) | instid1(VALU_DEP_3)
	v_add_co_u32 v2, vcc_lo, s6, v2
	v_add_co_ci_u32_e32 v3, vcc_lo, s7, v3, vcc_lo
	v_cmp_o_f32_e32 vcc_lo, v125, v125
	s_delay_alu instid0(VALU_DEP_4) | instskip(NEXT) | instid1(VALU_DEP_4)
	v_cndmask_b32_e32 v4, 0x7fc0, v4, vcc_lo
	v_add_co_u32 v0, vcc_lo, v2, v0
	s_delay_alu instid0(VALU_DEP_4)
	v_add_co_ci_u32_e32 v1, vcc_lo, v3, v1, vcc_lo
	global_store_b16 v[0:1], v4, off
.LBB97_225:
	s_endpgm
	.section	.rodata,"a",@progbits
	.p2align	6, 0x0
	.amdhsa_kernel _ZN2at6native12_GLOBAL__N_135GammaBetaBackwardCUDAKernelTemplateIN3c108BFloat16EfLj64ELj1ELj32ELb1ELb0ELb0EEEvllPKT_S7_PKT0_SA_PS5_SB_
		.amdhsa_group_segment_fixed_size 0
		.amdhsa_private_segment_fixed_size 312
		.amdhsa_kernarg_size 320
		.amdhsa_user_sgpr_count 14
		.amdhsa_user_sgpr_dispatch_ptr 0
		.amdhsa_user_sgpr_queue_ptr 0
		.amdhsa_user_sgpr_kernarg_segment_ptr 1
		.amdhsa_user_sgpr_dispatch_id 0
		.amdhsa_user_sgpr_private_segment_size 0
		.amdhsa_wavefront_size32 1
		.amdhsa_uses_dynamic_stack 0
		.amdhsa_enable_private_segment 1
		.amdhsa_system_sgpr_workgroup_id_x 1
		.amdhsa_system_sgpr_workgroup_id_y 1
		.amdhsa_system_sgpr_workgroup_id_z 0
		.amdhsa_system_sgpr_workgroup_info 0
		.amdhsa_system_vgpr_workitem_id 1
		.amdhsa_next_free_vgpr 256
		.amdhsa_next_free_sgpr 36
		.amdhsa_reserve_vcc 1
		.amdhsa_float_round_mode_32 0
		.amdhsa_float_round_mode_16_64 0
		.amdhsa_float_denorm_mode_32 3
		.amdhsa_float_denorm_mode_16_64 3
		.amdhsa_dx10_clamp 1
		.amdhsa_ieee_mode 1
		.amdhsa_fp16_overflow 0
		.amdhsa_workgroup_processor_mode 1
		.amdhsa_memory_ordered 1
		.amdhsa_forward_progress 0
		.amdhsa_shared_vgpr_count 0
		.amdhsa_exception_fp_ieee_invalid_op 0
		.amdhsa_exception_fp_denorm_src 0
		.amdhsa_exception_fp_ieee_div_zero 0
		.amdhsa_exception_fp_ieee_overflow 0
		.amdhsa_exception_fp_ieee_underflow 0
		.amdhsa_exception_fp_ieee_inexact 0
		.amdhsa_exception_int_div_zero 0
	.end_amdhsa_kernel
	.section	.text._ZN2at6native12_GLOBAL__N_135GammaBetaBackwardCUDAKernelTemplateIN3c108BFloat16EfLj64ELj1ELj32ELb1ELb0ELb0EEEvllPKT_S7_PKT0_SA_PS5_SB_,"axG",@progbits,_ZN2at6native12_GLOBAL__N_135GammaBetaBackwardCUDAKernelTemplateIN3c108BFloat16EfLj64ELj1ELj32ELb1ELb0ELb0EEEvllPKT_S7_PKT0_SA_PS5_SB_,comdat
.Lfunc_end97:
	.size	_ZN2at6native12_GLOBAL__N_135GammaBetaBackwardCUDAKernelTemplateIN3c108BFloat16EfLj64ELj1ELj32ELb1ELb0ELb0EEEvllPKT_S7_PKT0_SA_PS5_SB_, .Lfunc_end97-_ZN2at6native12_GLOBAL__N_135GammaBetaBackwardCUDAKernelTemplateIN3c108BFloat16EfLj64ELj1ELj32ELb1ELb0ELb0EEEvllPKT_S7_PKT0_SA_PS5_SB_
                                        ; -- End function
	.section	.AMDGPU.csdata,"",@progbits
; Kernel info:
; codeLenInByte = 29460
; NumSgprs: 38
; NumVgprs: 256
; ScratchSize: 312
; MemoryBound: 0
; FloatMode: 240
; IeeeMode: 1
; LDSByteSize: 0 bytes/workgroup (compile time only)
; SGPRBlocks: 4
; VGPRBlocks: 31
; NumSGPRsForWavesPerEU: 38
; NumVGPRsForWavesPerEU: 256
; Occupancy: 5
; WaveLimiterHint : 0
; COMPUTE_PGM_RSRC2:SCRATCH_EN: 1
; COMPUTE_PGM_RSRC2:USER_SGPR: 14
; COMPUTE_PGM_RSRC2:TRAP_HANDLER: 0
; COMPUTE_PGM_RSRC2:TGID_X_EN: 1
; COMPUTE_PGM_RSRC2:TGID_Y_EN: 1
; COMPUTE_PGM_RSRC2:TGID_Z_EN: 0
; COMPUTE_PGM_RSRC2:TIDIG_COMP_CNT: 1
	.section	.text._ZN2at6native12_GLOBAL__N_135GammaBetaBackwardCUDAKernelTemplateIN3c108BFloat16EfLj64ELj1ELj8ELb1ELb1ELb0EEEvllPKT_S7_PKT0_SA_PS5_SB_,"axG",@progbits,_ZN2at6native12_GLOBAL__N_135GammaBetaBackwardCUDAKernelTemplateIN3c108BFloat16EfLj64ELj1ELj8ELb1ELb1ELb0EEEvllPKT_S7_PKT0_SA_PS5_SB_,comdat
	.globl	_ZN2at6native12_GLOBAL__N_135GammaBetaBackwardCUDAKernelTemplateIN3c108BFloat16EfLj64ELj1ELj8ELb1ELb1ELb0EEEvllPKT_S7_PKT0_SA_PS5_SB_ ; -- Begin function _ZN2at6native12_GLOBAL__N_135GammaBetaBackwardCUDAKernelTemplateIN3c108BFloat16EfLj64ELj1ELj8ELb1ELb1ELb0EEEvllPKT_S7_PKT0_SA_PS5_SB_
	.p2align	8
	.type	_ZN2at6native12_GLOBAL__N_135GammaBetaBackwardCUDAKernelTemplateIN3c108BFloat16EfLj64ELj1ELj8ELb1ELb1ELb0EEEvllPKT_S7_PKT0_SA_PS5_SB_,@function
_ZN2at6native12_GLOBAL__N_135GammaBetaBackwardCUDAKernelTemplateIN3c108BFloat16EfLj64ELj1ELj8ELb1ELb1ELb0EEEvllPKT_S7_PKT0_SA_PS5_SB_: ; @_ZN2at6native12_GLOBAL__N_135GammaBetaBackwardCUDAKernelTemplateIN3c108BFloat16EfLj64ELj1ELj8ELb1ELb1ELb0EEEvllPKT_S7_PKT0_SA_PS5_SB_
; %bb.0:
	s_load_b128 s[16:19], s[0:1], 0x0
	s_mov_b32 s13, 0
	s_lshl_b32 s12, s15, 3
	v_bfe_u32 v6, v0, 10, 10
	s_mov_b32 s2, s15
	s_waitcnt lgkmcnt(0)
	v_cmp_lt_i64_e64 s3, s[12:13], s[16:17]
	s_delay_alu instid0(VALU_DEP_1)
	s_and_b32 vcc_lo, exec_lo, s3
	s_cbranch_vccnz .LBB98_2
; %bb.1:
	v_bfe_u32 v1, v0, 10, 10
	s_add_u32 s24, s0, 64
	s_addc_u32 s25, s1, 0
	s_mov_b32 s4, 0
	s_mov_b32 s3, s13
	s_branch .LBB98_3
.LBB98_2:
	s_mov_b32 s3, -1
                                        ; implicit-def: $sgpr4
                                        ; implicit-def: $sgpr24_sgpr25
                                        ; implicit-def: $vgpr1
.LBB98_3:
	s_load_b128 s[20:23], s[0:1], 0x30
	v_mov_b32_e32 v9, s4
	v_and_b32_e32 v7, 0x3ff, v0
	v_mov_b32_e32 v11, s4
	s_and_not1_b32 vcc_lo, exec_lo, s3
	s_cbranch_vccnz .LBB98_11
; %bb.4:
	s_clause 0x2
	s_load_b32 s3, s[0:1], 0x4c
	s_load_b32 s15, s[0:1], 0x44
	s_load_b256 s[4:11], s[0:1], 0x10
	v_dual_mov_b32 v1, 0 :: v_dual_lshlrev_b32 v0, 3, v6
	s_add_u32 s24, s0, 64
	s_addc_u32 s25, s1, 0
	v_dual_mov_b32 v8, 8 :: v_dual_mov_b32 v13, 16
	s_delay_alu instid0(VALU_DEP_2) | instskip(NEXT) | instid1(VALU_DEP_1)
	v_add_co_u32 v2, s0, v0, s12
	v_add_co_ci_u32_e64 v3, null, 0, 0, s0
	v_lshl_add_u32 v0, s14, 6, v7
	s_delay_alu instid0(VALU_DEP_3) | instskip(SKIP_1) | instid1(VALU_DEP_4)
	v_mul_lo_u32 v9, s19, v2
	v_mad_u64_u32 v[4:5], null, s18, v2, 0
	v_mul_lo_u32 v11, s18, v3
	s_delay_alu instid0(VALU_DEP_4)
	v_lshlrev_b64 v[17:18], 1, v[0:1]
	v_dual_mov_b32 v10, 4 :: v_dual_mov_b32 v15, 24
	s_waitcnt lgkmcnt(0)
	s_and_b32 s0, s3, 0xffff
	s_lshl_b32 s26, s15, 3
	v_mad_u32_u24 v16, v6, s0, v7
	v_mov_b32_e32 v12, 12
	v_add3_u32 v5, v5, v11, v9
	s_mul_i32 s1, s19, s26
	s_mul_hi_u32 s3, s18, s26
	v_dual_mov_b32 v14, 20 :: v_dual_and_b32 v21, 31, v16
	v_mov_b32_e32 v11, 0
	v_lshlrev_b64 v[19:20], 1, v[4:5]
	v_dual_mov_b32 v16, 28 :: v_dual_mov_b32 v9, 0
	s_delay_alu instid0(VALU_DEP_4) | instskip(SKIP_1) | instid1(VALU_DEP_4)
	v_add_co_u32 v2, vcc_lo, v2, v21
	v_add_co_ci_u32_e32 v3, vcc_lo, 0, v3, vcc_lo
	v_add_co_u32 v0, vcc_lo, v19, v17
	v_cmp_gt_u32_e64 s0, 8, v21
	s_delay_alu instid0(VALU_DEP_3)
	v_lshlrev_b64 v[4:5], 2, v[2:3]
	v_add_co_ci_u32_e32 v17, vcc_lo, v20, v18, vcc_lo
	s_mov_b32 s27, 0
	s_add_i32 s31, s3, s1
	s_mul_i32 s30, s18, s26
	s_lshl_b64 s[28:29], s[26:27], 2
	s_lshl_b64 s[30:31], s[30:31], 1
	;; [unrolled: 1-line block ×3, first 2 shown]
	s_branch .LBB98_7
.LBB98_5:                               ;   in Loop: Header=BB98_7 Depth=1
	s_or_b32 exec_lo, exec_lo, s3
.LBB98_6:                               ;   in Loop: Header=BB98_7 Depth=1
	s_delay_alu instid0(SALU_CYCLE_1) | instskip(SKIP_4) | instid1(VALU_DEP_4)
	s_or_b32 exec_lo, exec_lo, s1
	v_add_co_u32 v20, vcc_lo, s4, v0
	v_add_co_ci_u32_e32 v21, vcc_lo, s5, v17, vcc_lo
	v_add_co_u32 v22, vcc_lo, s6, v0
	v_add_co_ci_u32_e32 v23, vcc_lo, s7, v17, vcc_lo
	v_add_co_u32 v24, vcc_lo, v20, s34
	s_delay_alu instid0(VALU_DEP_4) | instskip(NEXT) | instid1(VALU_DEP_4)
	v_add_co_ci_u32_e32 v25, vcc_lo, s35, v21, vcc_lo
	v_add_co_u32 v26, vcc_lo, v22, s34
	s_delay_alu instid0(VALU_DEP_4) | instskip(NEXT) | instid1(VALU_DEP_4)
	v_add_co_ci_u32_e32 v27, vcc_lo, s35, v23, vcc_lo
	v_add_co_u32 v28, vcc_lo, v24, s34
	s_delay_alu instid0(VALU_DEP_4)
	v_add_co_ci_u32_e32 v29, vcc_lo, s35, v25, vcc_lo
	global_load_u16 v30, v[20:21], off
	global_load_u16 v31, v[22:23], off
	;; [unrolled: 1-line block ×5, first 2 shown]
	v_add_co_u32 v20, vcc_lo, v26, s34
	v_add_co_ci_u32_e32 v21, vcc_lo, s35, v27, vcc_lo
	v_add_co_u32 v22, vcc_lo, v28, s34
	v_add_co_ci_u32_e32 v23, vcc_lo, s35, v29, vcc_lo
	s_delay_alu instid0(VALU_DEP_4) | instskip(NEXT) | instid1(VALU_DEP_4)
	v_add_co_u32 v24, vcc_lo, v20, s34
	v_add_co_ci_u32_e32 v25, vcc_lo, s35, v21, vcc_lo
	s_delay_alu instid0(VALU_DEP_4) | instskip(NEXT) | instid1(VALU_DEP_4)
	;; [unrolled: 3-line block ×3, first 2 shown]
	v_add_co_u32 v28, vcc_lo, v24, s34
	v_add_co_ci_u32_e32 v29, vcc_lo, s35, v25, vcc_lo
	global_load_u16 v35, v[20:21], off
	global_load_u16 v36, v[22:23], off
	;; [unrolled: 1-line block ×5, first 2 shown]
	v_add_co_u32 v20, vcc_lo, v26, s34
	v_add_co_ci_u32_e32 v21, vcc_lo, s35, v27, vcc_lo
	v_add_co_u32 v22, vcc_lo, v28, s34
	v_add_co_ci_u32_e32 v23, vcc_lo, s35, v29, vcc_lo
	s_delay_alu instid0(VALU_DEP_4) | instskip(NEXT) | instid1(VALU_DEP_4)
	v_add_co_u32 v24, vcc_lo, v20, s34
	v_add_co_ci_u32_e32 v25, vcc_lo, s35, v21, vcc_lo
	s_delay_alu instid0(VALU_DEP_4) | instskip(NEXT) | instid1(VALU_DEP_4)
	v_add_co_u32 v26, vcc_lo, v22, s34
	v_add_co_ci_u32_e32 v27, vcc_lo, s35, v23, vcc_lo
	global_load_u16 v28, v[20:21], off
	global_load_u16 v29, v[22:23], off
	;; [unrolled: 1-line block ×4, first 2 shown]
	v_add_co_u32 v20, vcc_lo, v26, s34
	v_add_co_ci_u32_e32 v21, vcc_lo, s35, v27, vcc_lo
	v_add_co_u32 v22, vcc_lo, v24, s34
	v_add_co_ci_u32_e32 v23, vcc_lo, s35, v25, vcc_lo
	global_load_u16 v20, v[20:21], off
	global_load_u16 v21, v[22:23], off
	s_waitcnt vmcnt(17)
	ds_bpermute_b32 v25, v10, v18
	ds_bpermute_b32 v22, v1, v18
	s_waitcnt vmcnt(16)
	ds_bpermute_b32 v23, v1, v19
	ds_bpermute_b32 v24, v10, v19
	;; [unrolled: 1-line block ×14, first 2 shown]
	v_add_co_u32 v4, vcc_lo, v4, s28
	s_add_u32 s12, s12, s26
	v_add_co_ci_u32_e32 v5, vcc_lo, s29, v5, vcc_lo
	s_addc_u32 s13, s13, 0
	v_add_co_u32 v2, vcc_lo, v2, s26
	v_add_co_ci_u32_e32 v3, vcc_lo, 0, v3, vcc_lo
	v_cmp_lt_i64_e64 s1, s[12:13], s[16:17]
	v_add_co_u32 v0, vcc_lo, v0, s30
	v_add_co_ci_u32_e32 v17, vcc_lo, s31, v17, vcc_lo
	s_delay_alu instid0(VALU_DEP_3) | instskip(SKIP_3) | instid1(VALU_DEP_1)
	s_and_b32 vcc_lo, exec_lo, s1
	s_waitcnt vmcnt(12)
	v_lshlrev_b32_e32 v33, 16, v33
	s_waitcnt lgkmcnt(15)
	v_dual_sub_f32 v25, v33, v25 :: v_dual_lshlrev_b32 v30, 16, v30
	v_lshlrev_b32_e32 v31, 16, v31
	s_delay_alu instid0(VALU_DEP_2) | instskip(SKIP_1) | instid1(VALU_DEP_2)
	v_add_f32_e32 v11, v11, v30
	s_waitcnt lgkmcnt(14)
	v_sub_f32_e32 v22, v31, v22
	s_delay_alu instid0(VALU_DEP_1) | instskip(SKIP_1) | instid1(VALU_DEP_1)
	v_mul_f32_e32 v22, v22, v30
	s_waitcnt vmcnt(11) lgkmcnt(13)
	v_dual_fmac_f32 v9, v22, v23 :: v_dual_lshlrev_b32 v30, 16, v34
	v_lshlrev_b32_e32 v31, 16, v32
	s_delay_alu instid0(VALU_DEP_1) | instskip(SKIP_1) | instid1(VALU_DEP_1)
	v_mul_f32_e32 v22, v25, v31
	s_waitcnt vmcnt(10) lgkmcnt(12)
	v_dual_fmac_f32 v9, v22, v24 :: v_dual_lshlrev_b32 v32, 16, v35
	s_waitcnt lgkmcnt(11)
	s_delay_alu instid0(VALU_DEP_1) | instskip(SKIP_3) | instid1(VALU_DEP_2)
	v_sub_f32_e32 v23, v32, v27
	s_waitcnt vmcnt(9)
	v_lshlrev_b32_e32 v27, 16, v36
	s_waitcnt vmcnt(8)
	v_dual_mul_f32 v22, v23, v30 :: v_dual_lshlrev_b32 v25, 16, v37
	v_add_f32_e32 v11, v11, v31
	s_waitcnt lgkmcnt(9)
	s_delay_alu instid0(VALU_DEP_2) | instskip(SKIP_3) | instid1(VALU_DEP_3)
	v_sub_f32_e32 v23, v25, v43
	s_waitcnt vmcnt(5)
	v_dual_fmac_f32 v9, v22, v26 :: v_dual_lshlrev_b32 v26, 16, v28
	v_dual_add_f32 v11, v11, v30 :: v_dual_lshlrev_b32 v24, 16, v39
	v_mul_f32_e32 v22, v23, v27
	s_waitcnt vmcnt(1) lgkmcnt(8)
	s_delay_alu instid0(VALU_DEP_2)
	v_dual_sub_f32 v23, v24, v45 :: v_dual_lshlrev_b32 v20, 16, v20
	v_lshlrev_b32_e32 v24, 16, v29
	s_waitcnt vmcnt(0)
	v_lshlrev_b32_e32 v21, 16, v21
	s_waitcnt lgkmcnt(4)
	v_fmac_f32_e32 v9, v22, v42
	v_sub_f32_e32 v18, v20, v18
	s_delay_alu instid0(VALU_DEP_1) | instskip(NEXT) | instid1(VALU_DEP_1)
	v_dual_mul_f32 v18, v18, v21 :: v_dual_lshlrev_b32 v25, 16, v38
	v_mul_f32_e32 v22, v23, v25
	v_add_f32_e32 v11, v11, v27
	v_dual_sub_f32 v23, v24, v47 :: v_dual_lshlrev_b32 v24, 16, v41
	s_waitcnt lgkmcnt(3)
	s_delay_alu instid0(VALU_DEP_3) | instskip(NEXT) | instid1(VALU_DEP_3)
	v_fmac_f32_e32 v9, v22, v44
	v_add_f32_e32 v11, v11, v25
	s_delay_alu instid0(VALU_DEP_3) | instskip(SKIP_1) | instid1(VALU_DEP_3)
	v_dual_mul_f32 v22, v23, v26 :: v_dual_lshlrev_b32 v25, 16, v40
	v_sub_f32_e32 v23, v24, v49
	v_add_f32_e32 v11, v11, v26
	s_waitcnt lgkmcnt(2)
	s_delay_alu instid0(VALU_DEP_2) | instskip(NEXT) | instid1(VALU_DEP_2)
	v_dual_fmac_f32 v9, v22, v46 :: v_dual_mul_f32 v22, v23, v25
	v_add_f32_e32 v11, v11, v25
	s_waitcnt lgkmcnt(1)
	s_delay_alu instid0(VALU_DEP_2) | instskip(NEXT) | instid1(VALU_DEP_2)
	v_fmac_f32_e32 v9, v22, v48
	v_add_f32_e32 v11, v11, v21
	s_waitcnt lgkmcnt(0)
	s_delay_alu instid0(VALU_DEP_2)
	v_fmac_f32_e32 v9, v18, v19
	s_cbranch_vccz .LBB98_10
.LBB98_7:                               ; =>This Inner Loop Header: Depth=1
	v_dual_mov_b32 v19, 0 :: v_dual_mov_b32 v18, 0
	s_and_saveexec_b32 s1, s0
	s_cbranch_execz .LBB98_6
; %bb.8:                                ;   in Loop: Header=BB98_7 Depth=1
	v_dual_mov_b32 v18, 0 :: v_dual_mov_b32 v19, 0
	s_mov_b32 s3, exec_lo
	v_cmpx_gt_i64_e64 s[16:17], v[2:3]
	s_cbranch_execz .LBB98_5
; %bb.9:                                ;   in Loop: Header=BB98_7 Depth=1
	v_add_co_u32 v18, vcc_lo, s8, v4
	v_add_co_ci_u32_e32 v19, vcc_lo, s9, v5, vcc_lo
	v_add_co_u32 v20, vcc_lo, s10, v4
	v_add_co_ci_u32_e32 v21, vcc_lo, s11, v5, vcc_lo
	global_load_b32 v18, v[18:19], off
	global_load_b32 v19, v[20:21], off
	s_branch .LBB98_5
.LBB98_10:
	v_mov_b32_e32 v1, v6
.LBB98_11:
	s_load_b32 s0, s[24:25], 0xc
	v_mov_b32_e32 v2, 0
	s_mov_b32 s15, 0
	s_waitcnt lgkmcnt(0)
	s_lshr_b32 s0, s0, 16
	s_delay_alu instid0(VALU_DEP_1) | instid1(SALU_CYCLE_1)
	v_mad_u64_u32 v[3:4], null, s0, s2, v[1:2]
	s_lshl_b64 s[0:1], s[14:15], 6
	s_cmp_eq_u64 s[20:21], 0
	v_add_co_u32 v0, s0, s0, v7
	s_delay_alu instid0(VALU_DEP_1) | instskip(NEXT) | instid1(VALU_DEP_3)
	v_add_co_ci_u32_e64 v1, null, s1, 0, s0
	v_mul_lo_u32 v2, v4, s18
	s_delay_alu instid0(VALU_DEP_4) | instskip(NEXT) | instid1(VALU_DEP_3)
	v_mul_lo_u32 v4, v3, s19
	v_lshlrev_b64 v[0:1], 1, v[0:1]
	s_cbranch_scc1 .LBB98_13
; %bb.12:
	v_mad_u64_u32 v[5:6], null, v3, s18, 0
	v_bfe_u32 v7, v9, 16, 1
	s_delay_alu instid0(VALU_DEP_1) | instskip(NEXT) | instid1(VALU_DEP_3)
	v_add3_u32 v7, v9, v7, 0x7fff
	v_add3_u32 v6, v6, v4, v2
	s_delay_alu instid0(VALU_DEP_2) | instskip(NEXT) | instid1(VALU_DEP_2)
	v_lshrrev_b32_e32 v7, 16, v7
	v_lshlrev_b64 v[5:6], 1, v[5:6]
	s_delay_alu instid0(VALU_DEP_1) | instskip(NEXT) | instid1(VALU_DEP_2)
	v_add_co_u32 v5, vcc_lo, s20, v5
	v_add_co_ci_u32_e32 v6, vcc_lo, s21, v6, vcc_lo
	v_cmp_o_f32_e32 vcc_lo, v9, v9
	v_cndmask_b32_e32 v7, 0x7fc0, v7, vcc_lo
	s_delay_alu instid0(VALU_DEP_4) | instskip(NEXT) | instid1(VALU_DEP_4)
	v_add_co_u32 v5, vcc_lo, v5, v0
	v_add_co_ci_u32_e32 v6, vcc_lo, v6, v1, vcc_lo
	global_store_b16 v[5:6], v7, off
.LBB98_13:
	s_cmp_eq_u64 s[22:23], 0
	s_cbranch_scc1 .LBB98_15
; %bb.14:
	v_mad_u64_u32 v[5:6], null, v3, s18, 0
	v_bfe_u32 v3, v11, 16, 1
	s_delay_alu instid0(VALU_DEP_2) | instskip(NEXT) | instid1(VALU_DEP_2)
	v_add3_u32 v6, v6, v4, v2
	v_add3_u32 v4, v11, v3, 0x7fff
	s_delay_alu instid0(VALU_DEP_2) | instskip(NEXT) | instid1(VALU_DEP_2)
	v_lshlrev_b64 v[2:3], 1, v[5:6]
	v_lshrrev_b32_e32 v4, 16, v4
	s_delay_alu instid0(VALU_DEP_2) | instskip(NEXT) | instid1(VALU_DEP_3)
	v_add_co_u32 v2, vcc_lo, s22, v2
	v_add_co_ci_u32_e32 v3, vcc_lo, s23, v3, vcc_lo
	v_cmp_o_f32_e32 vcc_lo, v11, v11
	s_delay_alu instid0(VALU_DEP_4) | instskip(NEXT) | instid1(VALU_DEP_4)
	v_cndmask_b32_e32 v4, 0x7fc0, v4, vcc_lo
	v_add_co_u32 v0, vcc_lo, v2, v0
	s_delay_alu instid0(VALU_DEP_4)
	v_add_co_ci_u32_e32 v1, vcc_lo, v3, v1, vcc_lo
	global_store_b16 v[0:1], v4, off
.LBB98_15:
	s_nop 0
	s_sendmsg sendmsg(MSG_DEALLOC_VGPRS)
	s_endpgm
	.section	.rodata,"a",@progbits
	.p2align	6, 0x0
	.amdhsa_kernel _ZN2at6native12_GLOBAL__N_135GammaBetaBackwardCUDAKernelTemplateIN3c108BFloat16EfLj64ELj1ELj8ELb1ELb1ELb0EEEvllPKT_S7_PKT0_SA_PS5_SB_
		.amdhsa_group_segment_fixed_size 0
		.amdhsa_private_segment_fixed_size 0
		.amdhsa_kernarg_size 320
		.amdhsa_user_sgpr_count 14
		.amdhsa_user_sgpr_dispatch_ptr 0
		.amdhsa_user_sgpr_queue_ptr 0
		.amdhsa_user_sgpr_kernarg_segment_ptr 1
		.amdhsa_user_sgpr_dispatch_id 0
		.amdhsa_user_sgpr_private_segment_size 0
		.amdhsa_wavefront_size32 1
		.amdhsa_uses_dynamic_stack 0
		.amdhsa_enable_private_segment 0
		.amdhsa_system_sgpr_workgroup_id_x 1
		.amdhsa_system_sgpr_workgroup_id_y 1
		.amdhsa_system_sgpr_workgroup_id_z 0
		.amdhsa_system_sgpr_workgroup_info 0
		.amdhsa_system_vgpr_workitem_id 1
		.amdhsa_next_free_vgpr 50
		.amdhsa_next_free_sgpr 36
		.amdhsa_reserve_vcc 1
		.amdhsa_float_round_mode_32 0
		.amdhsa_float_round_mode_16_64 0
		.amdhsa_float_denorm_mode_32 3
		.amdhsa_float_denorm_mode_16_64 3
		.amdhsa_dx10_clamp 1
		.amdhsa_ieee_mode 1
		.amdhsa_fp16_overflow 0
		.amdhsa_workgroup_processor_mode 1
		.amdhsa_memory_ordered 1
		.amdhsa_forward_progress 0
		.amdhsa_shared_vgpr_count 0
		.amdhsa_exception_fp_ieee_invalid_op 0
		.amdhsa_exception_fp_denorm_src 0
		.amdhsa_exception_fp_ieee_div_zero 0
		.amdhsa_exception_fp_ieee_overflow 0
		.amdhsa_exception_fp_ieee_underflow 0
		.amdhsa_exception_fp_ieee_inexact 0
		.amdhsa_exception_int_div_zero 0
	.end_amdhsa_kernel
	.section	.text._ZN2at6native12_GLOBAL__N_135GammaBetaBackwardCUDAKernelTemplateIN3c108BFloat16EfLj64ELj1ELj8ELb1ELb1ELb0EEEvllPKT_S7_PKT0_SA_PS5_SB_,"axG",@progbits,_ZN2at6native12_GLOBAL__N_135GammaBetaBackwardCUDAKernelTemplateIN3c108BFloat16EfLj64ELj1ELj8ELb1ELb1ELb0EEEvllPKT_S7_PKT0_SA_PS5_SB_,comdat
.Lfunc_end98:
	.size	_ZN2at6native12_GLOBAL__N_135GammaBetaBackwardCUDAKernelTemplateIN3c108BFloat16EfLj64ELj1ELj8ELb1ELb1ELb0EEEvllPKT_S7_PKT0_SA_PS5_SB_, .Lfunc_end98-_ZN2at6native12_GLOBAL__N_135GammaBetaBackwardCUDAKernelTemplateIN3c108BFloat16EfLj64ELj1ELj8ELb1ELb1ELb0EEEvllPKT_S7_PKT0_SA_PS5_SB_
                                        ; -- End function
	.section	.AMDGPU.csdata,"",@progbits
; Kernel info:
; codeLenInByte = 1688
; NumSgprs: 38
; NumVgprs: 50
; ScratchSize: 0
; MemoryBound: 0
; FloatMode: 240
; IeeeMode: 1
; LDSByteSize: 0 bytes/workgroup (compile time only)
; SGPRBlocks: 4
; VGPRBlocks: 6
; NumSGPRsForWavesPerEU: 38
; NumVGPRsForWavesPerEU: 50
; Occupancy: 16
; WaveLimiterHint : 0
; COMPUTE_PGM_RSRC2:SCRATCH_EN: 0
; COMPUTE_PGM_RSRC2:USER_SGPR: 14
; COMPUTE_PGM_RSRC2:TRAP_HANDLER: 0
; COMPUTE_PGM_RSRC2:TGID_X_EN: 1
; COMPUTE_PGM_RSRC2:TGID_Y_EN: 1
; COMPUTE_PGM_RSRC2:TGID_Z_EN: 0
; COMPUTE_PGM_RSRC2:TIDIG_COMP_CNT: 1
	.section	.text._ZN2at6native12_GLOBAL__N_135GammaBetaBackwardCUDAKernelTemplateIN3c108BFloat16EfLj64ELj1ELj8ELb1ELb0ELb0EEEvllPKT_S7_PKT0_SA_PS5_SB_,"axG",@progbits,_ZN2at6native12_GLOBAL__N_135GammaBetaBackwardCUDAKernelTemplateIN3c108BFloat16EfLj64ELj1ELj8ELb1ELb0ELb0EEEvllPKT_S7_PKT0_SA_PS5_SB_,comdat
	.globl	_ZN2at6native12_GLOBAL__N_135GammaBetaBackwardCUDAKernelTemplateIN3c108BFloat16EfLj64ELj1ELj8ELb1ELb0ELb0EEEvllPKT_S7_PKT0_SA_PS5_SB_ ; -- Begin function _ZN2at6native12_GLOBAL__N_135GammaBetaBackwardCUDAKernelTemplateIN3c108BFloat16EfLj64ELj1ELj8ELb1ELb0ELb0EEEvllPKT_S7_PKT0_SA_PS5_SB_
	.p2align	8
	.type	_ZN2at6native12_GLOBAL__N_135GammaBetaBackwardCUDAKernelTemplateIN3c108BFloat16EfLj64ELj1ELj8ELb1ELb0ELb0EEEvllPKT_S7_PKT0_SA_PS5_SB_,@function
_ZN2at6native12_GLOBAL__N_135GammaBetaBackwardCUDAKernelTemplateIN3c108BFloat16EfLj64ELj1ELj8ELb1ELb0ELb0EEEvllPKT_S7_PKT0_SA_PS5_SB_: ; @_ZN2at6native12_GLOBAL__N_135GammaBetaBackwardCUDAKernelTemplateIN3c108BFloat16EfLj64ELj1ELj8ELb1ELb0ELb0EEEvllPKT_S7_PKT0_SA_PS5_SB_
; %bb.0:
	s_clause 0x1
	s_load_b256 s[16:23], s[0:1], 0x0
	s_load_b128 s[36:39], s[0:1], 0x20
	s_mov_b32 s2, s15
	s_mov_b32 s5, 0
	s_lshl_b32 s12, s2, 3
	s_mov_b32 s13, s5
	s_lshl_b32 s15, s14, 6
	s_delay_alu instid0(SALU_CYCLE_1) | instskip(SKIP_3) | instid1(VALU_DEP_2)
	s_or_b32 s4, s15, 63
	s_waitcnt lgkmcnt(0)
	v_cmp_lt_i64_e64 s33, s[12:13], s[16:17]
	v_cmp_ge_i64_e64 s3, s[4:5], s[18:19]
	v_cndmask_b32_e64 v1, 0, 1, s33
	s_delay_alu instid0(VALU_DEP_2) | instskip(NEXT) | instid1(VALU_DEP_1)
	s_and_b32 vcc_lo, exec_lo, s3
	v_cmp_ne_u32_e64 s3, 1, v1
	s_cbranch_vccz .LBB99_49
; %bb.1:
	v_dual_mov_b32 v6, 0 :: v_dual_mov_b32 v61, 0
	s_delay_alu instid0(VALU_DEP_2)
	s_and_b32 vcc_lo, exec_lo, s3
	s_cbranch_vccnz .LBB99_50
; %bb.2:
	v_bfe_u32 v29, v0, 10, 10
	s_load_b32 s4, s[0:1], 0x44
	v_dual_mov_b32 v2, 0 :: v_dual_and_b32 v31, 0x3ff, v0
	s_add_u32 s6, s0, 64
	s_delay_alu instid0(VALU_DEP_2) | instskip(NEXT) | instid1(VALU_DEP_2)
	v_dual_mov_b32 v61, 0 :: v_dual_lshlrev_b32 v30, 3, v29
	v_dual_mov_b32 v32, v2 :: v_dual_add_nc_u32 v1, s15, v31
	s_addc_u32 s7, s1, 0
	s_delay_alu instid0(VALU_DEP_2) | instskip(NEXT) | instid1(VALU_DEP_1)
	v_add_co_u32 v9, s3, v30, s12
	v_add_co_ci_u32_e64 v10, null, 0, 0, s3
	s_delay_alu instid0(VALU_DEP_3) | instskip(NEXT) | instid1(VALU_DEP_3)
	v_cmp_gt_i64_e64 s3, s[18:19], v[1:2]
	v_add_co_u32 v5, vcc_lo, v9, 7
	s_delay_alu instid0(VALU_DEP_3) | instskip(SKIP_1) | instid1(VALU_DEP_3)
	v_add_co_ci_u32_e32 v3, vcc_lo, 0, v10, vcc_lo
	v_add_co_u32 v8, vcc_lo, v9, 6
	v_mul_lo_u32 v6, s19, v5
	s_delay_alu instid0(VALU_DEP_3)
	v_mul_lo_u32 v7, s18, v3
	v_mad_u64_u32 v[3:4], null, s18, v5, 0
	v_add_co_ci_u32_e32 v5, vcc_lo, 0, v10, vcc_lo
	v_lshlrev_b64 v[25:26], 1, v[1:2]
	v_mul_lo_u32 v1, s19, v8
	s_waitcnt lgkmcnt(0)
	s_lshl_b32 s40, s4, 3
	v_mov_b32_e32 v66, 0
	v_add3_u32 v4, v4, v7, v6
	v_mul_lo_u32 v7, s18, v5
	v_mad_u64_u32 v[5:6], null, s18, v8, 0
	s_mul_i32 s4, s19, s40
	s_delay_alu instid0(VALU_DEP_3) | instskip(SKIP_4) | instid1(VALU_DEP_2)
	v_lshlrev_b64 v[3:4], 1, v[3:4]
	s_mul_hi_u32 s8, s18, s40
	s_mul_i32 s10, s18, s40
	s_add_i32 s11, s8, s4
	s_mov_b32 s24, 0
	v_add3_u32 v6, v6, v7, v1
	v_add_co_u32 v33, vcc_lo, s20, v3
	v_add_co_ci_u32_e32 v34, vcc_lo, s21, v4, vcc_lo
	v_add_co_u32 v1, vcc_lo, v9, 5
	v_add_co_u32 v35, s4, s22, v3
	s_delay_alu instid0(VALU_DEP_1) | instskip(SKIP_4) | instid1(VALU_DEP_3)
	v_add_co_ci_u32_e64 v36, s4, s23, v4, s4
	v_lshlrev_b64 v[3:4], 1, v[5:6]
	v_add_co_ci_u32_e32 v5, vcc_lo, 0, v10, vcc_lo
	v_add_co_u32 v12, vcc_lo, v9, 4
	v_mul_lo_u32 v11, s19, v1
	v_mul_lo_u32 v13, s18, v5
	v_mad_u64_u32 v[5:6], null, s18, v1, 0
	v_add_co_ci_u32_e32 v7, vcc_lo, 0, v10, vcc_lo
	v_mul_lo_u32 v1, s19, v12
	v_add_co_u32 v37, vcc_lo, s20, v3
	s_delay_alu instid0(VALU_DEP_3)
	v_mul_lo_u32 v14, s18, v7
	v_mad_u64_u32 v[7:8], null, s18, v12, 0
	v_add3_u32 v6, v6, v13, v11
	v_add_co_ci_u32_e32 v38, vcc_lo, s21, v4, vcc_lo
	v_add_co_u32 v39, vcc_lo, s22, v3
	v_add_co_ci_u32_e32 v40, vcc_lo, s23, v4, vcc_lo
	s_delay_alu instid0(VALU_DEP_4) | instskip(SKIP_3) | instid1(VALU_DEP_4)
	v_lshlrev_b64 v[3:4], 1, v[5:6]
	v_add3_u32 v8, v8, v14, v1
	v_add_co_u32 v1, vcc_lo, v9, 3
	v_add_co_ci_u32_e32 v11, vcc_lo, 0, v10, vcc_lo
	v_add_co_u32 v41, vcc_lo, s20, v3
	s_delay_alu instid0(VALU_DEP_4)
	v_lshlrev_b64 v[5:6], 1, v[7:8]
	v_add_co_ci_u32_e32 v42, vcc_lo, s21, v4, vcc_lo
	v_mul_lo_u32 v12, s19, v1
	v_mul_lo_u32 v11, s18, v11
	v_mad_u64_u32 v[7:8], null, s18, v1, 0
	v_add_co_u32 v43, vcc_lo, s22, v3
	v_add_co_ci_u32_e32 v44, vcc_lo, s23, v4, vcc_lo
	v_add_co_u32 v45, vcc_lo, s20, v5
	v_add_co_ci_u32_e32 v46, vcc_lo, s21, v6, vcc_lo
	v_add_co_u32 v1, vcc_lo, v9, 2
	v_add3_u32 v8, v8, v11, v12
	v_add_co_ci_u32_e32 v11, vcc_lo, 0, v10, vcc_lo
	v_add_co_u32 v47, vcc_lo, s22, v5
	v_add_co_ci_u32_e32 v48, vcc_lo, s23, v6, vcc_lo
	v_mul_lo_u32 v12, s19, v1
	s_delay_alu instid0(VALU_DEP_4)
	v_mul_lo_u32 v11, s18, v11
	v_mad_u64_u32 v[5:6], null, s18, v1, 0
	v_lshlrev_b64 v[3:4], 1, v[7:8]
	v_mul_lo_u32 v1, s19, v9
	v_mul_lo_u32 v10, s18, v10
	v_mad_u64_u32 v[7:8], null, s18, v9, 0
	s_mov_b64 s[8:9], 7
	s_delay_alu instid0(VALU_DEP_4)
	v_add_co_u32 v49, vcc_lo, s20, v3
	v_add3_u32 v6, v6, v11, v12
	v_add_co_ci_u32_e32 v50, vcc_lo, s21, v4, vcc_lo
	v_add_co_u32 v51, vcc_lo, s22, v3
	v_add3_u32 v8, v8, v10, v1
	v_add_co_ci_u32_e32 v52, vcc_lo, s23, v4, vcc_lo
	v_lshlrev_b64 v[3:4], 1, v[5:6]
	v_add_co_u32 v5, vcc_lo, v7, s18
	s_delay_alu instid0(VALU_DEP_4) | instskip(SKIP_1) | instid1(VALU_DEP_3)
	v_add_co_ci_u32_e32 v6, vcc_lo, s19, v8, vcc_lo
	s_lshl_b64 s[10:11], s[10:11], 1
	v_add_co_u32 v53, vcc_lo, s20, v3
	s_delay_alu instid0(VALU_DEP_2) | instskip(SKIP_3) | instid1(VALU_DEP_4)
	v_lshlrev_b64 v[5:6], 1, v[5:6]
	v_add_co_ci_u32_e32 v54, vcc_lo, s21, v4, vcc_lo
	v_add_co_u32 v55, vcc_lo, s22, v3
	v_add_co_ci_u32_e32 v56, vcc_lo, s23, v4, vcc_lo
	v_add_co_u32 v57, vcc_lo, s20, v5
	v_lshlrev_b64 v[3:4], 1, v[7:8]
	v_add_co_ci_u32_e32 v58, vcc_lo, s21, v6, vcc_lo
	v_add_co_u32 v59, vcc_lo, s22, v5
	v_add_co_ci_u32_e32 v60, vcc_lo, s23, v6, vcc_lo
	s_delay_alu instid0(VALU_DEP_4)
	v_add_co_u32 v62, vcc_lo, s20, v3
	v_add_co_ci_u32_e32 v63, vcc_lo, s21, v4, vcc_lo
	v_add_co_u32 v64, vcc_lo, s22, v3
	v_add_co_ci_u32_e32 v65, vcc_lo, s23, v4, vcc_lo
	s_mov_b64 s[34:35], s[12:13]
.LBB99_3:                               ; =>This Inner Loop Header: Depth=1
	s_add_u32 s26, s12, s8
	s_addc_u32 s27, 0, s9
	v_add_co_u32 v27, vcc_lo, s12, v30
	v_cmp_ge_i64_e64 s4, s[26:27], s[16:17]
	v_add_co_ci_u32_e32 v28, vcc_lo, 0, v32, vcc_lo
	s_delay_alu instid0(VALU_DEP_2)
	s_and_b32 vcc_lo, exec_lo, s4
	s_cbranch_vccz .LBB99_25
; %bb.4:                                ;   in Loop: Header=BB99_3 Depth=1
	s_load_b32 s4, s[6:7], 0xc
	v_dual_mov_b32 v67, 0 :: v_dual_mov_b32 v68, 0
	s_waitcnt lgkmcnt(0)
	s_and_b32 s4, s4, 0xffff
	s_delay_alu instid0(SALU_CYCLE_1) | instskip(SKIP_1) | instid1(VALU_DEP_1)
	v_mad_u32_u24 v1, v29, s4, v31
	s_mov_b32 s4, exec_lo
	v_and_b32_e32 v1, 31, v1
	s_delay_alu instid0(VALU_DEP_1)
	v_cmpx_gt_u32_e32 8, v1
	s_cbranch_execz .LBB99_8
; %bb.5:                                ;   in Loop: Header=BB99_3 Depth=1
	v_add_co_u32 v3, vcc_lo, v27, v1
	v_add_co_ci_u32_e32 v4, vcc_lo, 0, v28, vcc_lo
	v_dual_mov_b32 v67, 0 :: v_dual_mov_b32 v68, 0
	s_mov_b32 s25, exec_lo
	s_delay_alu instid0(VALU_DEP_2)
	v_cmpx_gt_i64_e64 s[16:17], v[3:4]
	s_cbranch_execz .LBB99_7
; %bb.6:                                ;   in Loop: Header=BB99_3 Depth=1
	v_lshlrev_b64 v[3:4], 2, v[3:4]
	s_delay_alu instid0(VALU_DEP_1) | instskip(NEXT) | instid1(VALU_DEP_2)
	v_add_co_u32 v5, vcc_lo, s36, v3
	v_add_co_ci_u32_e32 v6, vcc_lo, s37, v4, vcc_lo
	v_add_co_u32 v3, vcc_lo, s38, v3
	v_add_co_ci_u32_e32 v4, vcc_lo, s39, v4, vcc_lo
	global_load_b32 v67, v[5:6], off
	global_load_b32 v68, v[3:4], off
.LBB99_7:                               ;   in Loop: Header=BB99_3 Depth=1
	s_or_b32 exec_lo, exec_lo, s25
.LBB99_8:                               ;   in Loop: Header=BB99_3 Depth=1
	s_delay_alu instid0(SALU_CYCLE_1)
	s_or_b32 exec_lo, exec_lo, s4
	s_mov_b32 s30, s24
	s_mov_b32 s31, s24
	;; [unrolled: 1-line block ×7, first 2 shown]
	v_dual_mov_b32 v9, s24 :: v_dual_mov_b32 v10, s25
	v_dual_mov_b32 v15, s30 :: v_dual_mov_b32 v16, s31
	;; [unrolled: 1-line block ×4, first 2 shown]
	v_cmp_gt_i64_e32 vcc_lo, s[16:17], v[27:28]
	s_delay_alu instid0(VALU_DEP_4) | instskip(NEXT) | instid1(VALU_DEP_3)
	v_dual_mov_b32 v24, v16 :: v_dual_mov_b32 v23, v15
	v_dual_mov_b32 v21, v13 :: v_dual_mov_b32 v22, v14
	;; [unrolled: 1-line block ×4, first 2 shown]
	s_and_b32 s25, s3, vcc_lo
	s_delay_alu instid0(SALU_CYCLE_1)
	s_and_saveexec_b32 s4, s25
	s_cbranch_execz .LBB99_10
; %bb.9:                                ;   in Loop: Header=BB99_3 Depth=1
	v_add_co_u32 v3, vcc_lo, v62, v25
	v_add_co_ci_u32_e32 v4, vcc_lo, v63, v26, vcc_lo
	v_add_co_u32 v5, vcc_lo, v64, v25
	v_add_co_ci_u32_e32 v6, vcc_lo, v65, v26, vcc_lo
	v_mov_b32_e32 v8, v2
	global_load_u16 v1, v[3:4], off
	global_load_u16 v9, v[5:6], off
	v_mov_b32_e32 v3, v2
	v_mov_b32_e32 v4, v2
	;; [unrolled: 1-line block ×6, first 2 shown]
	s_waitcnt vmcnt(1)
	v_lshlrev_b32_e32 v1, 16, v1
	s_waitcnt vmcnt(0)
	v_lshlrev_b32_e32 v9, 16, v9
	v_dual_mov_b32 v11, v2 :: v_dual_mov_b32 v24, v8
	v_dual_mov_b32 v10, v2 :: v_dual_mov_b32 v23, v7
	;; [unrolled: 1-line block ×6, first 2 shown]
	v_mov_b32_e32 v22, v6
	v_mov_b32_e32 v18, v2
.LBB99_10:                              ;   in Loop: Header=BB99_3 Depth=1
	s_or_b32 exec_lo, exec_lo, s4
	v_add_co_u32 v3, vcc_lo, v27, 1
	v_add_co_ci_u32_e32 v4, vcc_lo, 0, v28, vcc_lo
	s_delay_alu instid0(VALU_DEP_1) | instskip(SKIP_1) | instid1(SALU_CYCLE_1)
	v_cmp_gt_i64_e32 vcc_lo, s[16:17], v[3:4]
	s_and_b32 s25, s3, vcc_lo
	s_and_saveexec_b32 s4, s25
	s_cbranch_execz .LBB99_12
; %bb.11:                               ;   in Loop: Header=BB99_3 Depth=1
	v_add_co_u32 v3, vcc_lo, v57, v25
	v_add_co_ci_u32_e32 v4, vcc_lo, v58, v26, vcc_lo
	v_add_co_u32 v5, vcc_lo, v59, v25
	v_add_co_ci_u32_e32 v6, vcc_lo, v60, v26, vcc_lo
	global_load_u16 v1, v[3:4], off
	global_load_u16 v3, v[5:6], off
	s_waitcnt vmcnt(1)
	v_lshlrev_b32_e32 v18, 16, v1
	s_waitcnt vmcnt(0)
	v_lshlrev_b32_e32 v10, 16, v3
.LBB99_12:                              ;   in Loop: Header=BB99_3 Depth=1
	s_or_b32 exec_lo, exec_lo, s4
	v_add_co_u32 v3, vcc_lo, v27, 2
	v_add_co_ci_u32_e32 v4, vcc_lo, 0, v28, vcc_lo
	s_delay_alu instid0(VALU_DEP_1) | instskip(SKIP_1) | instid1(SALU_CYCLE_1)
	v_cmp_gt_i64_e32 vcc_lo, s[16:17], v[3:4]
	s_and_b32 s25, s3, vcc_lo
	s_and_saveexec_b32 s4, s25
	s_cbranch_execz .LBB99_14
; %bb.13:                               ;   in Loop: Header=BB99_3 Depth=1
	v_add_co_u32 v3, vcc_lo, v53, v25
	v_add_co_ci_u32_e32 v4, vcc_lo, v54, v26, vcc_lo
	v_add_co_u32 v5, vcc_lo, v55, v25
	v_add_co_ci_u32_e32 v6, vcc_lo, v56, v26, vcc_lo
	global_load_u16 v1, v[3:4], off
	global_load_u16 v3, v[5:6], off
	s_waitcnt vmcnt(1)
	v_lshlrev_b32_e32 v19, 16, v1
	s_waitcnt vmcnt(0)
	v_lshlrev_b32_e32 v11, 16, v3
.LBB99_14:                              ;   in Loop: Header=BB99_3 Depth=1
	;; [unrolled: 20-line block ×7, first 2 shown]
	s_or_b32 exec_lo, exec_lo, s4
	s_waitcnt vmcnt(1)
	ds_bpermute_b32 v1, v2, v67
	ds_bpermute_b32 v3, v2, v67 offset:4
	ds_bpermute_b32 v4, v2, v67 offset:8
	s_waitcnt vmcnt(0)
	ds_bpermute_b32 v5, v2, v68
	ds_bpermute_b32 v7, v2, v67 offset:12
	ds_bpermute_b32 v8, v2, v68 offset:4
	;; [unrolled: 1-line block ×6, first 2 shown]
	s_waitcnt lgkmcnt(9)
	v_sub_f32_e32 v1, v9, v1
	s_waitcnt lgkmcnt(7)
	v_dual_sub_f32 v3, v10, v3 :: v_dual_sub_f32 v4, v11, v4
	v_add_f32_e32 v9, v61, v17
	ds_bpermute_b32 v10, v2, v68 offset:16
	ds_bpermute_b32 v11, v2, v68 offset:24
	v_dual_mul_f32 v4, v19, v4 :: v_dual_mul_f32 v3, v18, v3
	v_mul_f32_e32 v1, v17, v1
	ds_bpermute_b32 v17, v2, v67 offset:24
	s_waitcnt lgkmcnt(9)
	v_fma_f32 v6, v1, v5, v66
	ds_bpermute_b32 v5, v2, v68 offset:20
	ds_bpermute_b32 v1, v2, v68 offset:28
	s_waitcnt lgkmcnt(9)
	v_fmac_f32_e32 v6, v3, v8
	s_waitcnt lgkmcnt(8)
	v_dual_sub_f32 v8, v13, v69 :: v_dual_sub_f32 v7, v12, v7
	s_waitcnt lgkmcnt(7)
	s_delay_alu instid0(VALU_DEP_2) | instskip(NEXT) | instid1(VALU_DEP_2)
	v_fmac_f32_e32 v6, v4, v70
	v_dual_mul_f32 v8, v21, v8 :: v_dual_mul_f32 v7, v20, v7
	v_add_f32_e32 v3, v18, v9
	s_waitcnt lgkmcnt(5)
	s_delay_alu instid0(VALU_DEP_2) | instskip(NEXT) | instid1(VALU_DEP_2)
	v_dual_sub_f32 v9, v14, v72 :: v_dual_fmac_f32 v6, v7, v71
	v_add_f32_e32 v4, v19, v3
	ds_bpermute_b32 v3, v2, v67 offset:28
	s_waitcnt lgkmcnt(3)
	v_sub_f32_e32 v7, v15, v17
	v_dual_mul_f32 v9, v22, v9 :: v_dual_fmac_f32 v6, v8, v10
	s_delay_alu instid0(VALU_DEP_2) | instskip(SKIP_1) | instid1(VALU_DEP_2)
	v_dual_add_f32 v4, v20, v4 :: v_dual_mul_f32 v7, v23, v7
	s_waitcnt lgkmcnt(2)
	v_fmac_f32_e32 v6, v9, v5
	s_delay_alu instid0(VALU_DEP_2) | instskip(NEXT) | instid1(VALU_DEP_2)
	v_add_f32_e32 v4, v21, v4
	v_fmac_f32_e32 v6, v7, v11
	s_delay_alu instid0(VALU_DEP_2) | instskip(NEXT) | instid1(VALU_DEP_1)
	v_add_f32_e32 v4, v22, v4
	v_add_f32_e32 v4, v23, v4
	s_branch .LBB99_40
.LBB99_25:                              ;   in Loop: Header=BB99_3 Depth=1
                                        ; implicit-def: $vgpr1
                                        ; implicit-def: $vgpr9_vgpr10_vgpr11_vgpr12_vgpr13_vgpr14_vgpr15_vgpr16
                                        ; implicit-def: $vgpr17_vgpr18_vgpr19_vgpr20_vgpr21_vgpr22_vgpr23_vgpr24
                                        ; implicit-def: $vgpr3
                                        ; implicit-def: $vgpr6
                                        ; implicit-def: $vgpr4
	s_cbranch_execz .LBB99_40
; %bb.26:                               ;   in Loop: Header=BB99_3 Depth=1
	s_load_b32 s4, s[6:7], 0x0
	v_dual_mov_b32 v67, 0 :: v_dual_mov_b32 v68, 0
	s_waitcnt lgkmcnt(0)
	s_cmp_lt_u32 s14, s4
	s_cselect_b32 s4, 12, 18
	s_delay_alu instid0(SALU_CYCLE_1)
	s_add_u32 s26, s6, s4
	s_addc_u32 s27, s7, 0
	s_mov_b32 s4, exec_lo
	global_load_u16 v1, v2, s[26:27]
	s_waitcnt vmcnt(0)
	v_mad_u32_u24 v1, v29, v1, v31
	s_delay_alu instid0(VALU_DEP_1) | instskip(NEXT) | instid1(VALU_DEP_1)
	v_and_b32_e32 v1, 31, v1
	v_cmpx_gt_u32_e32 8, v1
	s_cbranch_execz .LBB99_30
; %bb.27:                               ;   in Loop: Header=BB99_3 Depth=1
	v_add_co_u32 v3, vcc_lo, v27, v1
	v_add_co_ci_u32_e32 v4, vcc_lo, 0, v28, vcc_lo
	v_dual_mov_b32 v67, 0 :: v_dual_mov_b32 v68, 0
	s_mov_b32 s25, exec_lo
	s_delay_alu instid0(VALU_DEP_2)
	v_cmpx_gt_i64_e64 s[16:17], v[3:4]
	s_cbranch_execz .LBB99_29
; %bb.28:                               ;   in Loop: Header=BB99_3 Depth=1
	v_lshlrev_b64 v[3:4], 2, v[3:4]
	s_delay_alu instid0(VALU_DEP_1) | instskip(NEXT) | instid1(VALU_DEP_2)
	v_add_co_u32 v5, vcc_lo, s36, v3
	v_add_co_ci_u32_e32 v6, vcc_lo, s37, v4, vcc_lo
	v_add_co_u32 v3, vcc_lo, s38, v3
	v_add_co_ci_u32_e32 v4, vcc_lo, s39, v4, vcc_lo
	global_load_b32 v67, v[5:6], off
	global_load_b32 v68, v[3:4], off
.LBB99_29:                              ;   in Loop: Header=BB99_3 Depth=1
	s_or_b32 exec_lo, exec_lo, s25
.LBB99_30:                              ;   in Loop: Header=BB99_3 Depth=1
	s_delay_alu instid0(SALU_CYCLE_1)
	s_or_b32 exec_lo, exec_lo, s4
	s_mov_b32 s30, s24
	s_mov_b32 s31, s24
	s_mov_b32 s25, s24
	s_mov_b32 s26, s24
	s_mov_b32 s27, s24
	s_mov_b32 s28, s24
	s_mov_b32 s29, s24
	v_dual_mov_b32 v9, s24 :: v_dual_mov_b32 v10, s25
	v_dual_mov_b32 v15, s30 :: v_dual_mov_b32 v16, s31
	;; [unrolled: 1-line block ×4, first 2 shown]
	s_delay_alu instid0(VALU_DEP_3) | instskip(NEXT) | instid1(VALU_DEP_3)
	v_dual_mov_b32 v24, v16 :: v_dual_mov_b32 v23, v15
	v_dual_mov_b32 v20, v12 :: v_dual_mov_b32 v19, v11
	s_delay_alu instid0(VALU_DEP_3)
	v_dual_mov_b32 v22, v14 :: v_dual_mov_b32 v21, v13
	v_dual_mov_b32 v18, v10 :: v_dual_mov_b32 v17, v9
	s_and_saveexec_b32 s4, s3
	s_cbranch_execnz .LBB99_42
; %bb.31:                               ;   in Loop: Header=BB99_3 Depth=1
	s_or_b32 exec_lo, exec_lo, s4
	s_and_saveexec_b32 s4, s3
	s_cbranch_execnz .LBB99_43
.LBB99_32:                              ;   in Loop: Header=BB99_3 Depth=1
	s_or_b32 exec_lo, exec_lo, s4
	s_and_saveexec_b32 s4, s3
	s_cbranch_execnz .LBB99_44
.LBB99_33:                              ;   in Loop: Header=BB99_3 Depth=1
	s_or_b32 exec_lo, exec_lo, s4
	s_and_saveexec_b32 s4, s3
	s_cbranch_execnz .LBB99_45
.LBB99_34:                              ;   in Loop: Header=BB99_3 Depth=1
	s_or_b32 exec_lo, exec_lo, s4
	s_and_saveexec_b32 s4, s3
	s_cbranch_execnz .LBB99_46
.LBB99_35:                              ;   in Loop: Header=BB99_3 Depth=1
	s_or_b32 exec_lo, exec_lo, s4
	s_and_saveexec_b32 s4, s3
	s_cbranch_execnz .LBB99_47
.LBB99_36:                              ;   in Loop: Header=BB99_3 Depth=1
	s_or_b32 exec_lo, exec_lo, s4
	s_and_saveexec_b32 s4, s3
	s_cbranch_execnz .LBB99_48
.LBB99_37:                              ;   in Loop: Header=BB99_3 Depth=1
	s_or_b32 exec_lo, exec_lo, s4
	s_and_saveexec_b32 s4, s3
	s_cbranch_execz .LBB99_39
.LBB99_38:                              ;   in Loop: Header=BB99_3 Depth=1
	v_add_co_u32 v3, vcc_lo, v33, v25
	v_add_co_ci_u32_e32 v4, vcc_lo, v34, v26, vcc_lo
	v_add_co_u32 v5, vcc_lo, v35, v25
	v_add_co_ci_u32_e32 v6, vcc_lo, v36, v26, vcc_lo
	global_load_u16 v1, v[3:4], off
	global_load_u16 v3, v[5:6], off
	s_waitcnt vmcnt(1)
	v_lshlrev_b32_e32 v24, 16, v1
	s_waitcnt vmcnt(0)
	v_lshlrev_b32_e32 v16, 16, v3
.LBB99_39:                              ;   in Loop: Header=BB99_3 Depth=1
	s_or_b32 exec_lo, exec_lo, s4
	s_waitcnt vmcnt(1)
	ds_bpermute_b32 v1, v2, v67
	ds_bpermute_b32 v3, v2, v67 offset:4
	ds_bpermute_b32 v4, v2, v67 offset:8
	s_waitcnt vmcnt(0)
	ds_bpermute_b32 v5, v2, v68
	ds_bpermute_b32 v6, v2, v67 offset:12
	ds_bpermute_b32 v7, v2, v68 offset:4
	;; [unrolled: 1-line block ×5, first 2 shown]
	s_waitcnt lgkmcnt(8)
	v_sub_f32_e32 v1, v9, v1
	s_waitcnt lgkmcnt(7)
	v_dual_sub_f32 v3, v10, v3 :: v_dual_add_f32 v10, v61, v17
	s_waitcnt lgkmcnt(6)
	v_sub_f32_e32 v4, v11, v4
	ds_bpermute_b32 v9, v2, v68 offset:12
	v_mul_f32_e32 v1, v17, v1
	ds_bpermute_b32 v17, v2, v68 offset:16
	ds_bpermute_b32 v11, v2, v68 offset:20
	v_dual_mul_f32 v4, v19, v4 :: v_dual_mul_f32 v3, v18, v3
	s_waitcnt lgkmcnt(8)
	v_fmac_f32_e32 v66, v1, v5
	ds_bpermute_b32 v5, v2, v67 offset:24
	s_waitcnt lgkmcnt(6)
	v_dual_sub_f32 v1, v12, v6 :: v_dual_sub_f32 v6, v13, v8
	s_waitcnt lgkmcnt(4)
	v_sub_f32_e32 v8, v14, v28
	v_dual_fmac_f32 v66, v3, v7 :: v_dual_add_f32 v3, v18, v10
	s_delay_alu instid0(VALU_DEP_3) | instskip(NEXT) | instid1(VALU_DEP_2)
	v_dual_mul_f32 v1, v20, v1 :: v_dual_mul_f32 v6, v21, v6
	v_fmac_f32_e32 v66, v4, v27
	ds_bpermute_b32 v4, v2, v68 offset:24
	v_add_f32_e32 v7, v19, v3
	ds_bpermute_b32 v3, v2, v67 offset:28
	v_add_f32_e32 v7, v20, v7
	s_waitcnt lgkmcnt(2)
	v_sub_f32_e32 v5, v15, v5
	v_fmac_f32_e32 v66, v1, v9
	v_mul_f32_e32 v8, v22, v8
	ds_bpermute_b32 v1, v2, v68 offset:28
	v_mul_f32_e32 v5, v23, v5
	v_fmac_f32_e32 v66, v6, v17
	v_add_f32_e32 v6, v21, v7
	s_delay_alu instid0(VALU_DEP_2) | instskip(NEXT) | instid1(VALU_DEP_2)
	v_fmac_f32_e32 v66, v8, v11
	v_add_f32_e32 v6, v22, v6
	s_waitcnt lgkmcnt(2)
	s_delay_alu instid0(VALU_DEP_2) | instskip(NEXT) | instid1(VALU_DEP_2)
	v_fmac_f32_e32 v66, v5, v4
	v_add_f32_e32 v4, v23, v6
	s_delay_alu instid0(VALU_DEP_2)
	v_mov_b32_e32 v6, v66
.LBB99_40:                              ;   in Loop: Header=BB99_3 Depth=1
	v_add_co_u32 v33, vcc_lo, v33, s10
	v_add_co_ci_u32_e32 v34, vcc_lo, s11, v34, vcc_lo
	v_add_co_u32 v35, vcc_lo, v35, s10
	v_add_co_ci_u32_e32 v36, vcc_lo, s11, v36, vcc_lo
	;; [unrolled: 2-line block ×13, first 2 shown]
	v_add_co_u32 v59, vcc_lo, v59, s10
	s_waitcnt lgkmcnt(0)
	v_sub_f32_e32 v3, v16, v3
	v_add_co_ci_u32_e32 v60, vcc_lo, s11, v60, vcc_lo
	v_add_co_u32 v30, vcc_lo, v30, s40
	s_add_u32 s34, s34, s40
	v_add_co_ci_u32_e32 v32, vcc_lo, 0, v32, vcc_lo
	v_mul_f32_e32 v3, v24, v3
	s_addc_u32 s35, s35, 0
	v_add_co_u32 v62, vcc_lo, v62, s10
	v_add_co_ci_u32_e32 v63, vcc_lo, s11, v63, vcc_lo
	v_cmp_lt_i64_e64 s4, s[34:35], s[16:17]
	v_add_co_u32 v64, vcc_lo, v64, s10
	v_dual_add_f32 v61, v4, v24 :: v_dual_fmac_f32 v6, v3, v1
	v_add_co_ci_u32_e32 v65, vcc_lo, s11, v65, vcc_lo
	s_add_u32 s8, s8, s40
	s_addc_u32 s9, s9, 0
	s_and_b32 vcc_lo, exec_lo, s4
	s_cbranch_vccz .LBB99_50
; %bb.41:                               ;   in Loop: Header=BB99_3 Depth=1
	v_mov_b32_e32 v66, v6
	s_branch .LBB99_3
.LBB99_42:                              ;   in Loop: Header=BB99_3 Depth=1
	v_add_co_u32 v3, vcc_lo, v62, v25
	v_add_co_ci_u32_e32 v4, vcc_lo, v63, v26, vcc_lo
	v_add_co_u32 v5, vcc_lo, v64, v25
	v_add_co_ci_u32_e32 v6, vcc_lo, v65, v26, vcc_lo
	v_mov_b32_e32 v8, v2
	global_load_u16 v1, v[3:4], off
	global_load_u16 v9, v[5:6], off
	v_mov_b32_e32 v3, v2
	v_mov_b32_e32 v4, v2
	;; [unrolled: 1-line block ×6, first 2 shown]
	s_waitcnt vmcnt(1)
	v_lshlrev_b32_e32 v1, 16, v1
	s_waitcnt vmcnt(0)
	v_lshlrev_b32_e32 v9, 16, v9
	v_dual_mov_b32 v11, v2 :: v_dual_mov_b32 v24, v8
	v_dual_mov_b32 v10, v2 :: v_dual_mov_b32 v23, v7
	;; [unrolled: 1-line block ×6, first 2 shown]
	v_mov_b32_e32 v22, v6
	v_mov_b32_e32 v18, v2
	s_or_b32 exec_lo, exec_lo, s4
	s_and_saveexec_b32 s4, s3
	s_cbranch_execz .LBB99_32
.LBB99_43:                              ;   in Loop: Header=BB99_3 Depth=1
	v_add_co_u32 v3, vcc_lo, v57, v25
	v_add_co_ci_u32_e32 v4, vcc_lo, v58, v26, vcc_lo
	v_add_co_u32 v5, vcc_lo, v59, v25
	v_add_co_ci_u32_e32 v6, vcc_lo, v60, v26, vcc_lo
	global_load_u16 v1, v[3:4], off
	global_load_u16 v3, v[5:6], off
	s_waitcnt vmcnt(1)
	v_lshlrev_b32_e32 v18, 16, v1
	s_waitcnt vmcnt(0)
	v_lshlrev_b32_e32 v10, 16, v3
	s_or_b32 exec_lo, exec_lo, s4
	s_and_saveexec_b32 s4, s3
	s_cbranch_execz .LBB99_33
.LBB99_44:                              ;   in Loop: Header=BB99_3 Depth=1
	v_add_co_u32 v3, vcc_lo, v53, v25
	v_add_co_ci_u32_e32 v4, vcc_lo, v54, v26, vcc_lo
	v_add_co_u32 v5, vcc_lo, v55, v25
	v_add_co_ci_u32_e32 v6, vcc_lo, v56, v26, vcc_lo
	global_load_u16 v1, v[3:4], off
	global_load_u16 v3, v[5:6], off
	s_waitcnt vmcnt(1)
	v_lshlrev_b32_e32 v19, 16, v1
	s_waitcnt vmcnt(0)
	v_lshlrev_b32_e32 v11, 16, v3
	s_or_b32 exec_lo, exec_lo, s4
	s_and_saveexec_b32 s4, s3
	s_cbranch_execz .LBB99_34
.LBB99_45:                              ;   in Loop: Header=BB99_3 Depth=1
	v_add_co_u32 v3, vcc_lo, v49, v25
	v_add_co_ci_u32_e32 v4, vcc_lo, v50, v26, vcc_lo
	v_add_co_u32 v5, vcc_lo, v51, v25
	v_add_co_ci_u32_e32 v6, vcc_lo, v52, v26, vcc_lo
	global_load_u16 v1, v[3:4], off
	global_load_u16 v3, v[5:6], off
	s_waitcnt vmcnt(1)
	v_lshlrev_b32_e32 v20, 16, v1
	s_waitcnt vmcnt(0)
	v_lshlrev_b32_e32 v12, 16, v3
	s_or_b32 exec_lo, exec_lo, s4
	s_and_saveexec_b32 s4, s3
	s_cbranch_execz .LBB99_35
.LBB99_46:                              ;   in Loop: Header=BB99_3 Depth=1
	v_add_co_u32 v3, vcc_lo, v45, v25
	v_add_co_ci_u32_e32 v4, vcc_lo, v46, v26, vcc_lo
	v_add_co_u32 v5, vcc_lo, v47, v25
	v_add_co_ci_u32_e32 v6, vcc_lo, v48, v26, vcc_lo
	global_load_u16 v1, v[3:4], off
	global_load_u16 v3, v[5:6], off
	s_waitcnt vmcnt(1)
	v_lshlrev_b32_e32 v21, 16, v1
	s_waitcnt vmcnt(0)
	v_lshlrev_b32_e32 v13, 16, v3
	s_or_b32 exec_lo, exec_lo, s4
	s_and_saveexec_b32 s4, s3
	s_cbranch_execz .LBB99_36
.LBB99_47:                              ;   in Loop: Header=BB99_3 Depth=1
	v_add_co_u32 v3, vcc_lo, v41, v25
	v_add_co_ci_u32_e32 v4, vcc_lo, v42, v26, vcc_lo
	v_add_co_u32 v5, vcc_lo, v43, v25
	v_add_co_ci_u32_e32 v6, vcc_lo, v44, v26, vcc_lo
	global_load_u16 v1, v[3:4], off
	global_load_u16 v3, v[5:6], off
	s_waitcnt vmcnt(1)
	v_lshlrev_b32_e32 v22, 16, v1
	s_waitcnt vmcnt(0)
	v_lshlrev_b32_e32 v14, 16, v3
	s_or_b32 exec_lo, exec_lo, s4
	s_and_saveexec_b32 s4, s3
	s_cbranch_execz .LBB99_37
.LBB99_48:                              ;   in Loop: Header=BB99_3 Depth=1
	v_add_co_u32 v3, vcc_lo, v37, v25
	v_add_co_ci_u32_e32 v4, vcc_lo, v38, v26, vcc_lo
	v_add_co_u32 v5, vcc_lo, v39, v25
	v_add_co_ci_u32_e32 v6, vcc_lo, v40, v26, vcc_lo
	global_load_u16 v1, v[3:4], off
	global_load_u16 v3, v[5:6], off
	s_waitcnt vmcnt(1)
	v_lshlrev_b32_e32 v23, 16, v1
	s_waitcnt vmcnt(0)
	v_lshlrev_b32_e32 v15, 16, v3
	s_or_b32 exec_lo, exec_lo, s4
	s_and_saveexec_b32 s4, s3
	s_cbranch_execnz .LBB99_38
	s_branch .LBB99_39
.LBB99_49:
	s_mov_b32 s5, -1
                                        ; implicit-def: $vgpr6
                                        ; implicit-def: $vgpr61
.LBB99_50:
	s_delay_alu instid0(SALU_CYCLE_1)
	s_and_not1_b32 vcc_lo, exec_lo, s5
	s_cbranch_vccnz .LBB99_83
; %bb.51:
	v_dual_mov_b32 v6, 0 :: v_dual_mov_b32 v61, 0
	s_and_not1_b32 vcc_lo, exec_lo, s33
	s_mov_b32 s4, 0
	s_cbranch_vccnz .LBB99_83
; %bb.52:
	v_bfe_u32 v57, v0, 10, 10
	v_mov_b32_e32 v2, 0
	s_add_u32 s24, s0, 64
	s_addc_u32 s25, s1, 0
	s_lshl_b64 s[6:7], s[12:13], 1
	v_lshlrev_b32_e32 v3, 4, v57
	s_load_b32 s3, s[0:1], 0x44
	v_dual_mov_b32 v95, 0 :: v_dual_and_b32 v58, 0x3ff, v0
	v_mov_b32_e32 v60, v2
	s_delay_alu instid0(VALU_DEP_3) | instskip(NEXT) | instid1(VALU_DEP_1)
	v_add_co_u32 v3, s5, v3, s6
	v_add_co_ci_u32_e64 v4, null, 0, s7, s5
	s_delay_alu instid0(VALU_DEP_4) | instskip(NEXT) | instid1(VALU_DEP_3)
	v_add_nc_u32_e32 v1, s15, v58
	v_add_co_u32 v7, vcc_lo, v3, 2
	s_delay_alu instid0(VALU_DEP_3) | instskip(NEXT) | instid1(VALU_DEP_3)
	v_add_co_ci_u32_e32 v5, vcc_lo, 0, v4, vcc_lo
	v_lshlrev_b64 v[27:28], 1, v[1:2]
	v_add_co_u32 v1, vcc_lo, v3, 4
	s_delay_alu instid0(VALU_DEP_3) | instskip(SKIP_3) | instid1(VALU_DEP_3)
	v_mul_lo_u32 v8, s18, v5
	v_add_co_ci_u32_e32 v5, vcc_lo, 0, v4, vcc_lo
	v_add_co_u32 v11, vcc_lo, v3, 6
	v_dual_mov_b32 v94, 0 :: v_dual_lshlrev_b32 v59, 3, v57
	v_mul_lo_u32 v10, s18, v5
	v_add_co_ci_u32_e32 v5, vcc_lo, 0, v4, vcc_lo
	v_add_co_u32 v13, vcc_lo, v3, 8
	s_waitcnt lgkmcnt(0)
	s_lshl_b32 s15, s3, 3
	v_add_co_ci_u32_e32 v6, vcc_lo, 0, v4, vcc_lo
	v_add_co_u32 v17, vcc_lo, v3, 10
	s_mul_i32 s3, s19, s15
	s_mul_hi_u32 s5, s18, s15
	v_mul_lo_u32 v14, s18, v5
	v_add_co_ci_u32_e32 v5, vcc_lo, 0, v4, vcc_lo
	s_add_i32 s7, s5, s3
	v_add_co_u32 v19, vcc_lo, v3, 12
	v_add_co_u32 v24, s3, v59, s12
	v_mul_lo_u32 v16, s18, v6
	v_add_co_ci_u32_e32 v6, vcc_lo, 0, v4, vcc_lo
	v_add_co_ci_u32_e64 v55, null, 0, 0, s3
	v_add_co_u32 v56, vcc_lo, v3, 14
	v_mul_lo_u32 v20, s18, v5
	s_delay_alu instid0(VALU_DEP_4) | instskip(SKIP_4) | instid1(VALU_DEP_4)
	v_mul_lo_u32 v22, s18, v6
	v_add_co_ci_u32_e32 v5, vcc_lo, 0, v4, vcc_lo
	v_mul_lo_u32 v6, s19, v24
	v_mul_lo_u32 v41, s18, v55
	v_mad_u64_u32 v[3:4], null, s18, v24, 0
	v_mul_lo_u32 v61, s18, v5
	v_mad_u64_u32 v[25:26], null, s18, v7, s[20:21]
	;; [unrolled: 2-line block ×3, first 2 shown]
	v_add3_u32 v4, v4, v41, v6
	v_mul_lo_u32 v12, s19, v1
	v_mad_u64_u32 v[41:42], null, s18, v7, s[22:23]
	v_mad_u64_u32 v[43:44], null, s18, v1, s[22:23]
	s_delay_alu instid0(VALU_DEP_4) | instskip(SKIP_3) | instid1(VALU_DEP_4)
	v_lshlrev_b64 v[5:6], 1, v[3:4]
	v_mad_u64_u32 v[31:32], null, s18, v11, s[20:21]
	v_mul_lo_u32 v15, s19, v11
	v_mad_u64_u32 v[45:46], null, s18, v11, s[22:23]
	v_add_co_u32 v62, vcc_lo, s20, v5
	v_add_co_ci_u32_e32 v63, vcc_lo, s21, v6, vcc_lo
	v_add_co_u32 v1, vcc_lo, v24, 7
	v_add_co_ci_u32_e32 v7, vcc_lo, 0, v55, vcc_lo
	v_mad_u64_u32 v[33:34], null, s18, v13, s[20:21]
	v_mul_lo_u32 v18, s19, v13
	v_mad_u64_u32 v[47:48], null, s18, v13, s[22:23]
	v_add_co_u32 v13, vcc_lo, v24, 6
	v_add3_u32 v26, v9, v26, v8
	v_add3_u32 v30, v12, v30, v10
	;; [unrolled: 1-line block ×4, first 2 shown]
	v_mul_lo_u32 v11, s19, v1
	v_mul_lo_u32 v12, s18, v7
	v_mad_u64_u32 v[7:8], null, s18, v1, 0
	v_add_co_ci_u32_e32 v9, vcc_lo, 0, v55, vcc_lo
	v_mad_u64_u32 v[39:40], null, s18, v56, s[20:21]
	v_mul_lo_u32 v64, s19, v56
	v_mad_u64_u32 v[53:54], null, s18, v56, s[22:23]
	v_add3_u32 v32, v15, v32, v14
	v_add3_u32 v46, v15, v46, v14
	v_mul_lo_u32 v1, s19, v13
	v_mul_lo_u32 v14, s18, v9
	v_mad_u64_u32 v[9:10], null, s18, v13, 0
	v_add3_u32 v8, v8, v12, v11
	v_add3_u32 v40, v64, v40, v61
	;; [unrolled: 1-line block ×3, first 2 shown]
	v_add_co_u32 v64, vcc_lo, s22, v5
	v_add_co_ci_u32_e32 v65, vcc_lo, s23, v6, vcc_lo
	v_lshlrev_b64 v[5:6], 1, v[7:8]
	v_add3_u32 v10, v10, v14, v1
	v_add_co_u32 v1, vcc_lo, v24, 5
	v_add_co_ci_u32_e32 v11, vcc_lo, 0, v55, vcc_lo
	s_delay_alu instid0(VALU_DEP_4) | instskip(NEXT) | instid1(VALU_DEP_4)
	v_add_co_u32 v66, vcc_lo, s20, v5
	v_lshlrev_b64 v[7:8], 1, v[9:10]
	v_add_co_ci_u32_e32 v67, vcc_lo, s21, v6, vcc_lo
	v_mul_lo_u32 v12, s19, v1
	v_mul_lo_u32 v11, s18, v11
	v_mad_u64_u32 v[9:10], null, s18, v1, 0
	v_add_co_u32 v68, vcc_lo, s22, v5
	v_add_co_ci_u32_e32 v69, vcc_lo, s23, v6, vcc_lo
	v_add_co_u32 v70, vcc_lo, s20, v7
	v_add_co_ci_u32_e32 v71, vcc_lo, s21, v8, vcc_lo
	v_add_co_u32 v1, vcc_lo, v24, 4
	v_add3_u32 v10, v10, v11, v12
	v_add_co_u32 v72, s3, s22, v7
	v_add_co_ci_u32_e32 v7, vcc_lo, 0, v55, vcc_lo
	v_add_co_u32 v12, vcc_lo, v24, 3
	s_delay_alu instid0(VALU_DEP_4)
	v_lshlrev_b64 v[5:6], 1, v[9:10]
	v_add_co_ci_u32_e32 v9, vcc_lo, 0, v55, vcc_lo
	v_add_co_ci_u32_e64 v73, s3, s23, v8, s3
	v_mul_lo_u32 v11, s19, v1
	v_mul_lo_u32 v13, s18, v7
	v_mad_u64_u32 v[7:8], null, s18, v1, 0
	v_mul_lo_u32 v1, s19, v12
	v_mul_lo_u32 v14, s18, v9
	v_mad_u64_u32 v[9:10], null, s18, v12, 0
	v_add_co_u32 v74, vcc_lo, s20, v5
	v_add_co_ci_u32_e32 v75, vcc_lo, s21, v6, vcc_lo
	v_add3_u32 v8, v8, v13, v11
	v_add_co_u32 v76, vcc_lo, s22, v5
	v_add_co_ci_u32_e32 v77, vcc_lo, s23, v6, vcc_lo
	v_add3_u32 v10, v10, v14, v1
	v_add_co_u32 v1, vcc_lo, v24, 2
	v_lshlrev_b64 v[5:6], 1, v[7:8]
	v_add_co_ci_u32_e32 v11, vcc_lo, 0, v55, vcc_lo
	s_delay_alu instid0(VALU_DEP_4) | instskip(NEXT) | instid1(VALU_DEP_4)
	v_lshlrev_b64 v[7:8], 1, v[9:10]
	v_mul_lo_u32 v12, s19, v1
	v_mad_u64_u32 v[9:10], null, s18, v1, 0
	v_add_co_u32 v78, vcc_lo, s20, v5
	v_mul_lo_u32 v11, s18, v11
	v_add_co_ci_u32_e32 v79, vcc_lo, s21, v6, vcc_lo
	v_add_co_u32 v80, vcc_lo, s22, v5
	v_add_co_ci_u32_e32 v81, vcc_lo, s23, v6, vcc_lo
	v_add_co_u32 v82, vcc_lo, s20, v7
	v_add_co_ci_u32_e32 v83, vcc_lo, s21, v8, vcc_lo
	v_add3_u32 v10, v10, v11, v12
	v_add_co_u32 v84, vcc_lo, s22, v7
	v_add_co_ci_u32_e32 v85, vcc_lo, s23, v8, vcc_lo
	v_add_co_u32 v3, vcc_lo, v3, s18
	s_delay_alu instid0(VALU_DEP_4) | instskip(SKIP_3) | instid1(VALU_DEP_4)
	v_lshlrev_b64 v[5:6], 1, v[9:10]
	v_add_co_ci_u32_e32 v4, vcc_lo, s19, v4, vcc_lo
	v_mad_u64_u32 v[35:36], null, s18, v17, s[20:21]
	v_mul_lo_u32 v21, s19, v17
	v_add_co_u32 v86, vcc_lo, s20, v5
	s_delay_alu instid0(VALU_DEP_4)
	v_lshlrev_b64 v[3:4], 1, v[3:4]
	v_add_co_ci_u32_e32 v87, vcc_lo, s21, v6, vcc_lo
	v_mad_u64_u32 v[37:38], null, s18, v19, s[20:21]
	v_mul_lo_u32 v23, s19, v19
	v_mad_u64_u32 v[49:50], null, s18, v17, s[22:23]
	v_mad_u64_u32 v[51:52], null, s18, v19, s[22:23]
	v_add_co_u32 v88, vcc_lo, s22, v5
	v_add_co_ci_u32_e32 v89, vcc_lo, s23, v6, vcc_lo
	v_add_co_u32 v90, vcc_lo, s20, v3
	v_add_co_ci_u32_e32 v91, vcc_lo, s21, v4, vcc_lo
	v_add_co_u32 v92, vcc_lo, s22, v3
	v_add3_u32 v34, v18, v34, v16
	v_add3_u32 v36, v21, v36, v20
	;; [unrolled: 1-line block ×6, first 2 shown]
	v_add_co_ci_u32_e32 v93, vcc_lo, s23, v4, vcc_lo
	s_mul_i32 s6, s18, s15
	s_mov_b64 s[22:23], 7
	s_lshl_b64 s[20:21], s[6:7], 1
	s_mov_b64 s[26:27], s[12:13]
.LBB99_53:                              ; =>This Inner Loop Header: Depth=1
	s_add_u32 s6, s12, s22
	s_addc_u32 s7, 0, s23
	v_add_co_u32 v55, vcc_lo, s12, v59
	v_cmp_ge_i64_e64 s3, s[6:7], s[16:17]
	v_add_co_ci_u32_e32 v56, vcc_lo, 0, v60, vcc_lo
	s_delay_alu instid0(VALU_DEP_2)
	s_and_b32 vcc_lo, exec_lo, s3
	s_cbranch_vccz .LBB99_75
; %bb.54:                               ;   in Loop: Header=BB99_53 Depth=1
	s_load_b32 s3, s[24:25], 0xc
	v_dual_mov_b32 v61, 0 :: v_dual_mov_b32 v96, 0
	s_waitcnt lgkmcnt(0)
	s_and_b32 s3, s3, 0xffff
	s_delay_alu instid0(SALU_CYCLE_1) | instskip(SKIP_1) | instid1(VALU_DEP_1)
	v_mad_u32_u24 v1, v57, s3, v58
	s_mov_b32 s3, exec_lo
	v_and_b32_e32 v1, 31, v1
	s_delay_alu instid0(VALU_DEP_1)
	v_cmpx_gt_u32_e32 8, v1
	s_cbranch_execz .LBB99_58
; %bb.55:                               ;   in Loop: Header=BB99_53 Depth=1
	v_add_co_u32 v3, vcc_lo, v55, v1
	v_add_co_ci_u32_e32 v4, vcc_lo, 0, v56, vcc_lo
	v_dual_mov_b32 v96, 0 :: v_dual_mov_b32 v61, 0
	s_mov_b32 s5, exec_lo
	s_delay_alu instid0(VALU_DEP_2)
	v_cmpx_gt_i64_e64 s[16:17], v[3:4]
	s_cbranch_execz .LBB99_57
; %bb.56:                               ;   in Loop: Header=BB99_53 Depth=1
	v_lshlrev_b64 v[3:4], 2, v[3:4]
	s_delay_alu instid0(VALU_DEP_1) | instskip(NEXT) | instid1(VALU_DEP_2)
	v_add_co_u32 v5, vcc_lo, s36, v3
	v_add_co_ci_u32_e32 v6, vcc_lo, s37, v4, vcc_lo
	v_add_co_u32 v3, vcc_lo, s38, v3
	v_add_co_ci_u32_e32 v4, vcc_lo, s39, v4, vcc_lo
	global_load_b32 v96, v[5:6], off
	global_load_b32 v61, v[3:4], off
.LBB99_57:                              ;   in Loop: Header=BB99_53 Depth=1
	s_or_b32 exec_lo, exec_lo, s5
.LBB99_58:                              ;   in Loop: Header=BB99_53 Depth=1
	s_delay_alu instid0(SALU_CYCLE_1)
	s_or_b32 exec_lo, exec_lo, s3
	s_mov_b32 s11, s4
	s_mov_b32 s5, s4
	;; [unrolled: 1-line block ×7, first 2 shown]
	s_delay_alu instid0(SALU_CYCLE_1) | instskip(SKIP_3) | instid1(VALU_DEP_4)
	v_dual_mov_b32 v16, s11 :: v_dual_mov_b32 v15, s10
	v_dual_mov_b32 v14, s9 :: v_dual_mov_b32 v13, s8
	;; [unrolled: 1-line block ×5, first 2 shown]
	s_delay_alu instid0(VALU_DEP_4) | instskip(NEXT) | instid1(VALU_DEP_4)
	v_dual_mov_b32 v22, v14 :: v_dual_mov_b32 v21, v13
	v_dual_mov_b32 v20, v12 :: v_dual_mov_b32 v19, v11
	s_delay_alu instid0(VALU_DEP_4)
	v_dual_mov_b32 v18, v10 :: v_dual_mov_b32 v17, v9
	s_mov_b32 s3, exec_lo
	v_cmpx_gt_i64_e64 s[16:17], v[55:56]
	s_cbranch_execz .LBB99_60
; %bb.59:                               ;   in Loop: Header=BB99_53 Depth=1
	v_add_co_u32 v3, vcc_lo, v62, v27
	v_add_co_ci_u32_e32 v4, vcc_lo, v63, v28, vcc_lo
	v_add_co_u32 v5, vcc_lo, v64, v27
	v_add_co_ci_u32_e32 v6, vcc_lo, v65, v28, vcc_lo
	v_mov_b32_e32 v8, v2
	global_load_u16 v1, v[3:4], off
	global_load_u16 v9, v[5:6], off
	v_mov_b32_e32 v3, v2
	v_mov_b32_e32 v4, v2
	;; [unrolled: 1-line block ×6, first 2 shown]
	s_waitcnt vmcnt(1)
	v_lshlrev_b32_e32 v1, 16, v1
	s_waitcnt vmcnt(0)
	v_lshlrev_b32_e32 v9, 16, v9
	v_dual_mov_b32 v11, v2 :: v_dual_mov_b32 v24, v8
	v_dual_mov_b32 v10, v2 :: v_dual_mov_b32 v23, v7
	;; [unrolled: 1-line block ×6, first 2 shown]
	v_mov_b32_e32 v22, v6
	v_mov_b32_e32 v18, v2
.LBB99_60:                              ;   in Loop: Header=BB99_53 Depth=1
	s_or_b32 exec_lo, exec_lo, s3
	v_add_co_u32 v3, vcc_lo, v55, 1
	v_add_co_ci_u32_e32 v4, vcc_lo, 0, v56, vcc_lo
	s_mov_b32 s3, exec_lo
	s_delay_alu instid0(VALU_DEP_1)
	v_cmpx_gt_i64_e64 s[16:17], v[3:4]
	s_cbranch_execz .LBB99_62
; %bb.61:                               ;   in Loop: Header=BB99_53 Depth=1
	v_add_co_u32 v3, vcc_lo, v90, v27
	v_add_co_ci_u32_e32 v4, vcc_lo, v91, v28, vcc_lo
	v_add_co_u32 v5, vcc_lo, v92, v27
	v_add_co_ci_u32_e32 v6, vcc_lo, v93, v28, vcc_lo
	global_load_u16 v1, v[3:4], off
	global_load_u16 v3, v[5:6], off
	s_waitcnt vmcnt(1)
	v_lshlrev_b32_e32 v18, 16, v1
	s_waitcnt vmcnt(0)
	v_lshlrev_b32_e32 v10, 16, v3
.LBB99_62:                              ;   in Loop: Header=BB99_53 Depth=1
	s_or_b32 exec_lo, exec_lo, s3
	v_add_co_u32 v3, vcc_lo, v55, 2
	v_add_co_ci_u32_e32 v4, vcc_lo, 0, v56, vcc_lo
	s_mov_b32 s3, exec_lo
	s_delay_alu instid0(VALU_DEP_1)
	v_cmpx_gt_i64_e64 s[16:17], v[3:4]
	s_cbranch_execz .LBB99_64
; %bb.63:                               ;   in Loop: Header=BB99_53 Depth=1
	v_add_co_u32 v3, vcc_lo, v86, v27
	v_add_co_ci_u32_e32 v4, vcc_lo, v87, v28, vcc_lo
	v_add_co_u32 v5, vcc_lo, v88, v27
	v_add_co_ci_u32_e32 v6, vcc_lo, v89, v28, vcc_lo
	global_load_u16 v1, v[3:4], off
	global_load_u16 v3, v[5:6], off
	s_waitcnt vmcnt(1)
	v_lshlrev_b32_e32 v19, 16, v1
	s_waitcnt vmcnt(0)
	v_lshlrev_b32_e32 v11, 16, v3
.LBB99_64:                              ;   in Loop: Header=BB99_53 Depth=1
	s_or_b32 exec_lo, exec_lo, s3
	v_add_co_u32 v3, vcc_lo, v55, 3
	v_add_co_ci_u32_e32 v4, vcc_lo, 0, v56, vcc_lo
	s_mov_b32 s3, exec_lo
	s_delay_alu instid0(VALU_DEP_1)
	v_cmpx_gt_i64_e64 s[16:17], v[3:4]
	s_cbranch_execz .LBB99_66
; %bb.65:                               ;   in Loop: Header=BB99_53 Depth=1
	v_add_co_u32 v3, vcc_lo, v82, v27
	v_add_co_ci_u32_e32 v4, vcc_lo, v83, v28, vcc_lo
	v_add_co_u32 v5, vcc_lo, v84, v27
	v_add_co_ci_u32_e32 v6, vcc_lo, v85, v28, vcc_lo
	global_load_u16 v1, v[3:4], off
	global_load_u16 v3, v[5:6], off
	s_waitcnt vmcnt(1)
	v_lshlrev_b32_e32 v20, 16, v1
	s_waitcnt vmcnt(0)
	v_lshlrev_b32_e32 v12, 16, v3
.LBB99_66:                              ;   in Loop: Header=BB99_53 Depth=1
	s_or_b32 exec_lo, exec_lo, s3
	v_add_co_u32 v3, vcc_lo, v55, 4
	v_add_co_ci_u32_e32 v4, vcc_lo, 0, v56, vcc_lo
	s_mov_b32 s3, exec_lo
	s_delay_alu instid0(VALU_DEP_1)
	v_cmpx_gt_i64_e64 s[16:17], v[3:4]
	s_cbranch_execz .LBB99_68
; %bb.67:                               ;   in Loop: Header=BB99_53 Depth=1
	v_add_co_u32 v3, vcc_lo, v78, v27
	v_add_co_ci_u32_e32 v4, vcc_lo, v79, v28, vcc_lo
	v_add_co_u32 v5, vcc_lo, v80, v27
	v_add_co_ci_u32_e32 v6, vcc_lo, v81, v28, vcc_lo
	global_load_u16 v1, v[3:4], off
	global_load_u16 v3, v[5:6], off
	s_waitcnt vmcnt(1)
	v_lshlrev_b32_e32 v21, 16, v1
	s_waitcnt vmcnt(0)
	v_lshlrev_b32_e32 v13, 16, v3
.LBB99_68:                              ;   in Loop: Header=BB99_53 Depth=1
	s_or_b32 exec_lo, exec_lo, s3
	v_add_co_u32 v3, vcc_lo, v55, 5
	v_add_co_ci_u32_e32 v4, vcc_lo, 0, v56, vcc_lo
	s_mov_b32 s3, exec_lo
	s_delay_alu instid0(VALU_DEP_1)
	v_cmpx_gt_i64_e64 s[16:17], v[3:4]
	s_cbranch_execz .LBB99_70
; %bb.69:                               ;   in Loop: Header=BB99_53 Depth=1
	v_add_co_u32 v3, vcc_lo, v74, v27
	v_add_co_ci_u32_e32 v4, vcc_lo, v75, v28, vcc_lo
	v_add_co_u32 v5, vcc_lo, v76, v27
	v_add_co_ci_u32_e32 v6, vcc_lo, v77, v28, vcc_lo
	global_load_u16 v1, v[3:4], off
	global_load_u16 v3, v[5:6], off
	s_waitcnt vmcnt(1)
	v_lshlrev_b32_e32 v22, 16, v1
	s_waitcnt vmcnt(0)
	v_lshlrev_b32_e32 v14, 16, v3
.LBB99_70:                              ;   in Loop: Header=BB99_53 Depth=1
	s_or_b32 exec_lo, exec_lo, s3
	v_add_co_u32 v3, vcc_lo, v55, 6
	v_add_co_ci_u32_e32 v4, vcc_lo, 0, v56, vcc_lo
	s_mov_b32 s3, exec_lo
	s_delay_alu instid0(VALU_DEP_1)
	v_cmpx_gt_i64_e64 s[16:17], v[3:4]
	s_cbranch_execz .LBB99_72
; %bb.71:                               ;   in Loop: Header=BB99_53 Depth=1
	v_add_co_u32 v3, vcc_lo, v70, v27
	v_add_co_ci_u32_e32 v4, vcc_lo, v71, v28, vcc_lo
	v_add_co_u32 v5, vcc_lo, v72, v27
	v_add_co_ci_u32_e32 v6, vcc_lo, v73, v28, vcc_lo
	global_load_u16 v1, v[3:4], off
	global_load_u16 v3, v[5:6], off
	s_waitcnt vmcnt(1)
	v_lshlrev_b32_e32 v23, 16, v1
	s_waitcnt vmcnt(0)
	v_lshlrev_b32_e32 v15, 16, v3
.LBB99_72:                              ;   in Loop: Header=BB99_53 Depth=1
	s_or_b32 exec_lo, exec_lo, s3
	v_add_co_u32 v3, vcc_lo, v55, 7
	v_add_co_ci_u32_e32 v4, vcc_lo, 0, v56, vcc_lo
	s_mov_b32 s3, exec_lo
	s_delay_alu instid0(VALU_DEP_1)
	v_cmpx_gt_i64_e64 s[16:17], v[3:4]
	s_cbranch_execz .LBB99_74
; %bb.73:                               ;   in Loop: Header=BB99_53 Depth=1
	v_add_co_u32 v3, vcc_lo, v66, v27
	v_add_co_ci_u32_e32 v4, vcc_lo, v67, v28, vcc_lo
	v_add_co_u32 v5, vcc_lo, v68, v27
	v_add_co_ci_u32_e32 v6, vcc_lo, v69, v28, vcc_lo
	global_load_u16 v1, v[3:4], off
	global_load_u16 v3, v[5:6], off
	s_waitcnt vmcnt(1)
	v_lshlrev_b32_e32 v24, 16, v1
	s_waitcnt vmcnt(0)
	v_lshlrev_b32_e32 v16, 16, v3
.LBB99_74:                              ;   in Loop: Header=BB99_53 Depth=1
	s_or_b32 exec_lo, exec_lo, s3
	s_waitcnt vmcnt(1)
	ds_bpermute_b32 v1, v2, v96
	ds_bpermute_b32 v3, v2, v96 offset:4
	ds_bpermute_b32 v4, v2, v96 offset:8
	s_waitcnt vmcnt(0)
	ds_bpermute_b32 v5, v2, v61
	ds_bpermute_b32 v8, v2, v61 offset:4
	ds_bpermute_b32 v100, v2, v96 offset:20
	;; [unrolled: 1-line block ×6, first 2 shown]
	s_waitcnt lgkmcnt(7)
	v_dual_sub_f32 v1, v9, v1 :: v_dual_sub_f32 v4, v11, v4
	v_sub_f32_e32 v3, v10, v3
	ds_bpermute_b32 v10, v2, v61 offset:16
	s_waitcnt lgkmcnt(5)
	v_sub_f32_e32 v11, v14, v100
	v_dual_mul_f32 v4, v19, v4 :: v_dual_mul_f32 v3, v18, v3
	v_mul_f32_e32 v1, v17, v1
	s_delay_alu instid0(VALU_DEP_3) | instskip(NEXT) | instid1(VALU_DEP_2)
	v_mul_f32_e32 v11, v22, v11
	v_fma_f32 v6, v1, v5, v94
	ds_bpermute_b32 v1, v2, v61 offset:20
	s_waitcnt lgkmcnt(5)
	v_sub_f32_e32 v7, v12, v7
	ds_bpermute_b32 v5, v2, v96 offset:28
	v_fmac_f32_e32 v6, v3, v8
	v_add_f32_e32 v9, v95, v17
	ds_bpermute_b32 v17, v2, v96 offset:24
	ds_bpermute_b32 v8, v2, v61 offset:24
	s_waitcnt lgkmcnt(7)
	v_fmac_f32_e32 v6, v4, v98
	ds_bpermute_b32 v4, v2, v61 offset:28
	v_mul_f32_e32 v7, v20, v7
	s_waitcnt lgkmcnt(7)
	s_delay_alu instid0(VALU_DEP_1) | instskip(NEXT) | instid1(VALU_DEP_1)
	v_dual_add_f32 v3, v18, v9 :: v_dual_fmac_f32 v6, v7, v99
	v_add_f32_e32 v3, v19, v3
	s_delay_alu instid0(VALU_DEP_1)
	v_add_f32_e32 v3, v20, v3
	s_waitcnt lgkmcnt(3)
	v_sub_f32_e32 v5, v16, v5
	s_waitcnt lgkmcnt(2)
	v_sub_f32_e32 v7, v15, v17
	v_add_f32_e32 v3, v21, v3
	s_delay_alu instid0(VALU_DEP_2) | instskip(SKIP_1) | instid1(VALU_DEP_1)
	v_mul_f32_e32 v7, v23, v7
	v_sub_f32_e32 v9, v13, v97
	v_mul_f32_e32 v9, v21, v9
	s_delay_alu instid0(VALU_DEP_1) | instskip(NEXT) | instid1(VALU_DEP_1)
	v_fmac_f32_e32 v6, v9, v10
	v_dual_fmac_f32 v6, v11, v1 :: v_dual_add_f32 v1, v22, v3
	s_waitcnt lgkmcnt(1)
	s_delay_alu instid0(VALU_DEP_1) | instskip(NEXT) | instid1(VALU_DEP_2)
	v_dual_mul_f32 v3, v24, v5 :: v_dual_fmac_f32 v6, v7, v8
	v_add_f32_e32 v1, v23, v1
	s_waitcnt lgkmcnt(0)
	s_delay_alu instid0(VALU_DEP_1)
	v_dual_fmac_f32 v6, v3, v4 :: v_dual_add_f32 v61, v24, v1
	s_branch .LBB99_81
.LBB99_75:                              ;   in Loop: Header=BB99_53 Depth=1
                                        ; implicit-def: $vgpr61
                                        ; implicit-def: $vgpr6
	s_cbranch_execz .LBB99_81
; %bb.76:                               ;   in Loop: Header=BB99_53 Depth=1
	s_load_b32 s3, s[24:25], 0x0
	v_mov_b32_e32 v5, 0
	s_waitcnt lgkmcnt(0)
	s_cmp_lt_u32 s14, s3
	s_cselect_b32 s3, 12, 18
	s_delay_alu instid0(SALU_CYCLE_1)
	s_add_u32 s6, s24, s3
	s_addc_u32 s7, s25, 0
	s_mov_b32 s3, exec_lo
	global_load_u16 v1, v2, s[6:7]
	s_waitcnt vmcnt(0)
	v_mad_u32_u24 v1, v57, v1, v58
	s_delay_alu instid0(VALU_DEP_1) | instskip(SKIP_1) | instid1(VALU_DEP_2)
	v_and_b32_e32 v3, 31, v1
	v_mov_b32_e32 v1, 0
	v_cmpx_gt_u32_e32 8, v3
	s_cbranch_execz .LBB99_80
; %bb.77:                               ;   in Loop: Header=BB99_53 Depth=1
	v_add_co_u32 v3, vcc_lo, v55, v3
	v_add_co_ci_u32_e32 v4, vcc_lo, 0, v56, vcc_lo
	v_mov_b32_e32 v1, 0
	v_mov_b32_e32 v5, 0
	s_mov_b32 s5, exec_lo
	s_delay_alu instid0(VALU_DEP_3)
	v_cmpx_gt_i64_e64 s[16:17], v[3:4]
	s_cbranch_execz .LBB99_79
; %bb.78:                               ;   in Loop: Header=BB99_53 Depth=1
	v_lshlrev_b64 v[3:4], 2, v[3:4]
	s_delay_alu instid0(VALU_DEP_1) | instskip(NEXT) | instid1(VALU_DEP_2)
	v_add_co_u32 v5, vcc_lo, s36, v3
	v_add_co_ci_u32_e32 v6, vcc_lo, s37, v4, vcc_lo
	v_add_co_u32 v3, vcc_lo, s38, v3
	v_add_co_ci_u32_e32 v4, vcc_lo, s39, v4, vcc_lo
	global_load_b32 v1, v[5:6], off
	global_load_b32 v5, v[3:4], off
.LBB99_79:                              ;   in Loop: Header=BB99_53 Depth=1
	s_or_b32 exec_lo, exec_lo, s5
.LBB99_80:                              ;   in Loop: Header=BB99_53 Depth=1
	s_delay_alu instid0(SALU_CYCLE_1)
	s_or_b32 exec_lo, exec_lo, s3
	v_add_co_u32 v3, vcc_lo, v62, v27
	v_add_co_ci_u32_e32 v4, vcc_lo, v63, v28, vcc_lo
	s_waitcnt vmcnt(1)
	ds_bpermute_b32 v21, v2, v1
	global_load_u16 v3, v[3:4], off
	s_waitcnt vmcnt(0)
	v_lshlrev_b32_e32 v6, 16, v3
	v_add_co_u32 v3, vcc_lo, v64, v27
	v_add_co_ci_u32_e32 v4, vcc_lo, v65, v28, vcc_lo
	global_load_u16 v3, v[3:4], off
	s_waitcnt vmcnt(0)
	v_lshlrev_b32_e32 v7, 16, v3
	v_add_co_u32 v3, vcc_lo, v25, v27
	v_add_co_ci_u32_e32 v4, vcc_lo, v26, v28, vcc_lo
	s_waitcnt lgkmcnt(0)
	s_delay_alu instid0(VALU_DEP_3)
	v_sub_f32_e32 v7, v7, v21
	global_load_u16 v3, v[3:4], off
	s_waitcnt vmcnt(0)
	v_dual_mul_f32 v7, v7, v6 :: v_dual_lshlrev_b32 v8, 16, v3
	v_add_co_u32 v3, vcc_lo, v41, v27
	v_add_co_ci_u32_e32 v4, vcc_lo, v42, v28, vcc_lo
	global_load_u16 v3, v[3:4], off
	s_waitcnt vmcnt(0)
	v_lshlrev_b32_e32 v9, 16, v3
	v_add_co_u32 v3, vcc_lo, v29, v27
	v_add_co_ci_u32_e32 v4, vcc_lo, v30, v28, vcc_lo
	global_load_u16 v3, v[3:4], off
	s_waitcnt vmcnt(0)
	v_lshlrev_b32_e32 v10, 16, v3
	;; [unrolled: 5-line block ×12, first 2 shown]
	v_add_co_u32 v3, vcc_lo, v53, v27
	v_add_co_ci_u32_e32 v4, vcc_lo, v54, v28, vcc_lo
	global_load_u16 v3, v[3:4], off
	ds_bpermute_b32 v4, v2, v5
	s_waitcnt lgkmcnt(0)
	v_fmac_f32_e32 v94, v7, v4
	ds_bpermute_b32 v7, v2, v1 offset:4
	v_add_f32_e32 v4, v95, v6
	ds_bpermute_b32 v6, v2, v5 offset:4
	s_waitcnt lgkmcnt(1)
	v_dual_add_f32 v4, v4, v8 :: v_dual_sub_f32 v7, v9, v7
	s_delay_alu instid0(VALU_DEP_1) | instskip(SKIP_1) | instid1(VALU_DEP_1)
	v_dual_mul_f32 v7, v7, v8 :: v_dual_add_f32 v4, v4, v10
	s_waitcnt lgkmcnt(0)
	v_fmac_f32_e32 v94, v7, v6
	ds_bpermute_b32 v7, v2, v1 offset:8
	ds_bpermute_b32 v6, v2, v5 offset:8
	s_waitcnt lgkmcnt(1)
	v_sub_f32_e32 v7, v11, v7
	s_delay_alu instid0(VALU_DEP_1) | instskip(SKIP_1) | instid1(VALU_DEP_1)
	v_dual_mul_f32 v7, v7, v10 :: v_dual_add_f32 v4, v4, v12
	s_waitcnt lgkmcnt(0)
	v_fmac_f32_e32 v94, v7, v6
	ds_bpermute_b32 v7, v2, v1 offset:12
	ds_bpermute_b32 v6, v2, v5 offset:12
	s_waitcnt lgkmcnt(1)
	v_sub_f32_e32 v7, v13, v7
	s_delay_alu instid0(VALU_DEP_1) | instskip(SKIP_1) | instid1(VALU_DEP_1)
	v_dual_mul_f32 v7, v7, v12 :: v_dual_add_f32 v4, v4, v14
	s_waitcnt lgkmcnt(0)
	v_fmac_f32_e32 v94, v7, v6
	ds_bpermute_b32 v7, v2, v1 offset:16
	ds_bpermute_b32 v6, v2, v5 offset:16
	s_waitcnt lgkmcnt(1)
	v_sub_f32_e32 v7, v15, v7
	s_delay_alu instid0(VALU_DEP_1) | instskip(SKIP_1) | instid1(VALU_DEP_1)
	v_dual_mul_f32 v7, v7, v14 :: v_dual_add_f32 v4, v4, v16
	s_waitcnt lgkmcnt(0)
	v_fmac_f32_e32 v94, v7, v6
	ds_bpermute_b32 v7, v2, v1 offset:20
	ds_bpermute_b32 v6, v2, v5 offset:20
	s_waitcnt lgkmcnt(1)
	v_sub_f32_e32 v7, v17, v7
	s_delay_alu instid0(VALU_DEP_1) | instskip(SKIP_1) | instid1(VALU_DEP_1)
	v_dual_mul_f32 v7, v7, v16 :: v_dual_add_f32 v4, v4, v18
	s_waitcnt lgkmcnt(0)
	v_fmac_f32_e32 v94, v7, v6
	ds_bpermute_b32 v7, v2, v1 offset:24
	ds_bpermute_b32 v1, v2, v1 offset:28
	;; [unrolled: 1-line block ×4, first 2 shown]
	s_waitcnt lgkmcnt(3)
	v_sub_f32_e32 v7, v19, v7
	s_delay_alu instid0(VALU_DEP_1) | instskip(SKIP_4) | instid1(VALU_DEP_1)
	v_mul_f32_e32 v7, v7, v18
	v_add_f32_e32 v61, v4, v20
	s_waitcnt vmcnt(0)
	v_lshlrev_b32_e32 v3, 16, v3
	s_waitcnt lgkmcnt(2)
	v_sub_f32_e32 v1, v3, v1
	s_waitcnt lgkmcnt(1)
	s_delay_alu instid0(VALU_DEP_1) | instskip(SKIP_1) | instid1(VALU_DEP_1)
	v_dual_mul_f32 v1, v1, v20 :: v_dual_fmac_f32 v94, v7, v6
	s_waitcnt lgkmcnt(0)
	v_fmac_f32_e32 v94, v1, v5
	s_delay_alu instid0(VALU_DEP_1)
	v_mov_b32_e32 v6, v94
.LBB99_81:                              ;   in Loop: Header=BB99_53 Depth=1
	v_add_co_u32 v59, vcc_lo, v59, s15
	v_add_co_ci_u32_e32 v60, vcc_lo, 0, v60, vcc_lo
	v_add_co_u32 v25, vcc_lo, v25, s20
	v_add_co_ci_u32_e32 v26, vcc_lo, s21, v26, vcc_lo
	;; [unrolled: 2-line block ×28, first 2 shown]
	v_add_co_u32 v88, vcc_lo, v88, s20
	s_add_u32 s26, s26, s15
	v_add_co_ci_u32_e32 v89, vcc_lo, s21, v89, vcc_lo
	s_addc_u32 s27, s27, 0
	v_add_co_u32 v90, vcc_lo, v90, s20
	v_add_co_ci_u32_e32 v91, vcc_lo, s21, v91, vcc_lo
	v_cmp_ge_i64_e64 s3, s[26:27], s[16:17]
	v_add_co_u32 v92, vcc_lo, v92, s20
	v_add_co_ci_u32_e32 v93, vcc_lo, s21, v93, vcc_lo
	s_add_u32 s22, s22, s15
	s_addc_u32 s23, s23, 0
	s_delay_alu instid0(VALU_DEP_3)
	s_and_b32 vcc_lo, exec_lo, s3
	s_cbranch_vccnz .LBB99_83
; %bb.82:                               ;   in Loop: Header=BB99_53 Depth=1
	v_dual_mov_b32 v95, v61 :: v_dual_mov_b32 v94, v6
	s_branch .LBB99_53
.LBB99_83:
	v_and_b32_e32 v1, 0x3ff, v0
	s_mov_b32 s15, 0
	s_mov_b32 s3, exec_lo
	s_lshl_b64 s[4:5], s[14:15], 6
	s_delay_alu instid0(SALU_CYCLE_1) | instskip(SKIP_1) | instid1(VALU_DEP_1)
	v_mov_b32_e32 v5, s5
	v_or_b32_e32 v4, s4, v1
	v_cmpx_gt_i64_e64 s[18:19], v[4:5]
	s_cbranch_execz .LBB99_88
; %bb.84:
	s_clause 0x1
	s_load_b32 s3, s[0:1], 0x4c
	s_load_b128 s[4:7], s[0:1], 0x30
	v_bfe_u32 v0, v0, 10, 10
	v_mov_b32_e32 v1, 0
	s_waitcnt lgkmcnt(0)
	s_lshr_b32 s0, s3, 16
	s_cmp_eq_u64 s[4:5], 0
	s_delay_alu instid0(VALU_DEP_1) | instskip(SKIP_1) | instid1(VALU_DEP_2)
	v_mad_u64_u32 v[2:3], null, s0, s2, v[0:1]
	v_lshlrev_b64 v[0:1], 1, v[4:5]
	v_mul_lo_u32 v3, v3, s18
	s_delay_alu instid0(VALU_DEP_3)
	v_mul_lo_u32 v7, v2, s19
	s_cbranch_scc1 .LBB99_86
; %bb.85:
	v_mad_u64_u32 v[4:5], null, v2, s18, 0
	v_bfe_u32 v8, v6, 16, 1
	s_delay_alu instid0(VALU_DEP_1) | instskip(NEXT) | instid1(VALU_DEP_3)
	v_add3_u32 v8, v6, v8, 0x7fff
	v_add3_u32 v5, v5, v7, v3
	s_delay_alu instid0(VALU_DEP_2) | instskip(NEXT) | instid1(VALU_DEP_2)
	v_lshrrev_b32_e32 v8, 16, v8
	v_lshlrev_b64 v[4:5], 1, v[4:5]
	s_delay_alu instid0(VALU_DEP_1) | instskip(NEXT) | instid1(VALU_DEP_2)
	v_add_co_u32 v4, vcc_lo, s4, v4
	v_add_co_ci_u32_e32 v5, vcc_lo, s5, v5, vcc_lo
	v_cmp_o_f32_e32 vcc_lo, v6, v6
	v_cndmask_b32_e32 v6, 0x7fc0, v8, vcc_lo
	s_delay_alu instid0(VALU_DEP_4) | instskip(NEXT) | instid1(VALU_DEP_4)
	v_add_co_u32 v4, vcc_lo, v4, v0
	v_add_co_ci_u32_e32 v5, vcc_lo, v5, v1, vcc_lo
	global_store_b16 v[4:5], v6, off
.LBB99_86:
	s_cmp_eq_u64 s[6:7], 0
	s_cbranch_scc1 .LBB99_88
; %bb.87:
	v_mad_u64_u32 v[4:5], null, v2, s18, 0
	v_bfe_u32 v2, v61, 16, 1
	s_delay_alu instid0(VALU_DEP_1) | instskip(NEXT) | instid1(VALU_DEP_3)
	v_add3_u32 v6, v61, v2, 0x7fff
	v_add3_u32 v5, v5, v7, v3
	s_delay_alu instid0(VALU_DEP_1) | instskip(NEXT) | instid1(VALU_DEP_3)
	v_lshlrev_b64 v[2:3], 1, v[4:5]
	v_lshrrev_b32_e32 v4, 16, v6
	s_delay_alu instid0(VALU_DEP_2) | instskip(NEXT) | instid1(VALU_DEP_3)
	v_add_co_u32 v2, vcc_lo, s6, v2
	v_add_co_ci_u32_e32 v3, vcc_lo, s7, v3, vcc_lo
	v_cmp_o_f32_e32 vcc_lo, v61, v61
	s_delay_alu instid0(VALU_DEP_4) | instskip(NEXT) | instid1(VALU_DEP_4)
	v_cndmask_b32_e32 v4, 0x7fc0, v4, vcc_lo
	v_add_co_u32 v0, vcc_lo, v2, v0
	s_delay_alu instid0(VALU_DEP_4)
	v_add_co_ci_u32_e32 v1, vcc_lo, v3, v1, vcc_lo
	global_store_b16 v[0:1], v4, off
.LBB99_88:
	s_nop 0
	s_sendmsg sendmsg(MSG_DEALLOC_VGPRS)
	s_endpgm
	.section	.rodata,"a",@progbits
	.p2align	6, 0x0
	.amdhsa_kernel _ZN2at6native12_GLOBAL__N_135GammaBetaBackwardCUDAKernelTemplateIN3c108BFloat16EfLj64ELj1ELj8ELb1ELb0ELb0EEEvllPKT_S7_PKT0_SA_PS5_SB_
		.amdhsa_group_segment_fixed_size 0
		.amdhsa_private_segment_fixed_size 0
		.amdhsa_kernarg_size 320
		.amdhsa_user_sgpr_count 14
		.amdhsa_user_sgpr_dispatch_ptr 0
		.amdhsa_user_sgpr_queue_ptr 0
		.amdhsa_user_sgpr_kernarg_segment_ptr 1
		.amdhsa_user_sgpr_dispatch_id 0
		.amdhsa_user_sgpr_private_segment_size 0
		.amdhsa_wavefront_size32 1
		.amdhsa_uses_dynamic_stack 0
		.amdhsa_enable_private_segment 0
		.amdhsa_system_sgpr_workgroup_id_x 1
		.amdhsa_system_sgpr_workgroup_id_y 1
		.amdhsa_system_sgpr_workgroup_id_z 0
		.amdhsa_system_sgpr_workgroup_info 0
		.amdhsa_system_vgpr_workitem_id 1
		.amdhsa_next_free_vgpr 101
		.amdhsa_next_free_sgpr 41
		.amdhsa_reserve_vcc 1
		.amdhsa_float_round_mode_32 0
		.amdhsa_float_round_mode_16_64 0
		.amdhsa_float_denorm_mode_32 3
		.amdhsa_float_denorm_mode_16_64 3
		.amdhsa_dx10_clamp 1
		.amdhsa_ieee_mode 1
		.amdhsa_fp16_overflow 0
		.amdhsa_workgroup_processor_mode 1
		.amdhsa_memory_ordered 1
		.amdhsa_forward_progress 0
		.amdhsa_shared_vgpr_count 0
		.amdhsa_exception_fp_ieee_invalid_op 0
		.amdhsa_exception_fp_denorm_src 0
		.amdhsa_exception_fp_ieee_div_zero 0
		.amdhsa_exception_fp_ieee_overflow 0
		.amdhsa_exception_fp_ieee_underflow 0
		.amdhsa_exception_fp_ieee_inexact 0
		.amdhsa_exception_int_div_zero 0
	.end_amdhsa_kernel
	.section	.text._ZN2at6native12_GLOBAL__N_135GammaBetaBackwardCUDAKernelTemplateIN3c108BFloat16EfLj64ELj1ELj8ELb1ELb0ELb0EEEvllPKT_S7_PKT0_SA_PS5_SB_,"axG",@progbits,_ZN2at6native12_GLOBAL__N_135GammaBetaBackwardCUDAKernelTemplateIN3c108BFloat16EfLj64ELj1ELj8ELb1ELb0ELb0EEEvllPKT_S7_PKT0_SA_PS5_SB_,comdat
.Lfunc_end99:
	.size	_ZN2at6native12_GLOBAL__N_135GammaBetaBackwardCUDAKernelTemplateIN3c108BFloat16EfLj64ELj1ELj8ELb1ELb0ELb0EEEvllPKT_S7_PKT0_SA_PS5_SB_, .Lfunc_end99-_ZN2at6native12_GLOBAL__N_135GammaBetaBackwardCUDAKernelTemplateIN3c108BFloat16EfLj64ELj1ELj8ELb1ELb0ELb0EEEvllPKT_S7_PKT0_SA_PS5_SB_
                                        ; -- End function
	.section	.AMDGPU.csdata,"",@progbits
; Kernel info:
; codeLenInByte = 8308
; NumSgprs: 43
; NumVgprs: 101
; ScratchSize: 0
; MemoryBound: 0
; FloatMode: 240
; IeeeMode: 1
; LDSByteSize: 0 bytes/workgroup (compile time only)
; SGPRBlocks: 5
; VGPRBlocks: 12
; NumSGPRsForWavesPerEU: 43
; NumVGPRsForWavesPerEU: 101
; Occupancy: 12
; WaveLimiterHint : 0
; COMPUTE_PGM_RSRC2:SCRATCH_EN: 0
; COMPUTE_PGM_RSRC2:USER_SGPR: 14
; COMPUTE_PGM_RSRC2:TRAP_HANDLER: 0
; COMPUTE_PGM_RSRC2:TGID_X_EN: 1
; COMPUTE_PGM_RSRC2:TGID_Y_EN: 1
; COMPUTE_PGM_RSRC2:TGID_Z_EN: 0
; COMPUTE_PGM_RSRC2:TIDIG_COMP_CNT: 1
	.section	.text._ZN2at6native12_GLOBAL__N_135GammaBetaBackwardCUDAKernelTemplateIN3c108BFloat16EfLj64ELj8ELj64ELb0ELb1ELb0EEEvllPKT_S7_PKT0_SA_PS5_SB_,"axG",@progbits,_ZN2at6native12_GLOBAL__N_135GammaBetaBackwardCUDAKernelTemplateIN3c108BFloat16EfLj64ELj8ELj64ELb0ELb1ELb0EEEvllPKT_S7_PKT0_SA_PS5_SB_,comdat
	.globl	_ZN2at6native12_GLOBAL__N_135GammaBetaBackwardCUDAKernelTemplateIN3c108BFloat16EfLj64ELj8ELj64ELb0ELb1ELb0EEEvllPKT_S7_PKT0_SA_PS5_SB_ ; -- Begin function _ZN2at6native12_GLOBAL__N_135GammaBetaBackwardCUDAKernelTemplateIN3c108BFloat16EfLj64ELj8ELj64ELb0ELb1ELb0EEEvllPKT_S7_PKT0_SA_PS5_SB_
	.p2align	8
	.type	_ZN2at6native12_GLOBAL__N_135GammaBetaBackwardCUDAKernelTemplateIN3c108BFloat16EfLj64ELj8ELj64ELb0ELb1ELb0EEEvllPKT_S7_PKT0_SA_PS5_SB_,@function
_ZN2at6native12_GLOBAL__N_135GammaBetaBackwardCUDAKernelTemplateIN3c108BFloat16EfLj64ELj8ELj64ELb0ELb1ELb0EEEvllPKT_S7_PKT0_SA_PS5_SB_: ; @_ZN2at6native12_GLOBAL__N_135GammaBetaBackwardCUDAKernelTemplateIN3c108BFloat16EfLj64ELj8ELj64ELb0ELb1ELb0EEEvllPKT_S7_PKT0_SA_PS5_SB_
; %bb.0:
	s_load_b128 s[20:23], s[0:1], 0x0
	s_mov_b32 s3, 0
	s_lshl_b32 s2, s15, 6
	v_bfe_u32 v7, v0, 10, 10
	s_waitcnt lgkmcnt(0)
	v_cmp_lt_i64_e64 s4, s[2:3], s[20:21]
	s_delay_alu instid0(VALU_DEP_1)
	s_and_b32 vcc_lo, exec_lo, s4
	s_cbranch_vccnz .LBB100_2
; %bb.1:
	v_bfe_u32 v1, v0, 10, 10
	s_mov_b32 s5, 0
	s_mov_b32 s4, s3
	s_branch .LBB100_3
.LBB100_2:
	s_mov_b32 s4, -1
                                        ; implicit-def: $sgpr5
                                        ; implicit-def: $vgpr1
.LBB100_3:
	s_load_b128 s[16:19], s[0:1], 0x30
	v_dual_mov_b32 v15, s5 :: v_dual_and_b32 v6, 0x3ff, v0
	v_mov_b32_e32 v17, s5
	s_and_not1_b32 vcc_lo, exec_lo, s4
	s_cbranch_vccnz .LBB100_11
; %bb.4:
	s_clause 0x2
	s_load_b32 s12, s[0:1], 0x4c
	s_load_b32 s15, s[0:1], 0x44
	s_load_b256 s[4:11], s[0:1], 0x10
	v_dual_mov_b32 v1, 0 :: v_dual_lshlrev_b32 v0, 3, v7
	v_dual_mov_b32 v8, 8 :: v_dual_mov_b32 v9, 4
	v_dual_mov_b32 v10, 12 :: v_dual_mov_b32 v11, 16
	s_delay_alu instid0(VALU_DEP_3) | instskip(NEXT) | instid1(VALU_DEP_1)
	v_add_co_u32 v2, s0, v0, s2
	v_add_co_ci_u32_e64 v3, null, 0, 0, s0
	v_lshl_add_u32 v0, s14, 6, v6
	s_delay_alu instid0(VALU_DEP_3) | instskip(SKIP_1) | instid1(VALU_DEP_4)
	v_mul_lo_u32 v17, s23, v2
	v_mad_u64_u32 v[4:5], null, s22, v2, 0
	v_mul_lo_u32 v18, s22, v3
	v_dual_mov_b32 v12, 20 :: v_dual_mov_b32 v13, 24
	s_waitcnt lgkmcnt(0)
	s_and_b32 s0, s12, 0xffff
	s_lshl_b32 s12, s15, 6
	v_mad_u32_u24 v15, v7, s0, v6
	v_mov_b32_e32 v14, 28
	s_mul_i32 s1, s23, s12
	v_add3_u32 v5, v5, v18, v17
	s_mul_hi_u32 s15, s22, s12
	v_and_b32_e32 v19, 31, v15
	v_lshlrev_b64 v[15:16], 1, v[0:1]
	s_mov_b32 s13, 0
	v_lshlrev_b64 v[17:18], 1, v[4:5]
	s_add_i32 s27, s15, s1
	v_add_co_u32 v2, vcc_lo, v2, v19
	v_add_co_ci_u32_e32 v3, vcc_lo, 0, v3, vcc_lo
	s_delay_alu instid0(VALU_DEP_3) | instskip(SKIP_1) | instid1(VALU_DEP_3)
	v_add_co_u32 v0, vcc_lo, v17, v15
	v_cmp_gt_u32_e64 s0, 8, v19
	v_lshlrev_b64 v[4:5], 2, v[2:3]
	v_add_co_ci_u32_e32 v16, vcc_lo, v18, v16, vcc_lo
	v_mov_b32_e32 v17, 0
	v_mov_b32_e32 v15, 0
	s_mul_i32 s26, s22, s12
	s_lshl_b64 s[24:25], s[12:13], 2
	s_lshl_b64 s[26:27], s[26:27], 1
	;; [unrolled: 1-line block ×3, first 2 shown]
	s_branch .LBB100_7
.LBB100_5:                              ;   in Loop: Header=BB100_7 Depth=1
	s_or_b32 exec_lo, exec_lo, s13
.LBB100_6:                              ;   in Loop: Header=BB100_7 Depth=1
	s_delay_alu instid0(SALU_CYCLE_1) | instskip(SKIP_4) | instid1(VALU_DEP_4)
	s_or_b32 exec_lo, exec_lo, s1
	v_add_co_u32 v20, vcc_lo, s4, v0
	v_add_co_ci_u32_e32 v21, vcc_lo, s5, v16, vcc_lo
	v_add_co_u32 v22, vcc_lo, s6, v0
	v_add_co_ci_u32_e32 v23, vcc_lo, s7, v16, vcc_lo
	v_add_co_u32 v24, vcc_lo, v20, s22
	s_delay_alu instid0(VALU_DEP_4) | instskip(NEXT) | instid1(VALU_DEP_4)
	v_add_co_ci_u32_e32 v25, vcc_lo, s23, v21, vcc_lo
	v_add_co_u32 v26, vcc_lo, v22, s22
	s_delay_alu instid0(VALU_DEP_4) | instskip(NEXT) | instid1(VALU_DEP_4)
	v_add_co_ci_u32_e32 v27, vcc_lo, s23, v23, vcc_lo
	v_add_co_u32 v28, vcc_lo, v24, s22
	s_delay_alu instid0(VALU_DEP_4)
	v_add_co_ci_u32_e32 v29, vcc_lo, s23, v25, vcc_lo
	global_load_u16 v30, v[20:21], off
	global_load_u16 v31, v[22:23], off
	global_load_u16 v32, v[24:25], off
	global_load_u16 v33, v[26:27], off
	global_load_u16 v34, v[28:29], off
	v_add_co_u32 v20, vcc_lo, v26, s22
	v_add_co_ci_u32_e32 v21, vcc_lo, s23, v27, vcc_lo
	v_add_co_u32 v22, vcc_lo, v28, s22
	v_add_co_ci_u32_e32 v23, vcc_lo, s23, v29, vcc_lo
	s_delay_alu instid0(VALU_DEP_4) | instskip(NEXT) | instid1(VALU_DEP_4)
	v_add_co_u32 v24, vcc_lo, v20, s22
	v_add_co_ci_u32_e32 v25, vcc_lo, s23, v21, vcc_lo
	s_delay_alu instid0(VALU_DEP_4) | instskip(NEXT) | instid1(VALU_DEP_4)
	;; [unrolled: 3-line block ×3, first 2 shown]
	v_add_co_u32 v28, vcc_lo, v24, s22
	v_add_co_ci_u32_e32 v29, vcc_lo, s23, v25, vcc_lo
	global_load_u16 v35, v[20:21], off
	global_load_u16 v36, v[22:23], off
	;; [unrolled: 1-line block ×5, first 2 shown]
	v_add_co_u32 v20, vcc_lo, v26, s22
	v_add_co_ci_u32_e32 v21, vcc_lo, s23, v27, vcc_lo
	v_add_co_u32 v22, vcc_lo, v28, s22
	v_add_co_ci_u32_e32 v23, vcc_lo, s23, v29, vcc_lo
	s_delay_alu instid0(VALU_DEP_4) | instskip(NEXT) | instid1(VALU_DEP_4)
	v_add_co_u32 v24, vcc_lo, v20, s22
	v_add_co_ci_u32_e32 v25, vcc_lo, s23, v21, vcc_lo
	s_delay_alu instid0(VALU_DEP_4) | instskip(NEXT) | instid1(VALU_DEP_4)
	v_add_co_u32 v26, vcc_lo, v22, s22
	v_add_co_ci_u32_e32 v27, vcc_lo, s23, v23, vcc_lo
	global_load_u16 v28, v[20:21], off
	global_load_u16 v29, v[22:23], off
	;; [unrolled: 1-line block ×4, first 2 shown]
	v_add_co_u32 v20, vcc_lo, v26, s22
	v_add_co_ci_u32_e32 v21, vcc_lo, s23, v27, vcc_lo
	v_add_co_u32 v22, vcc_lo, v24, s22
	v_add_co_ci_u32_e32 v23, vcc_lo, s23, v25, vcc_lo
	global_load_u16 v20, v[20:21], off
	global_load_u16 v21, v[22:23], off
	s_waitcnt vmcnt(17)
	ds_bpermute_b32 v25, v9, v18
	ds_bpermute_b32 v22, v1, v18
	s_waitcnt vmcnt(16)
	ds_bpermute_b32 v23, v1, v19
	ds_bpermute_b32 v24, v9, v19
	ds_bpermute_b32 v27, v8, v18
	ds_bpermute_b32 v26, v8, v19
	ds_bpermute_b32 v43, v10, v18
	ds_bpermute_b32 v45, v11, v18
	ds_bpermute_b32 v47, v12, v18
	ds_bpermute_b32 v49, v13, v18
	ds_bpermute_b32 v18, v14, v18
	ds_bpermute_b32 v42, v10, v19
	ds_bpermute_b32 v44, v11, v19
	ds_bpermute_b32 v46, v12, v19
	ds_bpermute_b32 v48, v13, v19
	ds_bpermute_b32 v19, v14, v19
	v_add_co_u32 v4, vcc_lo, v4, s24
	s_add_u32 s2, s2, s12
	v_add_co_ci_u32_e32 v5, vcc_lo, s25, v5, vcc_lo
	s_addc_u32 s3, s3, 0
	v_add_co_u32 v2, vcc_lo, v2, s12
	v_add_co_ci_u32_e32 v3, vcc_lo, 0, v3, vcc_lo
	v_cmp_lt_i64_e64 s1, s[2:3], s[20:21]
	v_add_co_u32 v0, vcc_lo, v0, s26
	v_add_co_ci_u32_e32 v16, vcc_lo, s27, v16, vcc_lo
	s_delay_alu instid0(VALU_DEP_3) | instskip(SKIP_3) | instid1(VALU_DEP_1)
	s_and_b32 vcc_lo, exec_lo, s1
	s_waitcnt vmcnt(12)
	v_lshlrev_b32_e32 v33, 16, v33
	s_waitcnt lgkmcnt(15)
	v_dual_sub_f32 v25, v33, v25 :: v_dual_lshlrev_b32 v30, 16, v30
	v_lshlrev_b32_e32 v31, 16, v31
	s_delay_alu instid0(VALU_DEP_2) | instskip(SKIP_1) | instid1(VALU_DEP_2)
	v_add_f32_e32 v17, v17, v30
	s_waitcnt lgkmcnt(14)
	v_sub_f32_e32 v22, v31, v22
	s_delay_alu instid0(VALU_DEP_1) | instskip(SKIP_1) | instid1(VALU_DEP_1)
	v_mul_f32_e32 v22, v22, v30
	s_waitcnt vmcnt(11) lgkmcnt(13)
	v_dual_fmac_f32 v15, v22, v23 :: v_dual_lshlrev_b32 v30, 16, v34
	v_lshlrev_b32_e32 v31, 16, v32
	s_waitcnt vmcnt(8)
	s_delay_alu instid0(VALU_DEP_1) | instskip(SKIP_1) | instid1(VALU_DEP_1)
	v_dual_mul_f32 v22, v25, v31 :: v_dual_lshlrev_b32 v25, 16, v37
	s_waitcnt lgkmcnt(12)
	v_dual_fmac_f32 v15, v22, v24 :: v_dual_lshlrev_b32 v32, 16, v35
	s_waitcnt vmcnt(6)
	v_lshlrev_b32_e32 v24, 16, v39
	s_waitcnt lgkmcnt(11)
	s_delay_alu instid0(VALU_DEP_2) | instskip(NEXT) | instid1(VALU_DEP_1)
	v_sub_f32_e32 v23, v32, v27
	v_dual_mul_f32 v22, v23, v30 :: v_dual_add_f32 v17, v17, v31
	s_waitcnt lgkmcnt(9)
	v_sub_f32_e32 v23, v25, v43
	s_waitcnt vmcnt(5)
	s_delay_alu instid0(VALU_DEP_2) | instskip(SKIP_3) | instid1(VALU_DEP_1)
	v_dual_fmac_f32 v15, v22, v26 :: v_dual_lshlrev_b32 v26, 16, v28
	s_waitcnt vmcnt(1)
	v_lshlrev_b32_e32 v20, 16, v20
	s_waitcnt vmcnt(0) lgkmcnt(5)
	v_dual_sub_f32 v18, v20, v18 :: v_dual_lshlrev_b32 v21, 16, v21
	s_delay_alu instid0(VALU_DEP_1) | instskip(SKIP_1) | instid1(VALU_DEP_1)
	v_dual_mul_f32 v18, v18, v21 :: v_dual_lshlrev_b32 v25, 16, v38
	v_lshlrev_b32_e32 v27, 16, v36
	v_dual_add_f32 v17, v17, v30 :: v_dual_mul_f32 v22, v23, v27
	v_sub_f32_e32 v23, v24, v45
	s_waitcnt lgkmcnt(4)
	s_delay_alu instid0(VALU_DEP_2) | instskip(NEXT) | instid1(VALU_DEP_1)
	v_dual_fmac_f32 v15, v22, v42 :: v_dual_lshlrev_b32 v24, 16, v29
	v_dual_mul_f32 v22, v23, v25 :: v_dual_sub_f32 v23, v24, v47
	v_dual_add_f32 v17, v17, v27 :: v_dual_lshlrev_b32 v24, 16, v41
	s_waitcnt lgkmcnt(3)
	s_delay_alu instid0(VALU_DEP_2) | instskip(NEXT) | instid1(VALU_DEP_2)
	v_dual_fmac_f32 v15, v22, v44 :: v_dual_mul_f32 v22, v23, v26
	v_add_f32_e32 v17, v17, v25
	v_lshlrev_b32_e32 v25, 16, v40
	v_sub_f32_e32 v23, v24, v49
	s_waitcnt lgkmcnt(2)
	v_fmac_f32_e32 v15, v22, v46
	s_delay_alu instid0(VALU_DEP_2) | instskip(NEXT) | instid1(VALU_DEP_1)
	v_dual_add_f32 v17, v17, v26 :: v_dual_mul_f32 v22, v23, v25
	v_add_f32_e32 v17, v17, v25
	s_waitcnt lgkmcnt(1)
	s_delay_alu instid0(VALU_DEP_2) | instskip(NEXT) | instid1(VALU_DEP_2)
	v_fmac_f32_e32 v15, v22, v48
	v_add_f32_e32 v17, v17, v21
	s_waitcnt lgkmcnt(0)
	s_delay_alu instid0(VALU_DEP_2)
	v_fmac_f32_e32 v15, v18, v19
	s_cbranch_vccz .LBB100_10
.LBB100_7:                              ; =>This Inner Loop Header: Depth=1
	v_dual_mov_b32 v19, 0 :: v_dual_mov_b32 v18, 0
	s_and_saveexec_b32 s1, s0
	s_cbranch_execz .LBB100_6
; %bb.8:                                ;   in Loop: Header=BB100_7 Depth=1
	v_dual_mov_b32 v18, 0 :: v_dual_mov_b32 v19, 0
	s_mov_b32 s13, exec_lo
	v_cmpx_gt_i64_e64 s[20:21], v[2:3]
	s_cbranch_execz .LBB100_5
; %bb.9:                                ;   in Loop: Header=BB100_7 Depth=1
	v_add_co_u32 v18, vcc_lo, s8, v4
	v_add_co_ci_u32_e32 v19, vcc_lo, s9, v5, vcc_lo
	v_add_co_u32 v20, vcc_lo, s10, v4
	v_add_co_ci_u32_e32 v21, vcc_lo, s11, v5, vcc_lo
	global_load_b32 v18, v[18:19], off
	global_load_b32 v19, v[20:21], off
	s_branch .LBB100_5
.LBB100_10:
	v_mov_b32_e32 v1, v7
.LBB100_11:
	s_delay_alu instid0(VALU_DEP_1) | instskip(SKIP_2) | instid1(VALU_DEP_1)
	v_mad_u32_u24 v2, 0x41, v1, v6
	s_mov_b32 s15, 0
	s_mov_b32 s0, exec_lo
	v_sub_nc_u32_e32 v0, v2, v1
	v_lshl_add_u32 v1, v2, 2, 0
	ds_store_b32 v1, v15
	ds_store_b32 v1, v17 offset:2080
	s_waitcnt lgkmcnt(0)
	s_barrier
	buffer_gl0_inv
	v_cmpx_gt_u32_e32 0x800, v0
	s_cbranch_execz .LBB100_21
; %bb.12:
	v_mbcnt_lo_u32_b32 v1, -1, 0
	v_lshrrev_b32_e32 v3, 5, v0
	v_cmp_eq_u32_e64 s0, 0, v6
	s_cmp_lg_u64 s[16:17], 0
	s_cselect_b32 s3, -1, 0
	v_xor_b32_e32 v0, 4, v1
	v_xor_b32_e32 v4, 2, v1
	;; [unrolled: 1-line block ×3, first 2 shown]
	v_and_b32_e32 v2, 31, v6
	s_cmp_lg_u64 s[18:19], 0
	v_cmp_gt_i32_e32 vcc_lo, 32, v0
	s_cselect_b32 s4, -1, 0
	s_lshl_b64 s[6:7], s[14:15], 7
	v_dual_cndmask_b32 v0, v1, v0 :: v_dual_add_nc_u32 v7, -16, v3
	v_cmp_gt_i32_e32 vcc_lo, 32, v4
	v_cndmask_b32_e32 v6, v1, v4, vcc_lo
	v_cmp_gt_i32_e32 vcc_lo, 32, v5
	v_cndmask_b32_e32 v1, v1, v5, vcc_lo
	s_delay_alu instid0(VALU_DEP_3)
	v_lshlrev_b32_e32 v5, 2, v6
	v_lshlrev_b32_e32 v4, 2, v0
	;; [unrolled: 1-line block ×3, first 2 shown]
	v_mad_u32_u24 v10, 0x41, v2, v3
	v_lshlrev_b32_e32 v6, 2, v1
	v_cmp_gt_u32_e64 s1, 8, v2
	s_delay_alu instid0(VALU_DEP_4) | instskip(NEXT) | instid1(VALU_DEP_1)
	v_add_co_u32 v8, s2, s6, v0
	v_add_co_ci_u32_e64 v9, null, s7, 0, s2
	s_delay_alu instid0(VALU_DEP_2) | instskip(NEXT) | instid1(VALU_DEP_2)
	v_add_co_u32 v0, vcc_lo, s18, v8
	v_add_co_ci_u32_e32 v1, vcc_lo, s19, v9, vcc_lo
	v_add_co_u32 v2, vcc_lo, s16, v8
	v_add_co_ci_u32_e32 v3, vcc_lo, s17, v9, vcc_lo
	v_lshl_add_u32 v8, v10, 2, 0
                                        ; implicit-def: $vgpr9
                                        ; implicit-def: $vgpr10
	s_branch .LBB100_14
.LBB100_13:                             ;   in Loop: Header=BB100_14 Depth=1
	s_or_b32 exec_lo, exec_lo, s2
	v_add_nc_u32_e32 v7, 16, v7
	v_add_co_u32 v0, vcc_lo, v0, 32
	v_add_co_ci_u32_e32 v1, vcc_lo, 0, v1, vcc_lo
	s_delay_alu instid0(VALU_DEP_3) | instskip(SKIP_1) | instid1(VALU_DEP_1)
	v_cmp_lt_u32_e32 vcc_lo, 47, v7
	v_add_co_u32 v2, s2, v2, 32
	v_add_co_ci_u32_e64 v3, s2, 0, v3, s2
	v_add_nc_u32_e32 v8, 64, v8
	s_or_b32 s15, vcc_lo, s15
	s_delay_alu instid0(SALU_CYCLE_1)
	s_and_not1_b32 exec_lo, exec_lo, s15
	s_cbranch_execz .LBB100_21
.LBB100_14:                             ; =>This Inner Loop Header: Depth=1
	s_and_saveexec_b32 s2, s1
	s_cbranch_execz .LBB100_16
; %bb.15:                               ;   in Loop: Header=BB100_14 Depth=1
	ds_load_b32 v9, v8
	ds_load_b32 v10, v8 offset:2080
.LBB100_16:                             ;   in Loop: Header=BB100_14 Depth=1
	s_or_b32 exec_lo, exec_lo, s2
	s_waitcnt lgkmcnt(1)
	ds_bpermute_b32 v11, v4, v9
	s_waitcnt lgkmcnt(1)
	ds_bpermute_b32 v12, v4, v10
	s_waitcnt lgkmcnt(0)
	v_dual_add_f32 v9, v9, v11 :: v_dual_add_f32 v10, v10, v12
	ds_bpermute_b32 v11, v5, v9
	ds_bpermute_b32 v12, v5, v10
	s_waitcnt lgkmcnt(0)
	v_dual_add_f32 v9, v9, v11 :: v_dual_add_f32 v10, v10, v12
	ds_bpermute_b32 v11, v6, v9
	ds_bpermute_b32 v12, v6, v10
	s_waitcnt lgkmcnt(0)
	v_dual_add_f32 v9, v9, v11 :: v_dual_add_f32 v10, v10, v12
	s_and_saveexec_b32 s2, s0
	s_cbranch_execz .LBB100_13
; %bb.17:                               ;   in Loop: Header=BB100_14 Depth=1
	s_and_not1_b32 vcc_lo, exec_lo, s3
	s_cbranch_vccnz .LBB100_19
; %bb.18:                               ;   in Loop: Header=BB100_14 Depth=1
	v_bfe_u32 v11, v9, 16, 1
	v_cmp_o_f32_e32 vcc_lo, v9, v9
	s_delay_alu instid0(VALU_DEP_2) | instskip(NEXT) | instid1(VALU_DEP_1)
	v_add3_u32 v11, v9, v11, 0x7fff
	v_lshrrev_b32_e32 v11, 16, v11
	s_delay_alu instid0(VALU_DEP_1)
	v_cndmask_b32_e32 v11, 0x7fc0, v11, vcc_lo
	global_store_b16 v[2:3], v11, off
.LBB100_19:                             ;   in Loop: Header=BB100_14 Depth=1
	s_and_not1_b32 vcc_lo, exec_lo, s4
	s_cbranch_vccnz .LBB100_13
; %bb.20:                               ;   in Loop: Header=BB100_14 Depth=1
	v_bfe_u32 v11, v10, 16, 1
	v_cmp_o_f32_e32 vcc_lo, v10, v10
	s_delay_alu instid0(VALU_DEP_2) | instskip(NEXT) | instid1(VALU_DEP_1)
	v_add3_u32 v11, v10, v11, 0x7fff
	v_lshrrev_b32_e32 v11, 16, v11
	s_delay_alu instid0(VALU_DEP_1)
	v_cndmask_b32_e32 v11, 0x7fc0, v11, vcc_lo
	global_store_b16 v[0:1], v11, off
	s_branch .LBB100_13
.LBB100_21:
	s_nop 0
	s_sendmsg sendmsg(MSG_DEALLOC_VGPRS)
	s_endpgm
	.section	.rodata,"a",@progbits
	.p2align	6, 0x0
	.amdhsa_kernel _ZN2at6native12_GLOBAL__N_135GammaBetaBackwardCUDAKernelTemplateIN3c108BFloat16EfLj64ELj8ELj64ELb0ELb1ELb0EEEvllPKT_S7_PKT0_SA_PS5_SB_
		.amdhsa_group_segment_fixed_size 0
		.amdhsa_private_segment_fixed_size 0
		.amdhsa_kernarg_size 320
		.amdhsa_user_sgpr_count 14
		.amdhsa_user_sgpr_dispatch_ptr 0
		.amdhsa_user_sgpr_queue_ptr 0
		.amdhsa_user_sgpr_kernarg_segment_ptr 1
		.amdhsa_user_sgpr_dispatch_id 0
		.amdhsa_user_sgpr_private_segment_size 0
		.amdhsa_wavefront_size32 1
		.amdhsa_uses_dynamic_stack 0
		.amdhsa_enable_private_segment 0
		.amdhsa_system_sgpr_workgroup_id_x 1
		.amdhsa_system_sgpr_workgroup_id_y 1
		.amdhsa_system_sgpr_workgroup_id_z 0
		.amdhsa_system_sgpr_workgroup_info 0
		.amdhsa_system_vgpr_workitem_id 1
		.amdhsa_next_free_vgpr 50
		.amdhsa_next_free_sgpr 28
		.amdhsa_reserve_vcc 1
		.amdhsa_float_round_mode_32 0
		.amdhsa_float_round_mode_16_64 0
		.amdhsa_float_denorm_mode_32 3
		.amdhsa_float_denorm_mode_16_64 3
		.amdhsa_dx10_clamp 1
		.amdhsa_ieee_mode 1
		.amdhsa_fp16_overflow 0
		.amdhsa_workgroup_processor_mode 1
		.amdhsa_memory_ordered 1
		.amdhsa_forward_progress 0
		.amdhsa_shared_vgpr_count 0
		.amdhsa_exception_fp_ieee_invalid_op 0
		.amdhsa_exception_fp_denorm_src 0
		.amdhsa_exception_fp_ieee_div_zero 0
		.amdhsa_exception_fp_ieee_overflow 0
		.amdhsa_exception_fp_ieee_underflow 0
		.amdhsa_exception_fp_ieee_inexact 0
		.amdhsa_exception_int_div_zero 0
	.end_amdhsa_kernel
	.section	.text._ZN2at6native12_GLOBAL__N_135GammaBetaBackwardCUDAKernelTemplateIN3c108BFloat16EfLj64ELj8ELj64ELb0ELb1ELb0EEEvllPKT_S7_PKT0_SA_PS5_SB_,"axG",@progbits,_ZN2at6native12_GLOBAL__N_135GammaBetaBackwardCUDAKernelTemplateIN3c108BFloat16EfLj64ELj8ELj64ELb0ELb1ELb0EEEvllPKT_S7_PKT0_SA_PS5_SB_,comdat
.Lfunc_end100:
	.size	_ZN2at6native12_GLOBAL__N_135GammaBetaBackwardCUDAKernelTemplateIN3c108BFloat16EfLj64ELj8ELj64ELb0ELb1ELb0EEEvllPKT_S7_PKT0_SA_PS5_SB_, .Lfunc_end100-_ZN2at6native12_GLOBAL__N_135GammaBetaBackwardCUDAKernelTemplateIN3c108BFloat16EfLj64ELj8ELj64ELb0ELb1ELb0EEEvllPKT_S7_PKT0_SA_PS5_SB_
                                        ; -- End function
	.section	.AMDGPU.csdata,"",@progbits
; Kernel info:
; codeLenInByte = 1912
; NumSgprs: 30
; NumVgprs: 50
; ScratchSize: 0
; MemoryBound: 0
; FloatMode: 240
; IeeeMode: 1
; LDSByteSize: 0 bytes/workgroup (compile time only)
; SGPRBlocks: 3
; VGPRBlocks: 6
; NumSGPRsForWavesPerEU: 30
; NumVGPRsForWavesPerEU: 50
; Occupancy: 16
; WaveLimiterHint : 0
; COMPUTE_PGM_RSRC2:SCRATCH_EN: 0
; COMPUTE_PGM_RSRC2:USER_SGPR: 14
; COMPUTE_PGM_RSRC2:TRAP_HANDLER: 0
; COMPUTE_PGM_RSRC2:TGID_X_EN: 1
; COMPUTE_PGM_RSRC2:TGID_Y_EN: 1
; COMPUTE_PGM_RSRC2:TGID_Z_EN: 0
; COMPUTE_PGM_RSRC2:TIDIG_COMP_CNT: 1
	.section	.text._ZN2at6native12_GLOBAL__N_135GammaBetaBackwardCUDAKernelTemplateIN3c108BFloat16EfLj64ELj8ELj64ELb0ELb0ELb0EEEvllPKT_S7_PKT0_SA_PS5_SB_,"axG",@progbits,_ZN2at6native12_GLOBAL__N_135GammaBetaBackwardCUDAKernelTemplateIN3c108BFloat16EfLj64ELj8ELj64ELb0ELb0ELb0EEEvllPKT_S7_PKT0_SA_PS5_SB_,comdat
	.globl	_ZN2at6native12_GLOBAL__N_135GammaBetaBackwardCUDAKernelTemplateIN3c108BFloat16EfLj64ELj8ELj64ELb0ELb0ELb0EEEvllPKT_S7_PKT0_SA_PS5_SB_ ; -- Begin function _ZN2at6native12_GLOBAL__N_135GammaBetaBackwardCUDAKernelTemplateIN3c108BFloat16EfLj64ELj8ELj64ELb0ELb0ELb0EEEvllPKT_S7_PKT0_SA_PS5_SB_
	.p2align	8
	.type	_ZN2at6native12_GLOBAL__N_135GammaBetaBackwardCUDAKernelTemplateIN3c108BFloat16EfLj64ELj8ELj64ELb0ELb0ELb0EEEvllPKT_S7_PKT0_SA_PS5_SB_,@function
_ZN2at6native12_GLOBAL__N_135GammaBetaBackwardCUDAKernelTemplateIN3c108BFloat16EfLj64ELj8ELj64ELb0ELb0ELb0EEEvllPKT_S7_PKT0_SA_PS5_SB_: ; @_ZN2at6native12_GLOBAL__N_135GammaBetaBackwardCUDAKernelTemplateIN3c108BFloat16EfLj64ELj8ELj64ELb0ELb0ELb0EEEvllPKT_S7_PKT0_SA_PS5_SB_
; %bb.0:
	s_clause 0x1
	s_load_b256 s[4:11], s[0:1], 0x0
	s_load_b128 s[24:27], s[0:1], 0x20
	s_mov_b32 s29, 0
	s_lshl_b32 s12, s15, 6
	s_mov_b32 s13, s29
	s_lshl_b32 s33, s14, 6
	s_delay_alu instid0(SALU_CYCLE_1) | instskip(SKIP_3) | instid1(VALU_DEP_2)
	s_or_b32 s28, s33, 63
	s_waitcnt lgkmcnt(0)
	v_cmp_lt_i64_e64 s15, s[12:13], s[4:5]
	v_cmp_ge_i64_e64 s2, s[28:29], s[6:7]
	v_cndmask_b32_e64 v1, 0, 1, s15
	s_delay_alu instid0(VALU_DEP_2) | instskip(NEXT) | instid1(VALU_DEP_1)
	s_and_b32 vcc_lo, exec_lo, s2
	v_cmp_ne_u32_e64 s2, 1, v1
	s_cbranch_vccz .LBB101_49
; %bb.1:
	v_mov_b32_e32 v1, 0
	v_mov_b32_e32 v59, 0
	s_delay_alu instid0(VALU_DEP_3)
	s_and_b32 vcc_lo, exec_lo, s2
	s_cbranch_vccnz .LBB101_50
; %bb.2:
	v_bfe_u32 v27, v0, 10, 10
	s_load_b32 s3, s[0:1], 0x44
	v_dual_mov_b32 v2, 0 :: v_dual_and_b32 v29, 0x3ff, v0
	s_add_u32 s30, s0, 64
	s_delay_alu instid0(VALU_DEP_2) | instskip(NEXT) | instid1(VALU_DEP_2)
	v_dual_mov_b32 v59, 0 :: v_dual_lshlrev_b32 v28, 3, v27
	v_add_nc_u32_e32 v1, s33, v29
	s_addc_u32 s31, s1, 0
	v_mov_b32_e32 v63, 0
	s_delay_alu instid0(VALU_DEP_3) | instskip(NEXT) | instid1(VALU_DEP_1)
	v_add_co_u32 v9, s2, v28, s12
	v_add_co_ci_u32_e64 v10, null, 0, 0, s2
	v_cmp_gt_i64_e64 s2, s[6:7], v[1:2]
	s_delay_alu instid0(VALU_DEP_3) | instskip(NEXT) | instid1(VALU_DEP_3)
	v_add_co_u32 v5, vcc_lo, v9, 7
	v_add_co_ci_u32_e32 v3, vcc_lo, 0, v10, vcc_lo
	v_add_co_u32 v8, vcc_lo, v9, 6
	s_delay_alu instid0(VALU_DEP_3) | instskip(NEXT) | instid1(VALU_DEP_3)
	v_mul_lo_u32 v6, s7, v5
	v_mul_lo_u32 v7, s6, v3
	v_mad_u64_u32 v[3:4], null, s6, v5, 0
	v_add_co_ci_u32_e32 v5, vcc_lo, 0, v10, vcc_lo
	v_lshlrev_b64 v[25:26], 1, v[1:2]
	v_mul_lo_u32 v1, s7, v8
	s_waitcnt lgkmcnt(0)
	s_lshl_b32 s28, s3, 6
	s_mov_b32 s16, 0
	s_delay_alu instid0(VALU_DEP_4) | instskip(SKIP_3) | instid1(VALU_DEP_3)
	v_add3_u32 v4, v4, v7, v6
	v_mul_lo_u32 v7, s6, v5
	v_mad_u64_u32 v[5:6], null, s6, v8, 0
	s_mul_i32 s3, s7, s28
	v_lshlrev_b64 v[3:4], 1, v[3:4]
	s_mul_hi_u32 s17, s6, s28
	s_mul_i32 s18, s6, s28
	s_add_i32 s19, s17, s3
	s_mov_b64 s[38:39], s[12:13]
	s_delay_alu instid0(VALU_DEP_2) | instskip(SKIP_4) | instid1(VALU_DEP_1)
	v_add3_u32 v6, v6, v7, v1
	v_add_co_u32 v30, vcc_lo, s8, v3
	v_add_co_ci_u32_e32 v31, vcc_lo, s9, v4, vcc_lo
	v_add_co_u32 v1, vcc_lo, v9, 5
	v_add_co_u32 v32, s3, s10, v3
	v_add_co_ci_u32_e64 v33, s3, s11, v4, s3
	v_lshlrev_b64 v[3:4], 1, v[5:6]
	v_add_co_ci_u32_e32 v5, vcc_lo, 0, v10, vcc_lo
	v_add_co_u32 v12, vcc_lo, v9, 4
	v_mul_lo_u32 v11, s7, v1
	s_delay_alu instid0(VALU_DEP_3) | instskip(SKIP_4) | instid1(VALU_DEP_3)
	v_mul_lo_u32 v13, s6, v5
	v_mad_u64_u32 v[5:6], null, s6, v1, 0
	v_add_co_ci_u32_e32 v7, vcc_lo, 0, v10, vcc_lo
	v_mul_lo_u32 v1, s7, v12
	v_add_co_u32 v34, vcc_lo, s8, v3
	v_mul_lo_u32 v14, s6, v7
	v_mad_u64_u32 v[7:8], null, s6, v12, 0
	v_add3_u32 v6, v6, v13, v11
	v_add_co_ci_u32_e32 v35, vcc_lo, s9, v4, vcc_lo
	v_add_co_u32 v36, vcc_lo, s10, v3
	v_add_co_ci_u32_e32 v37, vcc_lo, s11, v4, vcc_lo
	s_delay_alu instid0(VALU_DEP_4) | instskip(SKIP_3) | instid1(VALU_DEP_4)
	v_lshlrev_b64 v[3:4], 1, v[5:6]
	v_add3_u32 v8, v8, v14, v1
	v_add_co_u32 v1, vcc_lo, v9, 3
	v_add_co_ci_u32_e32 v11, vcc_lo, 0, v10, vcc_lo
	v_add_co_u32 v38, vcc_lo, s8, v3
	s_delay_alu instid0(VALU_DEP_4)
	v_lshlrev_b64 v[5:6], 1, v[7:8]
	v_add_co_ci_u32_e32 v39, vcc_lo, s9, v4, vcc_lo
	v_mul_lo_u32 v12, s7, v1
	v_mul_lo_u32 v11, s6, v11
	v_mad_u64_u32 v[7:8], null, s6, v1, 0
	v_add_co_u32 v40, vcc_lo, s10, v3
	v_add_co_ci_u32_e32 v41, vcc_lo, s11, v4, vcc_lo
	v_add_co_u32 v42, vcc_lo, s8, v5
	v_add_co_ci_u32_e32 v43, vcc_lo, s9, v6, vcc_lo
	v_add_co_u32 v1, vcc_lo, v9, 2
	v_add3_u32 v8, v8, v11, v12
	v_add_co_ci_u32_e32 v11, vcc_lo, 0, v10, vcc_lo
	v_add_co_u32 v44, vcc_lo, s10, v5
	v_add_co_ci_u32_e32 v45, vcc_lo, s11, v6, vcc_lo
	v_mul_lo_u32 v12, s7, v1
	s_delay_alu instid0(VALU_DEP_4)
	v_mul_lo_u32 v11, s6, v11
	v_mad_u64_u32 v[5:6], null, s6, v1, 0
	v_lshlrev_b64 v[3:4], 1, v[7:8]
	v_mul_lo_u32 v1, s7, v9
	v_mul_lo_u32 v10, s6, v10
	v_mad_u64_u32 v[7:8], null, s6, v9, 0
	s_lshl_b64 s[34:35], s[18:19], 1
	s_delay_alu instid0(VALU_DEP_4)
	v_add_co_u32 v46, vcc_lo, s8, v3
	v_add3_u32 v6, v6, v11, v12
	v_add_co_ci_u32_e32 v47, vcc_lo, s9, v4, vcc_lo
	v_add_co_u32 v48, vcc_lo, s10, v3
	v_add3_u32 v8, v8, v10, v1
	v_add_co_ci_u32_e32 v49, vcc_lo, s11, v4, vcc_lo
	v_lshlrev_b64 v[3:4], 1, v[5:6]
	v_add_co_u32 v5, vcc_lo, v7, s6
	s_delay_alu instid0(VALU_DEP_4) | instskip(SKIP_1) | instid1(VALU_DEP_3)
	v_add_co_ci_u32_e32 v6, vcc_lo, s7, v8, vcc_lo
	s_add_u32 s36, s12, 63
	v_add_co_u32 v50, vcc_lo, s8, v3
	s_delay_alu instid0(VALU_DEP_2) | instskip(SKIP_3) | instid1(VALU_DEP_4)
	v_lshlrev_b64 v[5:6], 1, v[5:6]
	v_add_co_ci_u32_e32 v51, vcc_lo, s9, v4, vcc_lo
	v_add_co_u32 v52, vcc_lo, s10, v3
	v_add_co_ci_u32_e32 v53, vcc_lo, s11, v4, vcc_lo
	v_add_co_u32 v54, vcc_lo, s8, v5
	v_lshlrev_b64 v[3:4], 1, v[7:8]
	v_add_co_ci_u32_e32 v55, vcc_lo, s9, v6, vcc_lo
	v_add_co_u32 v56, vcc_lo, s10, v5
	v_add_co_ci_u32_e32 v57, vcc_lo, s11, v6, vcc_lo
	s_delay_alu instid0(VALU_DEP_4)
	v_add_co_u32 v58, vcc_lo, s8, v3
	v_add_co_ci_u32_e32 v60, vcc_lo, s9, v4, vcc_lo
	v_add_co_u32 v61, vcc_lo, s10, v3
	v_add_co_ci_u32_e32 v62, vcc_lo, s11, v4, vcc_lo
	s_addc_u32 s37, 0, 0
.LBB101_3:                              ; =>This Inner Loop Header: Depth=1
	s_delay_alu instid0(SALU_CYCLE_1) | instskip(SKIP_1) | instid1(VALU_DEP_1)
	v_cmp_ge_i64_e64 s3, s[36:37], s[4:5]
	v_add_co_u32 v64, s17, v28, s36
	v_add_co_ci_u32_e64 v65, null, 0, s37, s17
	s_delay_alu instid0(VALU_DEP_3)
	s_and_b32 vcc_lo, exec_lo, s3
	s_cbranch_vccz .LBB101_25
; %bb.4:                                ;   in Loop: Header=BB101_3 Depth=1
	s_load_b32 s3, s[30:31], 0xc
	v_dual_mov_b32 v67, 0 :: v_dual_mov_b32 v66, 0
	s_waitcnt lgkmcnt(0)
	s_and_b32 s3, s3, 0xffff
	s_delay_alu instid0(SALU_CYCLE_1) | instskip(SKIP_1) | instid1(VALU_DEP_1)
	v_mad_u32_u24 v1, v27, s3, v29
	s_mov_b32 s3, exec_lo
	v_and_b32_e32 v1, 31, v1
	s_delay_alu instid0(VALU_DEP_1)
	v_cmpx_gt_u32_e32 8, v1
	s_cbranch_execz .LBB101_8
; %bb.5:                                ;   in Loop: Header=BB101_3 Depth=1
	v_add_co_u32 v1, vcc_lo, v64, v1
	v_add_co_ci_u32_e32 v4, vcc_lo, 0, v65, vcc_lo
	v_dual_mov_b32 v66, 0 :: v_dual_mov_b32 v67, 0
	s_delay_alu instid0(VALU_DEP_3) | instskip(NEXT) | instid1(VALU_DEP_3)
	v_add_co_u32 v3, vcc_lo, 0xffffffc1, v1
	v_add_co_ci_u32_e32 v4, vcc_lo, -1, v4, vcc_lo
	s_mov_b32 s17, exec_lo
	s_delay_alu instid0(VALU_DEP_1)
	v_cmpx_gt_i64_e64 s[4:5], v[3:4]
	s_cbranch_execz .LBB101_7
; %bb.6:                                ;   in Loop: Header=BB101_3 Depth=1
	v_lshlrev_b64 v[3:4], 2, v[3:4]
	s_delay_alu instid0(VALU_DEP_1) | instskip(NEXT) | instid1(VALU_DEP_2)
	v_add_co_u32 v5, vcc_lo, s24, v3
	v_add_co_ci_u32_e32 v6, vcc_lo, s25, v4, vcc_lo
	v_add_co_u32 v3, vcc_lo, s26, v3
	v_add_co_ci_u32_e32 v4, vcc_lo, s27, v4, vcc_lo
	global_load_b32 v66, v[5:6], off
	global_load_b32 v67, v[3:4], off
.LBB101_7:                              ;   in Loop: Header=BB101_3 Depth=1
	s_or_b32 exec_lo, exec_lo, s17
.LBB101_8:                              ;   in Loop: Header=BB101_3 Depth=1
	s_delay_alu instid0(SALU_CYCLE_1)
	s_or_b32 exec_lo, exec_lo, s3
	v_add_co_u32 v3, vcc_lo, 0xffffffc1, v64
	v_add_co_ci_u32_e32 v4, vcc_lo, -1, v65, vcc_lo
	s_mov_b32 s22, s16
	s_mov_b32 s23, s16
	;; [unrolled: 1-line block ×7, first 2 shown]
	v_dual_mov_b32 v9, s16 :: v_dual_mov_b32 v10, s17
	v_dual_mov_b32 v15, s22 :: v_dual_mov_b32 v16, s23
	;; [unrolled: 1-line block ×4, first 2 shown]
	v_cmp_gt_i64_e32 vcc_lo, s[4:5], v[3:4]
	s_delay_alu instid0(VALU_DEP_4) | instskip(NEXT) | instid1(VALU_DEP_3)
	v_dual_mov_b32 v24, v16 :: v_dual_mov_b32 v23, v15
	v_dual_mov_b32 v21, v13 :: v_dual_mov_b32 v22, v14
	;; [unrolled: 1-line block ×4, first 2 shown]
	s_and_b32 s17, s2, vcc_lo
	s_delay_alu instid0(SALU_CYCLE_1)
	s_and_saveexec_b32 s3, s17
	s_cbranch_execz .LBB101_10
; %bb.9:                                ;   in Loop: Header=BB101_3 Depth=1
	v_add_co_u32 v3, vcc_lo, v58, v25
	v_add_co_ci_u32_e32 v4, vcc_lo, v60, v26, vcc_lo
	v_add_co_u32 v5, vcc_lo, v61, v25
	v_add_co_ci_u32_e32 v6, vcc_lo, v62, v26, vcc_lo
	v_mov_b32_e32 v8, v2
	global_load_u16 v1, v[3:4], off
	global_load_u16 v9, v[5:6], off
	v_mov_b32_e32 v3, v2
	v_mov_b32_e32 v4, v2
	;; [unrolled: 1-line block ×6, first 2 shown]
	s_waitcnt vmcnt(1)
	v_lshlrev_b32_e32 v1, 16, v1
	s_waitcnt vmcnt(0)
	v_lshlrev_b32_e32 v9, 16, v9
	v_dual_mov_b32 v11, v2 :: v_dual_mov_b32 v24, v8
	v_dual_mov_b32 v10, v2 :: v_dual_mov_b32 v23, v7
	;; [unrolled: 1-line block ×6, first 2 shown]
	v_mov_b32_e32 v22, v6
	v_mov_b32_e32 v18, v2
.LBB101_10:                             ;   in Loop: Header=BB101_3 Depth=1
	s_or_b32 exec_lo, exec_lo, s3
	v_add_co_u32 v3, vcc_lo, 0xffffffc2, v64
	v_add_co_ci_u32_e32 v4, vcc_lo, -1, v65, vcc_lo
	s_delay_alu instid0(VALU_DEP_1) | instskip(SKIP_1) | instid1(SALU_CYCLE_1)
	v_cmp_gt_i64_e32 vcc_lo, s[4:5], v[3:4]
	s_and_b32 s17, s2, vcc_lo
	s_and_saveexec_b32 s3, s17
	s_cbranch_execz .LBB101_12
; %bb.11:                               ;   in Loop: Header=BB101_3 Depth=1
	v_add_co_u32 v3, vcc_lo, v54, v25
	v_add_co_ci_u32_e32 v4, vcc_lo, v55, v26, vcc_lo
	v_add_co_u32 v5, vcc_lo, v56, v25
	v_add_co_ci_u32_e32 v6, vcc_lo, v57, v26, vcc_lo
	global_load_u16 v1, v[3:4], off
	global_load_u16 v3, v[5:6], off
	s_waitcnt vmcnt(1)
	v_lshlrev_b32_e32 v18, 16, v1
	s_waitcnt vmcnt(0)
	v_lshlrev_b32_e32 v10, 16, v3
.LBB101_12:                             ;   in Loop: Header=BB101_3 Depth=1
	s_or_b32 exec_lo, exec_lo, s3
	v_add_co_u32 v3, vcc_lo, 0xffffffc3, v64
	v_add_co_ci_u32_e32 v4, vcc_lo, -1, v65, vcc_lo
	s_delay_alu instid0(VALU_DEP_1) | instskip(SKIP_1) | instid1(SALU_CYCLE_1)
	v_cmp_gt_i64_e32 vcc_lo, s[4:5], v[3:4]
	s_and_b32 s17, s2, vcc_lo
	s_and_saveexec_b32 s3, s17
	s_cbranch_execz .LBB101_14
; %bb.13:                               ;   in Loop: Header=BB101_3 Depth=1
	v_add_co_u32 v3, vcc_lo, v50, v25
	v_add_co_ci_u32_e32 v4, vcc_lo, v51, v26, vcc_lo
	v_add_co_u32 v5, vcc_lo, v52, v25
	v_add_co_ci_u32_e32 v6, vcc_lo, v53, v26, vcc_lo
	global_load_u16 v1, v[3:4], off
	global_load_u16 v3, v[5:6], off
	s_waitcnt vmcnt(1)
	v_lshlrev_b32_e32 v19, 16, v1
	s_waitcnt vmcnt(0)
	v_lshlrev_b32_e32 v11, 16, v3
.LBB101_14:                             ;   in Loop: Header=BB101_3 Depth=1
	;; [unrolled: 20-line block ×7, first 2 shown]
	s_or_b32 exec_lo, exec_lo, s3
	s_waitcnt vmcnt(1)
	ds_bpermute_b32 v1, v2, v66
	ds_bpermute_b32 v3, v2, v66 offset:4
	ds_bpermute_b32 v4, v2, v66 offset:8
	;; [unrolled: 1-line block ×3, first 2 shown]
	s_waitcnt vmcnt(0)
	ds_bpermute_b32 v5, v2, v67
	ds_bpermute_b32 v7, v2, v67 offset:4
	ds_bpermute_b32 v8, v2, v66 offset:16
	;; [unrolled: 1-line block ×5, first 2 shown]
	s_waitcnt lgkmcnt(9)
	v_sub_f32_e32 v1, v9, v1
	v_add_f32_e32 v9, v59, v17
	s_waitcnt lgkmcnt(7)
	v_sub_f32_e32 v4, v11, v4
	s_waitcnt lgkmcnt(6)
	v_dual_sub_f32 v6, v12, v6 :: v_dual_sub_f32 v3, v10, v3
	v_mul_f32_e32 v1, v17, v1
	ds_bpermute_b32 v10, v2, v67 offset:16
	ds_bpermute_b32 v17, v2, v66 offset:24
	v_mul_f32_e32 v6, v20, v6
	v_dual_mul_f32 v4, v19, v4 :: v_dual_mul_f32 v3, v18, v3
	s_waitcnt lgkmcnt(5)
	v_sub_f32_e32 v8, v13, v8
	v_fma_f32 v1, v1, v5, v63
	ds_bpermute_b32 v5, v2, v67 offset:20
	ds_bpermute_b32 v11, v2, v67 offset:24
	v_dual_mul_f32 v8, v21, v8 :: v_dual_fmac_f32 v1, v3, v7
	v_add_f32_e32 v7, v18, v9
	ds_bpermute_b32 v3, v2, v67 offset:28
	s_waitcnt lgkmcnt(7)
	v_fmac_f32_e32 v1, v4, v68
	v_add_f32_e32 v7, v19, v7
	ds_bpermute_b32 v4, v2, v66 offset:28
	s_waitcnt lgkmcnt(6)
	v_sub_f32_e32 v9, v14, v70
	v_dual_fmac_f32 v1, v6, v69 :: v_dual_add_f32 v6, v20, v7
	s_waitcnt lgkmcnt(4)
	v_sub_f32_e32 v7, v15, v17
	s_delay_alu instid0(VALU_DEP_3) | instskip(NEXT) | instid1(VALU_DEP_3)
	v_mul_f32_e32 v9, v22, v9
	v_fmac_f32_e32 v1, v8, v10
	s_delay_alu instid0(VALU_DEP_3) | instskip(SKIP_1) | instid1(VALU_DEP_2)
	v_dual_add_f32 v6, v21, v6 :: v_dual_mul_f32 v7, v23, v7
	s_waitcnt lgkmcnt(3)
	v_fmac_f32_e32 v1, v9, v5
	s_delay_alu instid0(VALU_DEP_2) | instskip(SKIP_1) | instid1(VALU_DEP_2)
	v_add_f32_e32 v5, v22, v6
	s_waitcnt lgkmcnt(2)
	v_fmac_f32_e32 v1, v7, v11
	s_delay_alu instid0(VALU_DEP_2)
	v_add_f32_e32 v5, v23, v5
	s_branch .LBB101_40
.LBB101_25:                             ;   in Loop: Header=BB101_3 Depth=1
                                        ; implicit-def: $vgpr3
                                        ; implicit-def: $vgpr9_vgpr10_vgpr11_vgpr12_vgpr13_vgpr14_vgpr15_vgpr16
                                        ; implicit-def: $vgpr17_vgpr18_vgpr19_vgpr20_vgpr21_vgpr22_vgpr23_vgpr24
                                        ; implicit-def: $vgpr4
                                        ; implicit-def: $vgpr1
                                        ; implicit-def: $vgpr5
	s_cbranch_execz .LBB101_40
; %bb.26:                               ;   in Loop: Header=BB101_3 Depth=1
	s_load_b32 s3, s[30:31], 0x0
	v_dual_mov_b32 v67, 0 :: v_dual_mov_b32 v66, 0
	s_waitcnt lgkmcnt(0)
	s_cmp_lt_u32 s14, s3
	s_cselect_b32 s3, 12, 18
	s_delay_alu instid0(SALU_CYCLE_1)
	s_add_u32 s18, s30, s3
	s_addc_u32 s19, s31, 0
	s_mov_b32 s3, exec_lo
	global_load_u16 v1, v2, s[18:19]
	s_waitcnt vmcnt(0)
	v_mad_u32_u24 v1, v27, v1, v29
	s_delay_alu instid0(VALU_DEP_1) | instskip(NEXT) | instid1(VALU_DEP_1)
	v_and_b32_e32 v1, 31, v1
	v_cmpx_gt_u32_e32 8, v1
	s_cbranch_execz .LBB101_30
; %bb.27:                               ;   in Loop: Header=BB101_3 Depth=1
	v_add_co_u32 v1, vcc_lo, v64, v1
	v_add_co_ci_u32_e32 v4, vcc_lo, 0, v65, vcc_lo
	v_dual_mov_b32 v66, 0 :: v_dual_mov_b32 v67, 0
	s_delay_alu instid0(VALU_DEP_3) | instskip(NEXT) | instid1(VALU_DEP_3)
	v_add_co_u32 v3, vcc_lo, 0xffffffc1, v1
	v_add_co_ci_u32_e32 v4, vcc_lo, -1, v4, vcc_lo
	s_mov_b32 s17, exec_lo
	s_delay_alu instid0(VALU_DEP_1)
	v_cmpx_gt_i64_e64 s[4:5], v[3:4]
	s_cbranch_execz .LBB101_29
; %bb.28:                               ;   in Loop: Header=BB101_3 Depth=1
	v_lshlrev_b64 v[3:4], 2, v[3:4]
	s_delay_alu instid0(VALU_DEP_1) | instskip(NEXT) | instid1(VALU_DEP_2)
	v_add_co_u32 v5, vcc_lo, s24, v3
	v_add_co_ci_u32_e32 v6, vcc_lo, s25, v4, vcc_lo
	v_add_co_u32 v3, vcc_lo, s26, v3
	v_add_co_ci_u32_e32 v4, vcc_lo, s27, v4, vcc_lo
	global_load_b32 v66, v[5:6], off
	global_load_b32 v67, v[3:4], off
.LBB101_29:                             ;   in Loop: Header=BB101_3 Depth=1
	s_or_b32 exec_lo, exec_lo, s17
.LBB101_30:                             ;   in Loop: Header=BB101_3 Depth=1
	s_delay_alu instid0(SALU_CYCLE_1)
	s_or_b32 exec_lo, exec_lo, s3
	s_mov_b32 s22, s16
	s_mov_b32 s23, s16
	;; [unrolled: 1-line block ×7, first 2 shown]
	v_dual_mov_b32 v9, s16 :: v_dual_mov_b32 v10, s17
	v_dual_mov_b32 v15, s22 :: v_dual_mov_b32 v16, s23
	;; [unrolled: 1-line block ×4, first 2 shown]
	s_delay_alu instid0(VALU_DEP_3) | instskip(NEXT) | instid1(VALU_DEP_3)
	v_dual_mov_b32 v24, v16 :: v_dual_mov_b32 v23, v15
	v_dual_mov_b32 v20, v12 :: v_dual_mov_b32 v19, v11
	s_delay_alu instid0(VALU_DEP_3)
	v_dual_mov_b32 v22, v14 :: v_dual_mov_b32 v21, v13
	v_dual_mov_b32 v18, v10 :: v_dual_mov_b32 v17, v9
	s_and_saveexec_b32 s3, s2
	s_cbranch_execnz .LBB101_42
; %bb.31:                               ;   in Loop: Header=BB101_3 Depth=1
	s_or_b32 exec_lo, exec_lo, s3
	s_and_saveexec_b32 s3, s2
	s_cbranch_execnz .LBB101_43
.LBB101_32:                             ;   in Loop: Header=BB101_3 Depth=1
	s_or_b32 exec_lo, exec_lo, s3
	s_and_saveexec_b32 s3, s2
	s_cbranch_execnz .LBB101_44
.LBB101_33:                             ;   in Loop: Header=BB101_3 Depth=1
	s_or_b32 exec_lo, exec_lo, s3
	s_and_saveexec_b32 s3, s2
	s_cbranch_execnz .LBB101_45
.LBB101_34:                             ;   in Loop: Header=BB101_3 Depth=1
	s_or_b32 exec_lo, exec_lo, s3
	s_and_saveexec_b32 s3, s2
	s_cbranch_execnz .LBB101_46
.LBB101_35:                             ;   in Loop: Header=BB101_3 Depth=1
	s_or_b32 exec_lo, exec_lo, s3
	s_and_saveexec_b32 s3, s2
	s_cbranch_execnz .LBB101_47
.LBB101_36:                             ;   in Loop: Header=BB101_3 Depth=1
	s_or_b32 exec_lo, exec_lo, s3
	s_and_saveexec_b32 s3, s2
	s_cbranch_execnz .LBB101_48
.LBB101_37:                             ;   in Loop: Header=BB101_3 Depth=1
	s_or_b32 exec_lo, exec_lo, s3
	s_and_saveexec_b32 s3, s2
	s_cbranch_execz .LBB101_39
.LBB101_38:                             ;   in Loop: Header=BB101_3 Depth=1
	v_add_co_u32 v3, vcc_lo, v30, v25
	v_add_co_ci_u32_e32 v4, vcc_lo, v31, v26, vcc_lo
	v_add_co_u32 v5, vcc_lo, v32, v25
	v_add_co_ci_u32_e32 v6, vcc_lo, v33, v26, vcc_lo
	global_load_u16 v1, v[3:4], off
	global_load_u16 v3, v[5:6], off
	s_waitcnt vmcnt(1)
	v_lshlrev_b32_e32 v24, 16, v1
	s_waitcnt vmcnt(0)
	v_lshlrev_b32_e32 v16, 16, v3
.LBB101_39:                             ;   in Loop: Header=BB101_3 Depth=1
	s_or_b32 exec_lo, exec_lo, s3
	s_waitcnt vmcnt(1)
	ds_bpermute_b32 v1, v2, v66
	ds_bpermute_b32 v3, v2, v66 offset:4
	ds_bpermute_b32 v4, v2, v66 offset:8
	s_waitcnt vmcnt(0)
	ds_bpermute_b32 v5, v2, v67
	ds_bpermute_b32 v6, v2, v66 offset:12
	ds_bpermute_b32 v7, v2, v67 offset:4
	;; [unrolled: 1-line block ×5, first 2 shown]
	s_waitcnt lgkmcnt(8)
	v_sub_f32_e32 v1, v9, v1
	ds_bpermute_b32 v9, v2, v67 offset:12
	s_waitcnt lgkmcnt(7)
	v_dual_sub_f32 v4, v11, v4 :: v_dual_sub_f32 v3, v10, v3
	v_add_f32_e32 v10, v59, v17
	s_waitcnt lgkmcnt(5)
	v_dual_mul_f32 v1, v17, v1 :: v_dual_sub_f32 v6, v12, v6
	ds_bpermute_b32 v17, v2, v67 offset:16
	v_dual_mul_f32 v3, v18, v3 :: v_dual_mul_f32 v4, v19, v4
	v_dual_fmac_f32 v63, v1, v5 :: v_dual_mul_f32 v6, v20, v6
	ds_bpermute_b32 v1, v2, v66 offset:24
	ds_bpermute_b32 v5, v2, v67 offset:20
	s_waitcnt lgkmcnt(4)
	v_sub_f32_e32 v11, v14, v65
	v_fmac_f32_e32 v63, v3, v7
	v_add_f32_e32 v3, v18, v10
	v_sub_f32_e32 v7, v13, v8
	ds_bpermute_b32 v8, v2, v67 offset:24
	v_dual_fmac_f32 v63, v4, v64 :: v_dual_add_f32 v10, v19, v3
	v_mul_f32_e32 v7, v21, v7
	ds_bpermute_b32 v3, v2, v67 offset:28
	ds_bpermute_b32 v4, v2, v66 offset:28
	s_waitcnt lgkmcnt(6)
	v_dual_fmac_f32 v63, v6, v9 :: v_dual_add_f32 v6, v20, v10
	v_mul_f32_e32 v9, v22, v11
	s_waitcnt lgkmcnt(5)
	s_delay_alu instid0(VALU_DEP_2) | instskip(SKIP_3) | instid1(VALU_DEP_2)
	v_dual_fmac_f32 v63, v7, v17 :: v_dual_add_f32 v6, v21, v6
	s_waitcnt lgkmcnt(4)
	v_sub_f32_e32 v1, v15, v1
	s_waitcnt lgkmcnt(3)
	v_fmac_f32_e32 v63, v9, v5
	v_add_f32_e32 v5, v22, v6
	s_delay_alu instid0(VALU_DEP_3) | instskip(NEXT) | instid1(VALU_DEP_2)
	v_mul_f32_e32 v1, v23, v1
	v_add_f32_e32 v5, v23, v5
	s_waitcnt lgkmcnt(2)
	s_delay_alu instid0(VALU_DEP_2) | instskip(NEXT) | instid1(VALU_DEP_1)
	v_fmac_f32_e32 v63, v1, v8
	v_mov_b32_e32 v1, v63
.LBB101_40:                             ;   in Loop: Header=BB101_3 Depth=1
	v_add_co_u32 v30, vcc_lo, v30, s34
	v_add_co_ci_u32_e32 v31, vcc_lo, s35, v31, vcc_lo
	v_add_co_u32 v32, vcc_lo, v32, s34
	v_add_co_ci_u32_e32 v33, vcc_lo, s35, v33, vcc_lo
	;; [unrolled: 2-line block ×12, first 2 shown]
	v_add_co_u32 v54, vcc_lo, v54, s34
	s_waitcnt lgkmcnt(0)
	v_sub_f32_e32 v4, v16, v4
	v_add_co_ci_u32_e32 v55, vcc_lo, s35, v55, vcc_lo
	v_add_co_u32 v56, vcc_lo, v56, s34
	s_add_u32 s38, s38, s28
	v_add_co_ci_u32_e32 v57, vcc_lo, s35, v57, vcc_lo
	v_mul_f32_e32 v4, v24, v4
	s_addc_u32 s39, s39, 0
	v_add_co_u32 v58, vcc_lo, v58, s34
	v_cmp_lt_i64_e64 s3, s[38:39], s[4:5]
	v_add_co_ci_u32_e32 v60, vcc_lo, s35, v60, vcc_lo
	v_add_co_u32 v61, vcc_lo, v61, s34
	v_add_f32_e32 v59, v5, v24
	v_fmac_f32_e32 v1, v4, v3
	v_add_co_ci_u32_e32 v62, vcc_lo, s35, v62, vcc_lo
	s_add_u32 s36, s36, s28
	s_addc_u32 s37, s37, 0
	s_and_b32 vcc_lo, exec_lo, s3
	s_cbranch_vccz .LBB101_50
; %bb.41:                               ;   in Loop: Header=BB101_3 Depth=1
	v_mov_b32_e32 v63, v1
	s_branch .LBB101_3
.LBB101_42:                             ;   in Loop: Header=BB101_3 Depth=1
	v_add_co_u32 v3, vcc_lo, v58, v25
	v_add_co_ci_u32_e32 v4, vcc_lo, v60, v26, vcc_lo
	v_add_co_u32 v5, vcc_lo, v61, v25
	v_add_co_ci_u32_e32 v6, vcc_lo, v62, v26, vcc_lo
	v_mov_b32_e32 v8, v2
	global_load_u16 v1, v[3:4], off
	global_load_u16 v9, v[5:6], off
	v_mov_b32_e32 v3, v2
	v_mov_b32_e32 v4, v2
	;; [unrolled: 1-line block ×6, first 2 shown]
	s_waitcnt vmcnt(1)
	v_lshlrev_b32_e32 v1, 16, v1
	s_waitcnt vmcnt(0)
	v_lshlrev_b32_e32 v9, 16, v9
	v_dual_mov_b32 v11, v2 :: v_dual_mov_b32 v24, v8
	v_dual_mov_b32 v10, v2 :: v_dual_mov_b32 v23, v7
	;; [unrolled: 1-line block ×6, first 2 shown]
	v_mov_b32_e32 v22, v6
	v_mov_b32_e32 v18, v2
	s_or_b32 exec_lo, exec_lo, s3
	s_and_saveexec_b32 s3, s2
	s_cbranch_execz .LBB101_32
.LBB101_43:                             ;   in Loop: Header=BB101_3 Depth=1
	v_add_co_u32 v3, vcc_lo, v54, v25
	v_add_co_ci_u32_e32 v4, vcc_lo, v55, v26, vcc_lo
	v_add_co_u32 v5, vcc_lo, v56, v25
	v_add_co_ci_u32_e32 v6, vcc_lo, v57, v26, vcc_lo
	global_load_u16 v1, v[3:4], off
	global_load_u16 v3, v[5:6], off
	s_waitcnt vmcnt(1)
	v_lshlrev_b32_e32 v18, 16, v1
	s_waitcnt vmcnt(0)
	v_lshlrev_b32_e32 v10, 16, v3
	s_or_b32 exec_lo, exec_lo, s3
	s_and_saveexec_b32 s3, s2
	s_cbranch_execz .LBB101_33
.LBB101_44:                             ;   in Loop: Header=BB101_3 Depth=1
	v_add_co_u32 v3, vcc_lo, v50, v25
	v_add_co_ci_u32_e32 v4, vcc_lo, v51, v26, vcc_lo
	v_add_co_u32 v5, vcc_lo, v52, v25
	v_add_co_ci_u32_e32 v6, vcc_lo, v53, v26, vcc_lo
	global_load_u16 v1, v[3:4], off
	global_load_u16 v3, v[5:6], off
	s_waitcnt vmcnt(1)
	v_lshlrev_b32_e32 v19, 16, v1
	s_waitcnt vmcnt(0)
	v_lshlrev_b32_e32 v11, 16, v3
	s_or_b32 exec_lo, exec_lo, s3
	s_and_saveexec_b32 s3, s2
	s_cbranch_execz .LBB101_34
.LBB101_45:                             ;   in Loop: Header=BB101_3 Depth=1
	v_add_co_u32 v3, vcc_lo, v46, v25
	v_add_co_ci_u32_e32 v4, vcc_lo, v47, v26, vcc_lo
	v_add_co_u32 v5, vcc_lo, v48, v25
	v_add_co_ci_u32_e32 v6, vcc_lo, v49, v26, vcc_lo
	global_load_u16 v1, v[3:4], off
	global_load_u16 v3, v[5:6], off
	s_waitcnt vmcnt(1)
	v_lshlrev_b32_e32 v20, 16, v1
	s_waitcnt vmcnt(0)
	v_lshlrev_b32_e32 v12, 16, v3
	s_or_b32 exec_lo, exec_lo, s3
	s_and_saveexec_b32 s3, s2
	s_cbranch_execz .LBB101_35
.LBB101_46:                             ;   in Loop: Header=BB101_3 Depth=1
	v_add_co_u32 v3, vcc_lo, v42, v25
	v_add_co_ci_u32_e32 v4, vcc_lo, v43, v26, vcc_lo
	v_add_co_u32 v5, vcc_lo, v44, v25
	v_add_co_ci_u32_e32 v6, vcc_lo, v45, v26, vcc_lo
	global_load_u16 v1, v[3:4], off
	global_load_u16 v3, v[5:6], off
	s_waitcnt vmcnt(1)
	v_lshlrev_b32_e32 v21, 16, v1
	s_waitcnt vmcnt(0)
	v_lshlrev_b32_e32 v13, 16, v3
	s_or_b32 exec_lo, exec_lo, s3
	s_and_saveexec_b32 s3, s2
	s_cbranch_execz .LBB101_36
.LBB101_47:                             ;   in Loop: Header=BB101_3 Depth=1
	v_add_co_u32 v3, vcc_lo, v38, v25
	v_add_co_ci_u32_e32 v4, vcc_lo, v39, v26, vcc_lo
	v_add_co_u32 v5, vcc_lo, v40, v25
	v_add_co_ci_u32_e32 v6, vcc_lo, v41, v26, vcc_lo
	global_load_u16 v1, v[3:4], off
	global_load_u16 v3, v[5:6], off
	s_waitcnt vmcnt(1)
	v_lshlrev_b32_e32 v22, 16, v1
	s_waitcnt vmcnt(0)
	v_lshlrev_b32_e32 v14, 16, v3
	s_or_b32 exec_lo, exec_lo, s3
	s_and_saveexec_b32 s3, s2
	s_cbranch_execz .LBB101_37
.LBB101_48:                             ;   in Loop: Header=BB101_3 Depth=1
	v_add_co_u32 v3, vcc_lo, v34, v25
	v_add_co_ci_u32_e32 v4, vcc_lo, v35, v26, vcc_lo
	v_add_co_u32 v5, vcc_lo, v36, v25
	v_add_co_ci_u32_e32 v6, vcc_lo, v37, v26, vcc_lo
	global_load_u16 v1, v[3:4], off
	global_load_u16 v3, v[5:6], off
	s_waitcnt vmcnt(1)
	v_lshlrev_b32_e32 v23, 16, v1
	s_waitcnt vmcnt(0)
	v_lshlrev_b32_e32 v15, 16, v3
	s_or_b32 exec_lo, exec_lo, s3
	s_and_saveexec_b32 s3, s2
	s_cbranch_execnz .LBB101_38
	s_branch .LBB101_39
.LBB101_49:
	s_mov_b32 s29, -1
                                        ; implicit-def: $vgpr1
                                        ; implicit-def: $vgpr59
.LBB101_50:
	s_delay_alu instid0(SALU_CYCLE_1)
	s_and_not1_b32 vcc_lo, exec_lo, s29
	s_cbranch_vccnz .LBB101_83
; %bb.51:
	v_mov_b32_e32 v1, 0
	v_mov_b32_e32 v59, 0
	s_and_not1_b32 vcc_lo, exec_lo, s15
	s_mov_b32 s16, 0
	s_cbranch_vccnz .LBB101_83
; %bb.52:
	s_load_b32 s2, s[0:1], 0x44
	v_dual_mov_b32 v2, 0 :: v_dual_and_b32 v55, 0x3ff, v0
	v_bfe_u32 v56, v0, 10, 10
	s_add_u32 s28, s0, 64
	s_addc_u32 s29, s1, 0
	s_delay_alu instid0(VALU_DEP_2) | instskip(NEXT) | instid1(VALU_DEP_2)
	v_dual_mov_b32 v92, 0 :: v_dual_add_nc_u32 v1, s33, v55
	v_lshlrev_b32_e32 v3, 4, v56
	v_lshlrev_b32_e32 v57, 3, v56
	v_mov_b32_e32 v91, 0
	s_delay_alu instid0(VALU_DEP_4)
	v_lshlrev_b64 v[25:26], 1, v[1:2]
	s_waitcnt lgkmcnt(0)
	s_lshl_b32 s15, s2, 6
	s_add_u32 s30, s12, 63
	s_addc_u32 s31, 0, 0
	s_lshl_b64 s[2:3], s[12:13], 1
	s_mul_i32 s17, s7, s15
	v_add_co_u32 v1, s2, v3, s2
	s_delay_alu instid0(VALU_DEP_1) | instskip(SKIP_1) | instid1(VALU_DEP_3)
	v_add_co_ci_u32_e64 v3, null, 0, s3, s2
	v_add_co_u32 v59, s3, v57, s12
	v_add_co_u32 v7, vcc_lo, v1, 2
	s_delay_alu instid0(VALU_DEP_3) | instskip(SKIP_3) | instid1(VALU_DEP_4)
	v_add_co_ci_u32_e32 v4, vcc_lo, 0, v3, vcc_lo
	v_add_co_u32 v8, vcc_lo, v1, 4
	v_add_co_ci_u32_e32 v5, vcc_lo, 0, v3, vcc_lo
	v_add_co_u32 v11, vcc_lo, v1, 6
	v_mul_lo_u32 v9, s6, v4
	v_add_co_ci_u32_e32 v4, vcc_lo, 0, v3, vcc_lo
	v_add_co_u32 v14, vcc_lo, v1, 8
	v_mul_lo_u32 v12, s6, v5
	;; [unrolled: 3-line block ×4, first 2 shown]
	v_add_co_ci_u32_e32 v5, vcc_lo, 0, v3, vcc_lo
	v_add_co_ci_u32_e64 v75, null, 0, 0, s3
	v_add_co_u32 v1, vcc_lo, v1, 14
	v_mul_lo_u32 v21, s6, v4
	s_delay_alu instid0(VALU_DEP_4) | instskip(SKIP_4) | instid1(VALU_DEP_4)
	v_mul_lo_u32 v23, s6, v5
	v_add_co_ci_u32_e32 v5, vcc_lo, 0, v3, vcc_lo
	v_mul_lo_u32 v6, s7, v59
	v_mul_lo_u32 v41, s6, v75
	v_mad_u64_u32 v[3:4], null, s6, v59, 0
	v_mul_lo_u32 v61, s6, v5
	v_mad_u64_u32 v[27:28], null, s6, v7, s[8:9]
	v_mul_lo_u32 v10, s7, v7
	v_mad_u64_u32 v[29:30], null, s6, v8, s[8:9]
	v_add3_u32 v4, v4, v41, v6
	v_mad_u64_u32 v[41:42], null, s6, v7, s[10:11]
	v_mul_lo_u32 v13, s7, v8
	v_mad_u64_u32 v[43:44], null, s6, v8, s[10:11]
	s_delay_alu instid0(VALU_DEP_4)
	v_lshlrev_b64 v[5:6], 1, v[3:4]
	v_add3_u32 v28, v10, v28, v9
	v_mad_u64_u32 v[31:32], null, s6, v11, s[8:9]
	v_add3_u32 v42, v10, v42, v9
	v_add3_u32 v30, v13, v30, v12
	v_add_co_u32 v58, vcc_lo, s8, v5
	v_add_co_ci_u32_e32 v60, vcc_lo, s9, v6, vcc_lo
	v_add_co_u32 v9, vcc_lo, v59, 7
	v_add_co_ci_u32_e32 v7, vcc_lo, 0, v75, vcc_lo
	v_add3_u32 v44, v13, v44, v12
	v_add_co_u32 v12, vcc_lo, v59, 6
	v_mul_lo_u32 v16, s7, v11
	v_mad_u64_u32 v[39:40], null, s6, v1, s[8:9]
	v_mul_lo_u32 v62, s7, v1
	v_mad_u64_u32 v[45:46], null, s6, v11, s[10:11]
	v_mad_u64_u32 v[53:54], null, s6, v1, s[10:11]
	v_mul_lo_u32 v1, s7, v9
	v_mul_lo_u32 v11, s6, v7
	v_mad_u64_u32 v[7:8], null, s6, v9, 0
	v_add_co_ci_u32_e32 v10, vcc_lo, 0, v75, vcc_lo
	v_mad_u64_u32 v[33:34], null, s6, v14, s[8:9]
	v_mul_lo_u32 v19, s7, v14
	v_mad_u64_u32 v[47:48], null, s6, v14, s[10:11]
	v_mul_lo_u32 v13, s7, v12
	v_mul_lo_u32 v14, s6, v10
	v_mad_u64_u32 v[9:10], null, s6, v12, 0
	v_add3_u32 v8, v8, v11, v1
	v_add3_u32 v40, v62, v40, v61
	;; [unrolled: 1-line block ×3, first 2 shown]
	v_add_co_u32 v61, vcc_lo, s10, v5
	v_add_co_ci_u32_e32 v62, vcc_lo, s11, v6, vcc_lo
	v_lshlrev_b64 v[5:6], 1, v[7:8]
	v_add3_u32 v10, v10, v14, v13
	v_add_co_u32 v1, vcc_lo, v59, 5
	v_add_co_ci_u32_e32 v11, vcc_lo, 0, v75, vcc_lo
	s_delay_alu instid0(VALU_DEP_4) | instskip(NEXT) | instid1(VALU_DEP_4)
	v_add_co_u32 v63, vcc_lo, s8, v5
	v_lshlrev_b64 v[7:8], 1, v[9:10]
	v_add_co_ci_u32_e32 v64, vcc_lo, s9, v6, vcc_lo
	v_mul_lo_u32 v12, s7, v1
	v_mul_lo_u32 v11, s6, v11
	v_mad_u64_u32 v[9:10], null, s6, v1, 0
	v_add_co_u32 v65, vcc_lo, s10, v5
	v_add_co_ci_u32_e32 v66, vcc_lo, s11, v6, vcc_lo
	v_add_co_u32 v67, vcc_lo, s8, v7
	v_add_co_ci_u32_e32 v68, vcc_lo, s9, v8, vcc_lo
	s_mul_hi_u32 s2, s6, s15
	v_add_co_u32 v1, vcc_lo, v59, 4
	v_add3_u32 v10, v10, v11, v12
	s_add_i32 s3, s2, s17
	v_add_co_u32 v69, s2, s10, v7
	v_add_co_ci_u32_e32 v7, vcc_lo, 0, v75, vcc_lo
	v_add_co_u32 v12, vcc_lo, v59, 3
	v_lshlrev_b64 v[5:6], 1, v[9:10]
	v_add_co_ci_u32_e32 v9, vcc_lo, 0, v75, vcc_lo
	v_add_co_ci_u32_e64 v70, s2, s11, v8, s2
	v_mul_lo_u32 v11, s7, v1
	v_mul_lo_u32 v13, s6, v7
	v_mad_u64_u32 v[7:8], null, s6, v1, 0
	v_mul_lo_u32 v1, s7, v12
	v_mul_lo_u32 v14, s6, v9
	v_mad_u64_u32 v[9:10], null, s6, v12, 0
	v_add_co_u32 v71, vcc_lo, s8, v5
	v_add_co_ci_u32_e32 v72, vcc_lo, s9, v6, vcc_lo
	v_add3_u32 v8, v8, v13, v11
	v_add_co_u32 v73, vcc_lo, s10, v5
	v_add_co_ci_u32_e32 v74, vcc_lo, s11, v6, vcc_lo
	v_add3_u32 v10, v10, v14, v1
	v_add_co_u32 v1, vcc_lo, v59, 2
	v_lshlrev_b64 v[5:6], 1, v[7:8]
	v_add_co_ci_u32_e32 v11, vcc_lo, 0, v75, vcc_lo
	s_delay_alu instid0(VALU_DEP_4) | instskip(NEXT) | instid1(VALU_DEP_4)
	v_lshlrev_b64 v[7:8], 1, v[9:10]
	v_mul_lo_u32 v12, s7, v1
	v_mad_u64_u32 v[9:10], null, s6, v1, 0
	v_add_co_u32 v75, vcc_lo, s8, v5
	v_mul_lo_u32 v11, s6, v11
	v_add_co_ci_u32_e32 v76, vcc_lo, s9, v6, vcc_lo
	v_add_co_u32 v77, vcc_lo, s10, v5
	v_add_co_ci_u32_e32 v78, vcc_lo, s11, v6, vcc_lo
	v_add_co_u32 v79, vcc_lo, s8, v7
	v_add_co_ci_u32_e32 v80, vcc_lo, s9, v8, vcc_lo
	v_add3_u32 v10, v10, v11, v12
	v_add_co_u32 v81, vcc_lo, s10, v7
	v_add_co_ci_u32_e32 v82, vcc_lo, s11, v8, vcc_lo
	v_add_co_u32 v3, vcc_lo, v3, s6
	s_delay_alu instid0(VALU_DEP_4) | instskip(SKIP_3) | instid1(VALU_DEP_4)
	v_lshlrev_b64 v[5:6], 1, v[9:10]
	v_add_co_ci_u32_e32 v4, vcc_lo, s7, v4, vcc_lo
	v_mad_u64_u32 v[35:36], null, s6, v18, s[8:9]
	v_mul_lo_u32 v22, s7, v18
	v_add_co_u32 v83, vcc_lo, s8, v5
	s_delay_alu instid0(VALU_DEP_4)
	v_lshlrev_b64 v[3:4], 1, v[3:4]
	v_add_co_ci_u32_e32 v84, vcc_lo, s9, v6, vcc_lo
	v_mad_u64_u32 v[37:38], null, s6, v20, s[8:9]
	v_mul_lo_u32 v24, s7, v20
	v_mad_u64_u32 v[49:50], null, s6, v18, s[10:11]
	v_mad_u64_u32 v[51:52], null, s6, v20, s[10:11]
	v_add_co_u32 v85, vcc_lo, s10, v5
	v_add_co_ci_u32_e32 v86, vcc_lo, s11, v6, vcc_lo
	v_add_co_u32 v87, vcc_lo, s8, v3
	v_add_co_ci_u32_e32 v88, vcc_lo, s9, v4, vcc_lo
	v_add_co_u32 v89, vcc_lo, s10, v3
	v_add3_u32 v32, v16, v32, v15
	v_add3_u32 v34, v19, v34, v17
	;; [unrolled: 1-line block ×8, first 2 shown]
	v_add_co_ci_u32_e32 v90, vcc_lo, s11, v4, vcc_lo
	s_mul_i32 s2, s6, s15
	s_delay_alu instid0(SALU_CYCLE_1)
	s_lshl_b64 s[2:3], s[2:3], 1
.LBB101_53:                             ; =>This Inner Loop Header: Depth=1
	v_cmp_ge_i64_e64 s8, s[30:31], s[4:5]
	v_add_co_u32 v93, s9, v57, s30
	s_delay_alu instid0(VALU_DEP_1) | instskip(NEXT) | instid1(VALU_DEP_3)
	v_add_co_ci_u32_e64 v94, null, 0, s31, s9
	s_and_b32 vcc_lo, exec_lo, s8
	s_cbranch_vccz .LBB101_75
; %bb.54:                               ;   in Loop: Header=BB101_53 Depth=1
	s_load_b32 s8, s[28:29], 0xc
	v_mov_b32_e32 v95, 0
	v_mov_b32_e32 v59, 0
	s_waitcnt lgkmcnt(0)
	s_and_b32 s8, s8, 0xffff
	s_delay_alu instid0(SALU_CYCLE_1) | instskip(SKIP_1) | instid1(VALU_DEP_1)
	v_mad_u32_u24 v1, v56, s8, v55
	s_mov_b32 s8, exec_lo
	v_and_b32_e32 v1, 31, v1
	s_delay_alu instid0(VALU_DEP_1)
	v_cmpx_gt_u32_e32 8, v1
	s_cbranch_execz .LBB101_58
; %bb.55:                               ;   in Loop: Header=BB101_53 Depth=1
	v_add_co_u32 v1, vcc_lo, v93, v1
	v_add_co_ci_u32_e32 v4, vcc_lo, 0, v94, vcc_lo
	v_mov_b32_e32 v59, 0
	s_delay_alu instid0(VALU_DEP_3) | instskip(NEXT) | instid1(VALU_DEP_3)
	v_add_co_u32 v3, vcc_lo, 0xffffffc1, v1
	v_add_co_ci_u32_e32 v4, vcc_lo, -1, v4, vcc_lo
	v_mov_b32_e32 v95, 0
	s_mov_b32 s9, exec_lo
	s_delay_alu instid0(VALU_DEP_2)
	v_cmpx_gt_i64_e64 s[4:5], v[3:4]
	s_cbranch_execz .LBB101_57
; %bb.56:                               ;   in Loop: Header=BB101_53 Depth=1
	v_lshlrev_b64 v[3:4], 2, v[3:4]
	s_delay_alu instid0(VALU_DEP_1) | instskip(NEXT) | instid1(VALU_DEP_2)
	v_add_co_u32 v5, vcc_lo, s24, v3
	v_add_co_ci_u32_e32 v6, vcc_lo, s25, v4, vcc_lo
	v_add_co_u32 v3, vcc_lo, s26, v3
	v_add_co_ci_u32_e32 v4, vcc_lo, s27, v4, vcc_lo
	global_load_b32 v59, v[5:6], off
	global_load_b32 v95, v[3:4], off
.LBB101_57:                             ;   in Loop: Header=BB101_53 Depth=1
	s_or_b32 exec_lo, exec_lo, s9
.LBB101_58:                             ;   in Loop: Header=BB101_53 Depth=1
	s_delay_alu instid0(SALU_CYCLE_1)
	s_or_b32 exec_lo, exec_lo, s8
	s_mov_b32 s22, s16
	s_mov_b32 s23, s16
	;; [unrolled: 1-line block ×7, first 2 shown]
	v_dual_mov_b32 v9, s16 :: v_dual_mov_b32 v10, s17
	v_dual_mov_b32 v15, s22 :: v_dual_mov_b32 v16, s23
	v_dual_mov_b32 v11, s18 :: v_dual_mov_b32 v12, s19
	v_dual_mov_b32 v13, s20 :: v_dual_mov_b32 v14, s21
	v_add_co_u32 v3, vcc_lo, 0xffffffc1, v93
	s_delay_alu instid0(VALU_DEP_4) | instskip(SKIP_1) | instid1(VALU_DEP_4)
	v_dual_mov_b32 v24, v16 :: v_dual_mov_b32 v23, v15
	v_add_co_ci_u32_e32 v4, vcc_lo, -1, v94, vcc_lo
	v_dual_mov_b32 v22, v14 :: v_dual_mov_b32 v21, v13
	v_dual_mov_b32 v20, v12 :: v_dual_mov_b32 v19, v11
	;; [unrolled: 1-line block ×3, first 2 shown]
	s_mov_b32 s8, exec_lo
	v_cmpx_gt_i64_e64 s[4:5], v[3:4]
	s_cbranch_execz .LBB101_60
; %bb.59:                               ;   in Loop: Header=BB101_53 Depth=1
	v_add_co_u32 v3, vcc_lo, v58, v25
	v_add_co_ci_u32_e32 v4, vcc_lo, v60, v26, vcc_lo
	v_add_co_u32 v5, vcc_lo, v61, v25
	v_add_co_ci_u32_e32 v6, vcc_lo, v62, v26, vcc_lo
	v_mov_b32_e32 v8, v2
	global_load_u16 v1, v[3:4], off
	global_load_u16 v9, v[5:6], off
	v_mov_b32_e32 v3, v2
	v_mov_b32_e32 v4, v2
	v_mov_b32_e32 v5, v2
	v_mov_b32_e32 v6, v2
	v_mov_b32_e32 v7, v2
	v_mov_b32_e32 v15, v2
	s_waitcnt vmcnt(1)
	v_lshlrev_b32_e32 v1, 16, v1
	s_waitcnt vmcnt(0)
	v_lshlrev_b32_e32 v9, 16, v9
	v_dual_mov_b32 v11, v2 :: v_dual_mov_b32 v24, v8
	v_dual_mov_b32 v10, v2 :: v_dual_mov_b32 v23, v7
	;; [unrolled: 1-line block ×6, first 2 shown]
	v_mov_b32_e32 v22, v6
	v_mov_b32_e32 v18, v2
.LBB101_60:                             ;   in Loop: Header=BB101_53 Depth=1
	s_or_b32 exec_lo, exec_lo, s8
	v_add_co_u32 v3, vcc_lo, 0xffffffc2, v93
	v_add_co_ci_u32_e32 v4, vcc_lo, -1, v94, vcc_lo
	s_mov_b32 s8, exec_lo
	s_delay_alu instid0(VALU_DEP_1)
	v_cmpx_gt_i64_e64 s[4:5], v[3:4]
	s_cbranch_execz .LBB101_62
; %bb.61:                               ;   in Loop: Header=BB101_53 Depth=1
	v_add_co_u32 v3, vcc_lo, v87, v25
	v_add_co_ci_u32_e32 v4, vcc_lo, v88, v26, vcc_lo
	v_add_co_u32 v5, vcc_lo, v89, v25
	v_add_co_ci_u32_e32 v6, vcc_lo, v90, v26, vcc_lo
	global_load_u16 v1, v[3:4], off
	global_load_u16 v3, v[5:6], off
	s_waitcnt vmcnt(1)
	v_lshlrev_b32_e32 v18, 16, v1
	s_waitcnt vmcnt(0)
	v_lshlrev_b32_e32 v10, 16, v3
.LBB101_62:                             ;   in Loop: Header=BB101_53 Depth=1
	s_or_b32 exec_lo, exec_lo, s8
	v_add_co_u32 v3, vcc_lo, 0xffffffc3, v93
	v_add_co_ci_u32_e32 v4, vcc_lo, -1, v94, vcc_lo
	s_mov_b32 s8, exec_lo
	s_delay_alu instid0(VALU_DEP_1)
	v_cmpx_gt_i64_e64 s[4:5], v[3:4]
	s_cbranch_execz .LBB101_64
; %bb.63:                               ;   in Loop: Header=BB101_53 Depth=1
	v_add_co_u32 v3, vcc_lo, v83, v25
	v_add_co_ci_u32_e32 v4, vcc_lo, v84, v26, vcc_lo
	v_add_co_u32 v5, vcc_lo, v85, v25
	v_add_co_ci_u32_e32 v6, vcc_lo, v86, v26, vcc_lo
	global_load_u16 v1, v[3:4], off
	global_load_u16 v3, v[5:6], off
	s_waitcnt vmcnt(1)
	v_lshlrev_b32_e32 v19, 16, v1
	s_waitcnt vmcnt(0)
	v_lshlrev_b32_e32 v11, 16, v3
.LBB101_64:                             ;   in Loop: Header=BB101_53 Depth=1
	s_or_b32 exec_lo, exec_lo, s8
	v_add_co_u32 v3, vcc_lo, 0xffffffc4, v93
	v_add_co_ci_u32_e32 v4, vcc_lo, -1, v94, vcc_lo
	s_mov_b32 s8, exec_lo
	s_delay_alu instid0(VALU_DEP_1)
	v_cmpx_gt_i64_e64 s[4:5], v[3:4]
	s_cbranch_execz .LBB101_66
; %bb.65:                               ;   in Loop: Header=BB101_53 Depth=1
	v_add_co_u32 v3, vcc_lo, v79, v25
	v_add_co_ci_u32_e32 v4, vcc_lo, v80, v26, vcc_lo
	v_add_co_u32 v5, vcc_lo, v81, v25
	v_add_co_ci_u32_e32 v6, vcc_lo, v82, v26, vcc_lo
	global_load_u16 v1, v[3:4], off
	global_load_u16 v3, v[5:6], off
	s_waitcnt vmcnt(1)
	v_lshlrev_b32_e32 v20, 16, v1
	s_waitcnt vmcnt(0)
	v_lshlrev_b32_e32 v12, 16, v3
.LBB101_66:                             ;   in Loop: Header=BB101_53 Depth=1
	s_or_b32 exec_lo, exec_lo, s8
	v_add_co_u32 v3, vcc_lo, 0xffffffc5, v93
	v_add_co_ci_u32_e32 v4, vcc_lo, -1, v94, vcc_lo
	s_mov_b32 s8, exec_lo
	s_delay_alu instid0(VALU_DEP_1)
	v_cmpx_gt_i64_e64 s[4:5], v[3:4]
	s_cbranch_execz .LBB101_68
; %bb.67:                               ;   in Loop: Header=BB101_53 Depth=1
	v_add_co_u32 v3, vcc_lo, v75, v25
	v_add_co_ci_u32_e32 v4, vcc_lo, v76, v26, vcc_lo
	v_add_co_u32 v5, vcc_lo, v77, v25
	v_add_co_ci_u32_e32 v6, vcc_lo, v78, v26, vcc_lo
	global_load_u16 v1, v[3:4], off
	global_load_u16 v3, v[5:6], off
	s_waitcnt vmcnt(1)
	v_lshlrev_b32_e32 v21, 16, v1
	s_waitcnt vmcnt(0)
	v_lshlrev_b32_e32 v13, 16, v3
.LBB101_68:                             ;   in Loop: Header=BB101_53 Depth=1
	s_or_b32 exec_lo, exec_lo, s8
	v_add_co_u32 v3, vcc_lo, 0xffffffc6, v93
	v_add_co_ci_u32_e32 v4, vcc_lo, -1, v94, vcc_lo
	s_mov_b32 s8, exec_lo
	s_delay_alu instid0(VALU_DEP_1)
	v_cmpx_gt_i64_e64 s[4:5], v[3:4]
	s_cbranch_execz .LBB101_70
; %bb.69:                               ;   in Loop: Header=BB101_53 Depth=1
	v_add_co_u32 v3, vcc_lo, v71, v25
	v_add_co_ci_u32_e32 v4, vcc_lo, v72, v26, vcc_lo
	v_add_co_u32 v5, vcc_lo, v73, v25
	v_add_co_ci_u32_e32 v6, vcc_lo, v74, v26, vcc_lo
	global_load_u16 v1, v[3:4], off
	global_load_u16 v3, v[5:6], off
	s_waitcnt vmcnt(1)
	v_lshlrev_b32_e32 v22, 16, v1
	s_waitcnt vmcnt(0)
	v_lshlrev_b32_e32 v14, 16, v3
.LBB101_70:                             ;   in Loop: Header=BB101_53 Depth=1
	s_or_b32 exec_lo, exec_lo, s8
	v_add_co_u32 v3, vcc_lo, 0xffffffc7, v93
	v_add_co_ci_u32_e32 v4, vcc_lo, -1, v94, vcc_lo
	s_mov_b32 s8, exec_lo
	s_delay_alu instid0(VALU_DEP_1)
	v_cmpx_gt_i64_e64 s[4:5], v[3:4]
	s_cbranch_execz .LBB101_72
; %bb.71:                               ;   in Loop: Header=BB101_53 Depth=1
	v_add_co_u32 v3, vcc_lo, v67, v25
	v_add_co_ci_u32_e32 v4, vcc_lo, v68, v26, vcc_lo
	v_add_co_u32 v5, vcc_lo, v69, v25
	v_add_co_ci_u32_e32 v6, vcc_lo, v70, v26, vcc_lo
	global_load_u16 v1, v[3:4], off
	global_load_u16 v3, v[5:6], off
	s_waitcnt vmcnt(1)
	v_lshlrev_b32_e32 v23, 16, v1
	s_waitcnt vmcnt(0)
	v_lshlrev_b32_e32 v15, 16, v3
.LBB101_72:                             ;   in Loop: Header=BB101_53 Depth=1
	s_or_b32 exec_lo, exec_lo, s8
	v_add_co_u32 v3, vcc_lo, 0xffffffc8, v93
	v_add_co_ci_u32_e32 v4, vcc_lo, -1, v94, vcc_lo
	s_mov_b32 s8, exec_lo
	s_delay_alu instid0(VALU_DEP_1)
	v_cmpx_gt_i64_e64 s[4:5], v[3:4]
	s_cbranch_execz .LBB101_74
; %bb.73:                               ;   in Loop: Header=BB101_53 Depth=1
	v_add_co_u32 v3, vcc_lo, v63, v25
	v_add_co_ci_u32_e32 v4, vcc_lo, v64, v26, vcc_lo
	v_add_co_u32 v5, vcc_lo, v65, v25
	v_add_co_ci_u32_e32 v6, vcc_lo, v66, v26, vcc_lo
	global_load_u16 v1, v[3:4], off
	global_load_u16 v3, v[5:6], off
	s_waitcnt vmcnt(1)
	v_lshlrev_b32_e32 v24, 16, v1
	s_waitcnt vmcnt(0)
	v_lshlrev_b32_e32 v16, 16, v3
.LBB101_74:                             ;   in Loop: Header=BB101_53 Depth=1
	s_or_b32 exec_lo, exec_lo, s8
	s_waitcnt vmcnt(1)
	ds_bpermute_b32 v3, v2, v59
	ds_bpermute_b32 v5, v2, v59 offset:4
	s_waitcnt vmcnt(0)
	ds_bpermute_b32 v1, v2, v95
	ds_bpermute_b32 v4, v2, v95 offset:4
	s_waitcnt lgkmcnt(3)
	v_sub_f32_e32 v3, v9, v3
	s_waitcnt lgkmcnt(2)
	v_sub_f32_e32 v5, v10, v5
	s_delay_alu instid0(VALU_DEP_2) | instskip(NEXT) | instid1(VALU_DEP_2)
	v_mul_f32_e32 v3, v17, v3
	v_mul_f32_e32 v5, v18, v5
	s_waitcnt lgkmcnt(1)
	s_delay_alu instid0(VALU_DEP_2) | instskip(SKIP_2) | instid1(VALU_DEP_2)
	v_fma_f32 v1, v3, v1, v91
	v_add_f32_e32 v3, v92, v17
	s_waitcnt lgkmcnt(0)
	v_fmac_f32_e32 v1, v5, v4
	ds_bpermute_b32 v5, v2, v59 offset:8
	ds_bpermute_b32 v4, v2, v95 offset:8
	v_add_f32_e32 v3, v18, v3
	s_delay_alu instid0(VALU_DEP_1) | instskip(NEXT) | instid1(VALU_DEP_1)
	v_add_f32_e32 v3, v19, v3
	v_add_f32_e32 v3, v20, v3
	s_delay_alu instid0(VALU_DEP_1) | instskip(SKIP_2) | instid1(VALU_DEP_2)
	v_add_f32_e32 v3, v21, v3
	s_waitcnt lgkmcnt(1)
	v_sub_f32_e32 v5, v11, v5
	v_add_f32_e32 v3, v22, v3
	s_delay_alu instid0(VALU_DEP_2) | instskip(NEXT) | instid1(VALU_DEP_2)
	v_mul_f32_e32 v5, v19, v5
	v_add_f32_e32 v3, v23, v3
	s_waitcnt lgkmcnt(0)
	s_delay_alu instid0(VALU_DEP_2) | instskip(SKIP_4) | instid1(VALU_DEP_1)
	v_fmac_f32_e32 v1, v5, v4
	ds_bpermute_b32 v5, v2, v59 offset:12
	ds_bpermute_b32 v4, v2, v95 offset:12
	s_waitcnt lgkmcnt(1)
	v_sub_f32_e32 v5, v12, v5
	v_mul_f32_e32 v5, v20, v5
	s_waitcnt lgkmcnt(0)
	s_delay_alu instid0(VALU_DEP_1) | instskip(SKIP_4) | instid1(VALU_DEP_1)
	v_fmac_f32_e32 v1, v5, v4
	ds_bpermute_b32 v5, v2, v59 offset:16
	ds_bpermute_b32 v4, v2, v95 offset:16
	s_waitcnt lgkmcnt(1)
	v_sub_f32_e32 v5, v13, v5
	v_mul_f32_e32 v5, v21, v5
	s_waitcnt lgkmcnt(0)
	s_delay_alu instid0(VALU_DEP_1) | instskip(SKIP_4) | instid1(VALU_DEP_1)
	;; [unrolled: 8-line block ×3, first 2 shown]
	v_fmac_f32_e32 v1, v5, v4
	ds_bpermute_b32 v5, v2, v59 offset:24
	ds_bpermute_b32 v4, v2, v95 offset:24
	s_waitcnt lgkmcnt(1)
	v_sub_f32_e32 v5, v15, v5
	v_mul_f32_e32 v5, v23, v5
	s_waitcnt lgkmcnt(0)
	s_delay_alu instid0(VALU_DEP_1)
	v_fmac_f32_e32 v1, v5, v4
	ds_bpermute_b32 v5, v2, v59 offset:28
	ds_bpermute_b32 v4, v2, v95 offset:28
	v_add_f32_e32 v59, v24, v3
	s_waitcnt lgkmcnt(1)
	v_sub_f32_e32 v5, v16, v5
	s_delay_alu instid0(VALU_DEP_1) | instskip(SKIP_1) | instid1(VALU_DEP_1)
	v_mul_f32_e32 v5, v24, v5
	s_waitcnt lgkmcnt(0)
	v_fmac_f32_e32 v1, v5, v4
	s_branch .LBB101_81
.LBB101_75:                             ;   in Loop: Header=BB101_53 Depth=1
                                        ; implicit-def: $vgpr59
                                        ; implicit-def: $vgpr1
	s_cbranch_execz .LBB101_81
; %bb.76:                               ;   in Loop: Header=BB101_53 Depth=1
	s_load_b32 s8, s[28:29], 0x0
	v_mov_b32_e32 v5, 0
	s_waitcnt lgkmcnt(0)
	s_cmp_lt_u32 s14, s8
	s_cselect_b32 s8, 12, 18
	s_delay_alu instid0(SALU_CYCLE_1)
	s_add_u32 s8, s28, s8
	s_addc_u32 s9, s29, 0
	global_load_u16 v1, v2, s[8:9]
	s_mov_b32 s8, exec_lo
	s_waitcnt vmcnt(0)
	v_mad_u32_u24 v1, v56, v1, v55
	s_delay_alu instid0(VALU_DEP_1) | instskip(SKIP_1) | instid1(VALU_DEP_2)
	v_and_b32_e32 v3, 31, v1
	v_mov_b32_e32 v1, 0
	v_cmpx_gt_u32_e32 8, v3
	s_cbranch_execz .LBB101_80
; %bb.77:                               ;   in Loop: Header=BB101_53 Depth=1
	v_add_co_u32 v1, vcc_lo, v93, v3
	v_add_co_ci_u32_e32 v4, vcc_lo, 0, v94, vcc_lo
	v_mov_b32_e32 v5, 0
	s_delay_alu instid0(VALU_DEP_3) | instskip(NEXT) | instid1(VALU_DEP_3)
	v_add_co_u32 v3, vcc_lo, 0xffffffc1, v1
	v_add_co_ci_u32_e32 v4, vcc_lo, -1, v4, vcc_lo
	v_mov_b32_e32 v1, 0
	s_mov_b32 s9, exec_lo
	s_delay_alu instid0(VALU_DEP_2)
	v_cmpx_gt_i64_e64 s[4:5], v[3:4]
	s_cbranch_execz .LBB101_79
; %bb.78:                               ;   in Loop: Header=BB101_53 Depth=1
	v_lshlrev_b64 v[3:4], 2, v[3:4]
	s_delay_alu instid0(VALU_DEP_1) | instskip(NEXT) | instid1(VALU_DEP_2)
	v_add_co_u32 v5, vcc_lo, s24, v3
	v_add_co_ci_u32_e32 v6, vcc_lo, s25, v4, vcc_lo
	v_add_co_u32 v3, vcc_lo, s26, v3
	v_add_co_ci_u32_e32 v4, vcc_lo, s27, v4, vcc_lo
	global_load_b32 v1, v[5:6], off
	global_load_b32 v5, v[3:4], off
.LBB101_79:                             ;   in Loop: Header=BB101_53 Depth=1
	s_or_b32 exec_lo, exec_lo, s9
.LBB101_80:                             ;   in Loop: Header=BB101_53 Depth=1
	s_delay_alu instid0(SALU_CYCLE_1)
	s_or_b32 exec_lo, exec_lo, s8
	v_add_co_u32 v3, vcc_lo, v58, v25
	v_add_co_ci_u32_e32 v4, vcc_lo, v60, v26, vcc_lo
	s_waitcnt vmcnt(1)
	ds_bpermute_b32 v21, v2, v1
	global_load_u16 v3, v[3:4], off
	s_waitcnt vmcnt(0)
	v_lshlrev_b32_e32 v6, 16, v3
	v_add_co_u32 v3, vcc_lo, v61, v25
	v_add_co_ci_u32_e32 v4, vcc_lo, v62, v26, vcc_lo
	global_load_u16 v3, v[3:4], off
	s_waitcnt vmcnt(0)
	v_lshlrev_b32_e32 v7, 16, v3
	v_add_co_u32 v3, vcc_lo, v27, v25
	v_add_co_ci_u32_e32 v4, vcc_lo, v28, v26, vcc_lo
	s_waitcnt lgkmcnt(0)
	s_delay_alu instid0(VALU_DEP_3)
	v_sub_f32_e32 v7, v7, v21
	global_load_u16 v3, v[3:4], off
	s_waitcnt vmcnt(0)
	v_dual_mul_f32 v7, v7, v6 :: v_dual_lshlrev_b32 v8, 16, v3
	v_add_co_u32 v3, vcc_lo, v41, v25
	v_add_co_ci_u32_e32 v4, vcc_lo, v42, v26, vcc_lo
	global_load_u16 v3, v[3:4], off
	s_waitcnt vmcnt(0)
	v_lshlrev_b32_e32 v9, 16, v3
	v_add_co_u32 v3, vcc_lo, v29, v25
	v_add_co_ci_u32_e32 v4, vcc_lo, v30, v26, vcc_lo
	global_load_u16 v3, v[3:4], off
	s_waitcnt vmcnt(0)
	v_lshlrev_b32_e32 v10, 16, v3
	;; [unrolled: 5-line block ×12, first 2 shown]
	v_add_co_u32 v3, vcc_lo, v53, v25
	v_add_co_ci_u32_e32 v4, vcc_lo, v54, v26, vcc_lo
	global_load_u16 v3, v[3:4], off
	ds_bpermute_b32 v4, v2, v5
	s_waitcnt lgkmcnt(0)
	v_fmac_f32_e32 v91, v7, v4
	ds_bpermute_b32 v7, v2, v1 offset:4
	v_add_f32_e32 v4, v92, v6
	ds_bpermute_b32 v6, v2, v5 offset:4
	v_add_f32_e32 v4, v4, v8
	s_waitcnt lgkmcnt(1)
	s_delay_alu instid0(VALU_DEP_1) | instskip(NEXT) | instid1(VALU_DEP_1)
	v_dual_add_f32 v4, v4, v10 :: v_dual_sub_f32 v7, v9, v7
	v_mul_f32_e32 v7, v7, v8
	s_waitcnt lgkmcnt(0)
	s_delay_alu instid0(VALU_DEP_1) | instskip(SKIP_4) | instid1(VALU_DEP_1)
	v_dual_add_f32 v4, v4, v12 :: v_dual_fmac_f32 v91, v7, v6
	ds_bpermute_b32 v7, v2, v1 offset:8
	ds_bpermute_b32 v6, v2, v5 offset:8
	s_waitcnt lgkmcnt(1)
	v_dual_add_f32 v4, v4, v14 :: v_dual_sub_f32 v7, v11, v7
	v_dual_mul_f32 v7, v7, v10 :: v_dual_add_f32 v4, v4, v16
	s_waitcnt lgkmcnt(0)
	s_delay_alu instid0(VALU_DEP_1) | instskip(SKIP_4) | instid1(VALU_DEP_1)
	v_fmac_f32_e32 v91, v7, v6
	ds_bpermute_b32 v7, v2, v1 offset:12
	ds_bpermute_b32 v6, v2, v5 offset:12
	s_waitcnt lgkmcnt(1)
	v_dual_add_f32 v4, v4, v18 :: v_dual_sub_f32 v7, v13, v7
	v_mul_f32_e32 v7, v7, v12
	s_delay_alu instid0(VALU_DEP_2) | instskip(SKIP_1) | instid1(VALU_DEP_2)
	v_add_f32_e32 v59, v4, v20
	s_waitcnt lgkmcnt(0)
	v_fmac_f32_e32 v91, v7, v6
	ds_bpermute_b32 v7, v2, v1 offset:16
	ds_bpermute_b32 v6, v2, v5 offset:16
	s_waitcnt lgkmcnt(1)
	v_sub_f32_e32 v7, v15, v7
	s_delay_alu instid0(VALU_DEP_1) | instskip(SKIP_1) | instid1(VALU_DEP_1)
	v_mul_f32_e32 v7, v7, v14
	s_waitcnt lgkmcnt(0)
	v_fmac_f32_e32 v91, v7, v6
	ds_bpermute_b32 v7, v2, v1 offset:20
	ds_bpermute_b32 v6, v2, v5 offset:20
	s_waitcnt lgkmcnt(1)
	v_sub_f32_e32 v7, v17, v7
	s_delay_alu instid0(VALU_DEP_1) | instskip(SKIP_1) | instid1(VALU_DEP_1)
	v_mul_f32_e32 v7, v7, v16
	s_waitcnt lgkmcnt(0)
	v_fmac_f32_e32 v91, v7, v6
	ds_bpermute_b32 v7, v2, v1 offset:24
	ds_bpermute_b32 v1, v2, v1 offset:28
	;; [unrolled: 1-line block ×4, first 2 shown]
	s_waitcnt lgkmcnt(3)
	v_sub_f32_e32 v7, v19, v7
	s_delay_alu instid0(VALU_DEP_1) | instskip(SKIP_1) | instid1(VALU_DEP_1)
	v_mul_f32_e32 v7, v7, v18
	s_waitcnt lgkmcnt(1)
	v_fmac_f32_e32 v91, v7, v6
	s_waitcnt vmcnt(0)
	v_lshlrev_b32_e32 v3, 16, v3
	s_delay_alu instid0(VALU_DEP_1) | instskip(NEXT) | instid1(VALU_DEP_1)
	v_sub_f32_e32 v1, v3, v1
	v_mul_f32_e32 v1, v1, v20
	s_waitcnt lgkmcnt(0)
	s_delay_alu instid0(VALU_DEP_1) | instskip(NEXT) | instid1(VALU_DEP_1)
	v_fmac_f32_e32 v91, v1, v5
	v_mov_b32_e32 v1, v91
.LBB101_81:                             ;   in Loop: Header=BB101_53 Depth=1
	v_add_co_u32 v27, vcc_lo, v27, s2
	v_add_co_ci_u32_e32 v28, vcc_lo, s3, v28, vcc_lo
	v_add_co_u32 v29, vcc_lo, v29, s2
	v_add_co_ci_u32_e32 v30, vcc_lo, s3, v30, vcc_lo
	;; [unrolled: 2-line block ×27, first 2 shown]
	v_add_co_u32 v85, vcc_lo, v85, s2
	s_add_u32 s12, s12, s15
	v_add_co_ci_u32_e32 v86, vcc_lo, s3, v86, vcc_lo
	s_addc_u32 s13, s13, 0
	v_add_co_u32 v87, vcc_lo, v87, s2
	v_cmp_ge_i64_e64 s8, s[12:13], s[4:5]
	v_add_co_ci_u32_e32 v88, vcc_lo, s3, v88, vcc_lo
	v_add_co_u32 v89, vcc_lo, v89, s2
	v_add_co_ci_u32_e32 v90, vcc_lo, s3, v90, vcc_lo
	s_add_u32 s30, s30, s15
	s_addc_u32 s31, s31, 0
	s_and_b32 vcc_lo, exec_lo, s8
	s_cbranch_vccnz .LBB101_83
; %bb.82:                               ;   in Loop: Header=BB101_53 Depth=1
	v_dual_mov_b32 v92, v59 :: v_dual_mov_b32 v91, v1
	s_branch .LBB101_53
.LBB101_83:
	v_and_b32_e32 v2, 0x3ff, v0
	v_bfe_u32 v0, v0, 10, 10
	s_mov_b32 s15, 0
	s_mov_b32 s2, exec_lo
	s_delay_alu instid0(VALU_DEP_1) | instskip(NEXT) | instid1(VALU_DEP_1)
	v_mad_u32_u24 v3, 0x41, v0, v2
	v_sub_nc_u32_e32 v0, v3, v0
	v_lshl_add_u32 v3, v3, 2, 0
	ds_store_b32 v3, v1
	ds_store_b32 v3, v59 offset:2080
	s_waitcnt lgkmcnt(0)
	s_barrier
	buffer_gl0_inv
	v_cmpx_gt_u32_e32 0x800, v0
	s_cbranch_execz .LBB101_93
; %bb.84:
	s_load_b128 s[8:11], s[0:1], 0x30
	v_lshrrev_b32_e32 v4, 5, v0
	v_mbcnt_lo_u32_b32 v0, -1, 0
	v_and_b32_e32 v3, 31, v2
	v_cmp_eq_u32_e64 s0, 0, v2
	s_lshl_b64 s[4:5], s[14:15], 6
	v_dual_mov_b32 v5, 0 :: v_dual_lshlrev_b32 v8, 1, v4
	v_xor_b32_e32 v1, 4, v0
	v_xor_b32_e32 v2, 2, v0
	;; [unrolled: 1-line block ×3, first 2 shown]
	v_mad_u32_u24 v10, 0x41, v3, v4
	v_cmp_gt_u32_e64 s1, 8, v3
	v_cmp_gt_i32_e32 vcc_lo, 32, v1
                                        ; implicit-def: $vgpr11
	v_cndmask_b32_e32 v1, v0, v1, vcc_lo
	v_cmp_gt_i32_e32 vcc_lo, 32, v2
	s_waitcnt lgkmcnt(0)
	s_cmp_lg_u64 s[8:9], 0
	s_cselect_b32 s3, -1, 0
	s_cmp_lg_u64 s[10:11], 0
	v_cndmask_b32_e32 v2, v0, v2, vcc_lo
	v_cmp_gt_i32_e32 vcc_lo, 32, v6
	s_cselect_b32 s12, -1, 0
	s_lshl_b64 s[16:17], s[14:15], 7
	s_delay_alu instid0(VALU_DEP_2) | instskip(SKIP_2) | instid1(VALU_DEP_1)
	v_lshlrev_b32_e32 v7, 2, v2
	v_cndmask_b32_e32 v0, v0, v6, vcc_lo
	v_add_co_u32 v2, s2, s16, v8
	v_add_co_ci_u32_e64 v9, null, s17, 0, s2
	s_delay_alu instid0(VALU_DEP_3) | instskip(NEXT) | instid1(VALU_DEP_3)
	v_lshlrev_b32_e32 v8, 2, v0
	v_add_co_u32 v0, vcc_lo, s10, v2
	v_lshlrev_b32_e32 v6, 2, v1
	s_delay_alu instid0(VALU_DEP_4)
	v_add_co_ci_u32_e32 v1, vcc_lo, s11, v9, vcc_lo
	v_add_co_u32 v2, vcc_lo, s8, v2
	v_add_co_ci_u32_e32 v3, vcc_lo, s9, v9, vcc_lo
	v_lshl_add_u32 v9, v10, 2, 0
                                        ; implicit-def: $vgpr10
	s_branch .LBB101_86
.LBB101_85:                             ;   in Loop: Header=BB101_86 Depth=1
	s_or_b32 exec_lo, exec_lo, s2
	v_add_co_u32 v4, vcc_lo, v4, 16
	v_add_co_ci_u32_e32 v5, vcc_lo, 0, v5, vcc_lo
	v_add_co_u32 v0, vcc_lo, v0, 32
	s_delay_alu instid0(VALU_DEP_3) | instskip(SKIP_2) | instid1(VALU_DEP_3)
	v_add_nc_u32_e32 v12, -16, v4
	v_add_co_ci_u32_e32 v1, vcc_lo, 0, v1, vcc_lo
	v_add_co_u32 v2, s2, v2, 32
	v_cmp_lt_u32_e32 vcc_lo, 47, v12
	v_add_co_ci_u32_e64 v3, s2, 0, v3, s2
	v_add_nc_u32_e32 v9, 64, v9
	s_or_b32 s15, vcc_lo, s15
	s_delay_alu instid0(SALU_CYCLE_1)
	s_and_not1_b32 exec_lo, exec_lo, s15
	s_cbranch_execz .LBB101_93
.LBB101_86:                             ; =>This Inner Loop Header: Depth=1
	s_and_saveexec_b32 s2, s1
	s_cbranch_execz .LBB101_88
; %bb.87:                               ;   in Loop: Header=BB101_86 Depth=1
	ds_load_b32 v10, v9
	ds_load_b32 v11, v9 offset:2080
.LBB101_88:                             ;   in Loop: Header=BB101_86 Depth=1
	s_or_b32 exec_lo, exec_lo, s2
	s_waitcnt lgkmcnt(1)
	ds_bpermute_b32 v12, v6, v10
	s_waitcnt lgkmcnt(1)
	ds_bpermute_b32 v13, v6, v11
	s_waitcnt lgkmcnt(0)
	v_dual_add_f32 v10, v10, v12 :: v_dual_add_f32 v11, v11, v13
	ds_bpermute_b32 v12, v7, v10
	ds_bpermute_b32 v13, v7, v11
	s_waitcnt lgkmcnt(0)
	v_dual_add_f32 v12, v10, v12 :: v_dual_add_f32 v13, v11, v13
	v_add_co_u32 v10, vcc_lo, s4, v4
	v_add_co_ci_u32_e32 v11, vcc_lo, s5, v5, vcc_lo
	ds_bpermute_b32 v14, v8, v12
	ds_bpermute_b32 v15, v8, v13
	v_cmp_gt_i64_e32 vcc_lo, s[6:7], v[10:11]
	s_and_b32 s8, s0, vcc_lo
	s_waitcnt lgkmcnt(0)
	v_dual_add_f32 v10, v12, v14 :: v_dual_add_f32 v11, v13, v15
	s_and_saveexec_b32 s2, s8
	s_cbranch_execz .LBB101_85
; %bb.89:                               ;   in Loop: Header=BB101_86 Depth=1
	s_and_not1_b32 vcc_lo, exec_lo, s3
	s_cbranch_vccnz .LBB101_91
; %bb.90:                               ;   in Loop: Header=BB101_86 Depth=1
	v_bfe_u32 v12, v10, 16, 1
	v_cmp_o_f32_e32 vcc_lo, v10, v10
	s_delay_alu instid0(VALU_DEP_2) | instskip(NEXT) | instid1(VALU_DEP_1)
	v_add3_u32 v12, v10, v12, 0x7fff
	v_lshrrev_b32_e32 v12, 16, v12
	s_delay_alu instid0(VALU_DEP_1)
	v_cndmask_b32_e32 v12, 0x7fc0, v12, vcc_lo
	global_store_b16 v[2:3], v12, off
.LBB101_91:                             ;   in Loop: Header=BB101_86 Depth=1
	s_and_not1_b32 vcc_lo, exec_lo, s12
	s_cbranch_vccnz .LBB101_85
; %bb.92:                               ;   in Loop: Header=BB101_86 Depth=1
	v_bfe_u32 v12, v11, 16, 1
	v_cmp_o_f32_e32 vcc_lo, v11, v11
	s_delay_alu instid0(VALU_DEP_2) | instskip(NEXT) | instid1(VALU_DEP_1)
	v_add3_u32 v12, v11, v12, 0x7fff
	v_lshrrev_b32_e32 v12, 16, v12
	s_delay_alu instid0(VALU_DEP_1)
	v_cndmask_b32_e32 v12, 0x7fc0, v12, vcc_lo
	global_store_b16 v[0:1], v12, off
	s_branch .LBB101_85
.LBB101_93:
	s_nop 0
	s_sendmsg sendmsg(MSG_DEALLOC_VGPRS)
	s_endpgm
	.section	.rodata,"a",@progbits
	.p2align	6, 0x0
	.amdhsa_kernel _ZN2at6native12_GLOBAL__N_135GammaBetaBackwardCUDAKernelTemplateIN3c108BFloat16EfLj64ELj8ELj64ELb0ELb0ELb0EEEvllPKT_S7_PKT0_SA_PS5_SB_
		.amdhsa_group_segment_fixed_size 0
		.amdhsa_private_segment_fixed_size 0
		.amdhsa_kernarg_size 320
		.amdhsa_user_sgpr_count 14
		.amdhsa_user_sgpr_dispatch_ptr 0
		.amdhsa_user_sgpr_queue_ptr 0
		.amdhsa_user_sgpr_kernarg_segment_ptr 1
		.amdhsa_user_sgpr_dispatch_id 0
		.amdhsa_user_sgpr_private_segment_size 0
		.amdhsa_wavefront_size32 1
		.amdhsa_uses_dynamic_stack 0
		.amdhsa_enable_private_segment 0
		.amdhsa_system_sgpr_workgroup_id_x 1
		.amdhsa_system_sgpr_workgroup_id_y 1
		.amdhsa_system_sgpr_workgroup_id_z 0
		.amdhsa_system_sgpr_workgroup_info 0
		.amdhsa_system_vgpr_workitem_id 1
		.amdhsa_next_free_vgpr 96
		.amdhsa_next_free_sgpr 40
		.amdhsa_reserve_vcc 1
		.amdhsa_float_round_mode_32 0
		.amdhsa_float_round_mode_16_64 0
		.amdhsa_float_denorm_mode_32 3
		.amdhsa_float_denorm_mode_16_64 3
		.amdhsa_dx10_clamp 1
		.amdhsa_ieee_mode 1
		.amdhsa_fp16_overflow 0
		.amdhsa_workgroup_processor_mode 1
		.amdhsa_memory_ordered 1
		.amdhsa_forward_progress 0
		.amdhsa_shared_vgpr_count 0
		.amdhsa_exception_fp_ieee_invalid_op 0
		.amdhsa_exception_fp_denorm_src 0
		.amdhsa_exception_fp_ieee_div_zero 0
		.amdhsa_exception_fp_ieee_overflow 0
		.amdhsa_exception_fp_ieee_underflow 0
		.amdhsa_exception_fp_ieee_inexact 0
		.amdhsa_exception_int_div_zero 0
	.end_amdhsa_kernel
	.section	.text._ZN2at6native12_GLOBAL__N_135GammaBetaBackwardCUDAKernelTemplateIN3c108BFloat16EfLj64ELj8ELj64ELb0ELb0ELb0EEEvllPKT_S7_PKT0_SA_PS5_SB_,"axG",@progbits,_ZN2at6native12_GLOBAL__N_135GammaBetaBackwardCUDAKernelTemplateIN3c108BFloat16EfLj64ELj8ELj64ELb0ELb0ELb0EEEvllPKT_S7_PKT0_SA_PS5_SB_,comdat
.Lfunc_end101:
	.size	_ZN2at6native12_GLOBAL__N_135GammaBetaBackwardCUDAKernelTemplateIN3c108BFloat16EfLj64ELj8ELj64ELb0ELb0ELb0EEEvllPKT_S7_PKT0_SA_PS5_SB_, .Lfunc_end101-_ZN2at6native12_GLOBAL__N_135GammaBetaBackwardCUDAKernelTemplateIN3c108BFloat16EfLj64ELj8ELj64ELb0ELb0ELb0EEEvllPKT_S7_PKT0_SA_PS5_SB_
                                        ; -- End function
	.section	.AMDGPU.csdata,"",@progbits
; Kernel info:
; codeLenInByte = 8748
; NumSgprs: 42
; NumVgprs: 96
; ScratchSize: 0
; MemoryBound: 0
; FloatMode: 240
; IeeeMode: 1
; LDSByteSize: 0 bytes/workgroup (compile time only)
; SGPRBlocks: 5
; VGPRBlocks: 11
; NumSGPRsForWavesPerEU: 42
; NumVGPRsForWavesPerEU: 96
; Occupancy: 16
; WaveLimiterHint : 0
; COMPUTE_PGM_RSRC2:SCRATCH_EN: 0
; COMPUTE_PGM_RSRC2:USER_SGPR: 14
; COMPUTE_PGM_RSRC2:TRAP_HANDLER: 0
; COMPUTE_PGM_RSRC2:TGID_X_EN: 1
; COMPUTE_PGM_RSRC2:TGID_Y_EN: 1
; COMPUTE_PGM_RSRC2:TGID_Z_EN: 0
; COMPUTE_PGM_RSRC2:TIDIG_COMP_CNT: 1
	.section	.text._ZN2at6native12_GLOBAL__N_135GammaBetaBackwardCUDAKernelTemplateIN3c108BFloat16EfLj64ELj16ELj128ELb0ELb1ELb0EEEvllPKT_S7_PKT0_SA_PS5_SB_,"axG",@progbits,_ZN2at6native12_GLOBAL__N_135GammaBetaBackwardCUDAKernelTemplateIN3c108BFloat16EfLj64ELj16ELj128ELb0ELb1ELb0EEEvllPKT_S7_PKT0_SA_PS5_SB_,comdat
	.globl	_ZN2at6native12_GLOBAL__N_135GammaBetaBackwardCUDAKernelTemplateIN3c108BFloat16EfLj64ELj16ELj128ELb0ELb1ELb0EEEvllPKT_S7_PKT0_SA_PS5_SB_ ; -- Begin function _ZN2at6native12_GLOBAL__N_135GammaBetaBackwardCUDAKernelTemplateIN3c108BFloat16EfLj64ELj16ELj128ELb0ELb1ELb0EEEvllPKT_S7_PKT0_SA_PS5_SB_
	.p2align	8
	.type	_ZN2at6native12_GLOBAL__N_135GammaBetaBackwardCUDAKernelTemplateIN3c108BFloat16EfLj64ELj16ELj128ELb0ELb1ELb0EEEvllPKT_S7_PKT0_SA_PS5_SB_,@function
_ZN2at6native12_GLOBAL__N_135GammaBetaBackwardCUDAKernelTemplateIN3c108BFloat16EfLj64ELj16ELj128ELb0ELb1ELb0EEEvllPKT_S7_PKT0_SA_PS5_SB_: ; @_ZN2at6native12_GLOBAL__N_135GammaBetaBackwardCUDAKernelTemplateIN3c108BFloat16EfLj64ELj16ELj128ELb0ELb1ELb0EEEvllPKT_S7_PKT0_SA_PS5_SB_
; %bb.0:
	s_load_b128 s[20:23], s[0:1], 0x0
	s_mov_b32 s3, 0
	s_lshl_b32 s2, s15, 7
	v_bfe_u32 v7, v0, 10, 10
	s_waitcnt lgkmcnt(0)
	v_cmp_lt_i64_e64 s4, s[2:3], s[20:21]
	s_delay_alu instid0(VALU_DEP_1)
	s_and_b32 vcc_lo, exec_lo, s4
	s_cbranch_vccnz .LBB102_2
; %bb.1:
	v_bfe_u32 v1, v0, 10, 10
	s_mov_b32 s5, 0
	s_mov_b32 s4, s3
	s_branch .LBB102_3
.LBB102_2:
	s_mov_b32 s4, -1
                                        ; implicit-def: $sgpr5
                                        ; implicit-def: $vgpr1
.LBB102_3:
	s_load_b128 s[16:19], s[0:1], 0x30
	v_dual_mov_b32 v15, s5 :: v_dual_and_b32 v6, 0x3ff, v0
	v_mov_b32_e32 v17, s5
	s_and_not1_b32 vcc_lo, exec_lo, s4
	s_cbranch_vccnz .LBB102_11
; %bb.4:
	s_clause 0x2
	s_load_b32 s12, s[0:1], 0x4c
	s_load_b32 s15, s[0:1], 0x44
	s_load_b256 s[4:11], s[0:1], 0x10
	v_dual_mov_b32 v1, 0 :: v_dual_lshlrev_b32 v0, 3, v7
	v_dual_mov_b32 v8, 8 :: v_dual_mov_b32 v9, 4
	v_dual_mov_b32 v10, 12 :: v_dual_mov_b32 v11, 16
	s_delay_alu instid0(VALU_DEP_3) | instskip(NEXT) | instid1(VALU_DEP_1)
	v_add_co_u32 v2, s0, v0, s2
	v_add_co_ci_u32_e64 v3, null, 0, 0, s0
	v_lshl_add_u32 v0, s14, 6, v6
	s_delay_alu instid0(VALU_DEP_3) | instskip(SKIP_1) | instid1(VALU_DEP_4)
	v_mul_lo_u32 v17, s23, v2
	v_mad_u64_u32 v[4:5], null, s22, v2, 0
	v_mul_lo_u32 v18, s22, v3
	v_dual_mov_b32 v12, 20 :: v_dual_mov_b32 v13, 24
	s_waitcnt lgkmcnt(0)
	s_and_b32 s0, s12, 0xffff
	s_lshl_b32 s12, s15, 7
	v_mad_u32_u24 v15, v7, s0, v6
	v_mov_b32_e32 v14, 28
	s_mul_i32 s1, s23, s12
	v_add3_u32 v5, v5, v18, v17
	s_mul_hi_u32 s15, s22, s12
	v_and_b32_e32 v19, 31, v15
	v_lshlrev_b64 v[15:16], 1, v[0:1]
	s_mov_b32 s13, 0
	v_lshlrev_b64 v[17:18], 1, v[4:5]
	s_add_i32 s27, s15, s1
	v_add_co_u32 v2, vcc_lo, v2, v19
	v_add_co_ci_u32_e32 v3, vcc_lo, 0, v3, vcc_lo
	s_delay_alu instid0(VALU_DEP_3) | instskip(SKIP_1) | instid1(VALU_DEP_3)
	v_add_co_u32 v0, vcc_lo, v17, v15
	v_cmp_gt_u32_e64 s0, 8, v19
	v_lshlrev_b64 v[4:5], 2, v[2:3]
	v_add_co_ci_u32_e32 v16, vcc_lo, v18, v16, vcc_lo
	v_mov_b32_e32 v17, 0
	v_mov_b32_e32 v15, 0
	s_mul_i32 s26, s22, s12
	s_lshl_b64 s[24:25], s[12:13], 2
	s_lshl_b64 s[26:27], s[26:27], 1
	;; [unrolled: 1-line block ×3, first 2 shown]
	s_branch .LBB102_7
.LBB102_5:                              ;   in Loop: Header=BB102_7 Depth=1
	s_or_b32 exec_lo, exec_lo, s13
.LBB102_6:                              ;   in Loop: Header=BB102_7 Depth=1
	s_delay_alu instid0(SALU_CYCLE_1) | instskip(SKIP_4) | instid1(VALU_DEP_4)
	s_or_b32 exec_lo, exec_lo, s1
	v_add_co_u32 v20, vcc_lo, s4, v0
	v_add_co_ci_u32_e32 v21, vcc_lo, s5, v16, vcc_lo
	v_add_co_u32 v22, vcc_lo, s6, v0
	v_add_co_ci_u32_e32 v23, vcc_lo, s7, v16, vcc_lo
	v_add_co_u32 v24, vcc_lo, v20, s22
	s_delay_alu instid0(VALU_DEP_4) | instskip(NEXT) | instid1(VALU_DEP_4)
	v_add_co_ci_u32_e32 v25, vcc_lo, s23, v21, vcc_lo
	v_add_co_u32 v26, vcc_lo, v22, s22
	s_delay_alu instid0(VALU_DEP_4) | instskip(NEXT) | instid1(VALU_DEP_4)
	v_add_co_ci_u32_e32 v27, vcc_lo, s23, v23, vcc_lo
	v_add_co_u32 v28, vcc_lo, v24, s22
	s_delay_alu instid0(VALU_DEP_4)
	v_add_co_ci_u32_e32 v29, vcc_lo, s23, v25, vcc_lo
	global_load_u16 v30, v[20:21], off
	global_load_u16 v31, v[22:23], off
	;; [unrolled: 1-line block ×5, first 2 shown]
	v_add_co_u32 v20, vcc_lo, v26, s22
	v_add_co_ci_u32_e32 v21, vcc_lo, s23, v27, vcc_lo
	v_add_co_u32 v22, vcc_lo, v28, s22
	v_add_co_ci_u32_e32 v23, vcc_lo, s23, v29, vcc_lo
	s_delay_alu instid0(VALU_DEP_4) | instskip(NEXT) | instid1(VALU_DEP_4)
	v_add_co_u32 v24, vcc_lo, v20, s22
	v_add_co_ci_u32_e32 v25, vcc_lo, s23, v21, vcc_lo
	s_delay_alu instid0(VALU_DEP_4) | instskip(NEXT) | instid1(VALU_DEP_4)
	;; [unrolled: 3-line block ×3, first 2 shown]
	v_add_co_u32 v28, vcc_lo, v24, s22
	v_add_co_ci_u32_e32 v29, vcc_lo, s23, v25, vcc_lo
	global_load_u16 v35, v[20:21], off
	global_load_u16 v36, v[22:23], off
	;; [unrolled: 1-line block ×5, first 2 shown]
	v_add_co_u32 v20, vcc_lo, v26, s22
	v_add_co_ci_u32_e32 v21, vcc_lo, s23, v27, vcc_lo
	v_add_co_u32 v22, vcc_lo, v28, s22
	v_add_co_ci_u32_e32 v23, vcc_lo, s23, v29, vcc_lo
	s_delay_alu instid0(VALU_DEP_4) | instskip(NEXT) | instid1(VALU_DEP_4)
	v_add_co_u32 v24, vcc_lo, v20, s22
	v_add_co_ci_u32_e32 v25, vcc_lo, s23, v21, vcc_lo
	s_delay_alu instid0(VALU_DEP_4) | instskip(NEXT) | instid1(VALU_DEP_4)
	v_add_co_u32 v26, vcc_lo, v22, s22
	v_add_co_ci_u32_e32 v27, vcc_lo, s23, v23, vcc_lo
	global_load_u16 v28, v[20:21], off
	global_load_u16 v29, v[22:23], off
	;; [unrolled: 1-line block ×4, first 2 shown]
	v_add_co_u32 v20, vcc_lo, v26, s22
	v_add_co_ci_u32_e32 v21, vcc_lo, s23, v27, vcc_lo
	v_add_co_u32 v22, vcc_lo, v24, s22
	v_add_co_ci_u32_e32 v23, vcc_lo, s23, v25, vcc_lo
	global_load_u16 v20, v[20:21], off
	global_load_u16 v21, v[22:23], off
	s_waitcnt vmcnt(17)
	ds_bpermute_b32 v25, v9, v18
	ds_bpermute_b32 v22, v1, v18
	s_waitcnt vmcnt(16)
	ds_bpermute_b32 v23, v1, v19
	ds_bpermute_b32 v24, v9, v19
	ds_bpermute_b32 v27, v8, v18
	ds_bpermute_b32 v26, v8, v19
	ds_bpermute_b32 v43, v10, v18
	ds_bpermute_b32 v45, v11, v18
	ds_bpermute_b32 v47, v12, v18
	ds_bpermute_b32 v49, v13, v18
	ds_bpermute_b32 v18, v14, v18
	ds_bpermute_b32 v42, v10, v19
	ds_bpermute_b32 v44, v11, v19
	ds_bpermute_b32 v46, v12, v19
	ds_bpermute_b32 v48, v13, v19
	ds_bpermute_b32 v19, v14, v19
	v_add_co_u32 v4, vcc_lo, v4, s24
	s_add_u32 s2, s2, s12
	v_add_co_ci_u32_e32 v5, vcc_lo, s25, v5, vcc_lo
	s_addc_u32 s3, s3, 0
	v_add_co_u32 v2, vcc_lo, v2, s12
	v_add_co_ci_u32_e32 v3, vcc_lo, 0, v3, vcc_lo
	v_cmp_lt_i64_e64 s1, s[2:3], s[20:21]
	v_add_co_u32 v0, vcc_lo, v0, s26
	v_add_co_ci_u32_e32 v16, vcc_lo, s27, v16, vcc_lo
	s_delay_alu instid0(VALU_DEP_3) | instskip(SKIP_3) | instid1(VALU_DEP_1)
	s_and_b32 vcc_lo, exec_lo, s1
	s_waitcnt vmcnt(12)
	v_lshlrev_b32_e32 v33, 16, v33
	s_waitcnt lgkmcnt(15)
	v_dual_sub_f32 v25, v33, v25 :: v_dual_lshlrev_b32 v30, 16, v30
	v_lshlrev_b32_e32 v31, 16, v31
	s_delay_alu instid0(VALU_DEP_2) | instskip(SKIP_1) | instid1(VALU_DEP_2)
	v_add_f32_e32 v17, v17, v30
	s_waitcnt lgkmcnt(14)
	v_sub_f32_e32 v22, v31, v22
	s_delay_alu instid0(VALU_DEP_1) | instskip(SKIP_1) | instid1(VALU_DEP_1)
	v_mul_f32_e32 v22, v22, v30
	s_waitcnt vmcnt(11) lgkmcnt(13)
	v_dual_fmac_f32 v15, v22, v23 :: v_dual_lshlrev_b32 v30, 16, v34
	v_lshlrev_b32_e32 v31, 16, v32
	s_waitcnt vmcnt(8)
	s_delay_alu instid0(VALU_DEP_1) | instskip(SKIP_1) | instid1(VALU_DEP_1)
	v_dual_mul_f32 v22, v25, v31 :: v_dual_lshlrev_b32 v25, 16, v37
	s_waitcnt lgkmcnt(12)
	v_dual_fmac_f32 v15, v22, v24 :: v_dual_lshlrev_b32 v32, 16, v35
	s_waitcnt vmcnt(6)
	v_lshlrev_b32_e32 v24, 16, v39
	s_waitcnt lgkmcnt(11)
	s_delay_alu instid0(VALU_DEP_2) | instskip(NEXT) | instid1(VALU_DEP_1)
	v_sub_f32_e32 v23, v32, v27
	v_dual_mul_f32 v22, v23, v30 :: v_dual_add_f32 v17, v17, v31
	s_waitcnt lgkmcnt(9)
	v_sub_f32_e32 v23, v25, v43
	s_waitcnt vmcnt(5)
	s_delay_alu instid0(VALU_DEP_2) | instskip(SKIP_3) | instid1(VALU_DEP_1)
	v_dual_fmac_f32 v15, v22, v26 :: v_dual_lshlrev_b32 v26, 16, v28
	s_waitcnt vmcnt(1)
	v_lshlrev_b32_e32 v20, 16, v20
	s_waitcnt vmcnt(0) lgkmcnt(5)
	v_dual_sub_f32 v18, v20, v18 :: v_dual_lshlrev_b32 v21, 16, v21
	s_delay_alu instid0(VALU_DEP_1) | instskip(SKIP_1) | instid1(VALU_DEP_1)
	v_dual_mul_f32 v18, v18, v21 :: v_dual_lshlrev_b32 v25, 16, v38
	v_lshlrev_b32_e32 v27, 16, v36
	v_dual_add_f32 v17, v17, v30 :: v_dual_mul_f32 v22, v23, v27
	v_sub_f32_e32 v23, v24, v45
	s_waitcnt lgkmcnt(4)
	s_delay_alu instid0(VALU_DEP_2) | instskip(NEXT) | instid1(VALU_DEP_1)
	v_dual_fmac_f32 v15, v22, v42 :: v_dual_lshlrev_b32 v24, 16, v29
	v_dual_mul_f32 v22, v23, v25 :: v_dual_sub_f32 v23, v24, v47
	v_dual_add_f32 v17, v17, v27 :: v_dual_lshlrev_b32 v24, 16, v41
	s_waitcnt lgkmcnt(3)
	s_delay_alu instid0(VALU_DEP_2) | instskip(NEXT) | instid1(VALU_DEP_2)
	v_dual_fmac_f32 v15, v22, v44 :: v_dual_mul_f32 v22, v23, v26
	v_add_f32_e32 v17, v17, v25
	v_lshlrev_b32_e32 v25, 16, v40
	v_sub_f32_e32 v23, v24, v49
	s_waitcnt lgkmcnt(2)
	v_fmac_f32_e32 v15, v22, v46
	s_delay_alu instid0(VALU_DEP_2) | instskip(NEXT) | instid1(VALU_DEP_1)
	v_dual_add_f32 v17, v17, v26 :: v_dual_mul_f32 v22, v23, v25
	v_add_f32_e32 v17, v17, v25
	s_waitcnt lgkmcnt(1)
	s_delay_alu instid0(VALU_DEP_2) | instskip(NEXT) | instid1(VALU_DEP_2)
	v_fmac_f32_e32 v15, v22, v48
	v_add_f32_e32 v17, v17, v21
	s_waitcnt lgkmcnt(0)
	s_delay_alu instid0(VALU_DEP_2)
	v_fmac_f32_e32 v15, v18, v19
	s_cbranch_vccz .LBB102_10
.LBB102_7:                              ; =>This Inner Loop Header: Depth=1
	v_dual_mov_b32 v19, 0 :: v_dual_mov_b32 v18, 0
	s_and_saveexec_b32 s1, s0
	s_cbranch_execz .LBB102_6
; %bb.8:                                ;   in Loop: Header=BB102_7 Depth=1
	v_dual_mov_b32 v18, 0 :: v_dual_mov_b32 v19, 0
	s_mov_b32 s13, exec_lo
	v_cmpx_gt_i64_e64 s[20:21], v[2:3]
	s_cbranch_execz .LBB102_5
; %bb.9:                                ;   in Loop: Header=BB102_7 Depth=1
	v_add_co_u32 v18, vcc_lo, s8, v4
	v_add_co_ci_u32_e32 v19, vcc_lo, s9, v5, vcc_lo
	v_add_co_u32 v20, vcc_lo, s10, v4
	v_add_co_ci_u32_e32 v21, vcc_lo, s11, v5, vcc_lo
	global_load_b32 v18, v[18:19], off
	global_load_b32 v19, v[20:21], off
	s_branch .LBB102_5
.LBB102_10:
	v_mov_b32_e32 v1, v7
.LBB102_11:
	s_delay_alu instid0(VALU_DEP_1) | instskip(SKIP_2) | instid1(VALU_DEP_1)
	v_mad_u32_u24 v2, 0x41, v1, v6
	s_mov_b32 s15, 0
	s_mov_b32 s0, exec_lo
	v_sub_nc_u32_e32 v0, v2, v1
	v_lshl_add_u32 v1, v2, 2, 0
	ds_store_b32 v1, v15
	ds_store_b32 v1, v17 offset:4160
	s_waitcnt lgkmcnt(0)
	s_barrier
	buffer_gl0_inv
	v_cmpx_gt_u32_e32 0x800, v0
	s_cbranch_execz .LBB102_21
; %bb.12:
	v_mbcnt_lo_u32_b32 v1, -1, 0
	v_lshrrev_b32_e32 v3, 5, v0
	v_cmp_eq_u32_e64 s1, 0, v6
	s_cmp_lg_u64 s[16:17], 0
	s_cselect_b32 s2, -1, 0
	v_xor_b32_e32 v0, 8, v1
	v_xor_b32_e32 v4, 4, v1
	;; [unrolled: 1-line block ×3, first 2 shown]
	s_cmp_lg_u64 s[18:19], 0
	s_delay_alu instid0(VALU_DEP_3)
	v_cmp_gt_i32_e32 vcc_lo, 32, v0
	s_cselect_b32 s3, -1, 0
	s_lshl_b64 s[4:5], s[14:15], 7
	v_cndmask_b32_e32 v0, v1, v0, vcc_lo
	v_cmp_gt_i32_e32 vcc_lo, 32, v4
	v_and_b32_e32 v2, 31, v6
	v_xor_b32_e32 v6, 1, v1
	v_cndmask_b32_e32 v7, v1, v4, vcc_lo
	v_cmp_gt_i32_e32 vcc_lo, 32, v5
	s_delay_alu instid0(VALU_DEP_4)
	v_mad_u32_u24 v11, 0x41, v2, v3
	v_cmp_gt_u32_e64 s0, 16, v2
	v_cndmask_b32_e32 v8, v1, v5, vcc_lo
	v_cmp_gt_i32_e32 vcc_lo, 32, v6
	v_lshlrev_b32_e32 v5, 2, v7
	v_lshlrev_b32_e32 v4, 2, v0
	v_dual_cndmask_b32 v1, v1, v6 :: v_dual_lshlrev_b32 v0, 1, v3
	v_lshlrev_b32_e32 v6, 2, v8
	v_subrev_nc_u32_e32 v8, 32, v3
	s_delay_alu instid0(VALU_DEP_3) | instskip(NEXT) | instid1(VALU_DEP_1)
	v_add_co_u32 v9, s4, s4, v0
	v_add_co_ci_u32_e64 v10, null, s5, 0, s4
	v_lshlrev_b32_e32 v7, 2, v1
	s_delay_alu instid0(VALU_DEP_3) | instskip(NEXT) | instid1(VALU_DEP_3)
	v_add_co_u32 v0, vcc_lo, s18, v9
	v_add_co_ci_u32_e32 v1, vcc_lo, s19, v10, vcc_lo
	v_add_co_u32 v2, vcc_lo, s16, v9
	v_add_co_ci_u32_e32 v3, vcc_lo, s17, v10, vcc_lo
	v_lshl_add_u32 v9, v11, 2, 0
                                        ; implicit-def: $vgpr10
                                        ; implicit-def: $vgpr11
	s_branch .LBB102_14
.LBB102_13:                             ;   in Loop: Header=BB102_14 Depth=1
	s_or_b32 exec_lo, exec_lo, s4
	v_add_co_u32 v0, vcc_lo, v0, 64
	v_add_co_u32 v8, s4, v8, 32
	v_add_co_ci_u32_e32 v1, vcc_lo, 0, v1, vcc_lo
	v_add_co_u32 v2, vcc_lo, v2, 64
	s_xor_b32 s4, s4, -1
	v_add_co_ci_u32_e32 v3, vcc_lo, 0, v3, vcc_lo
	v_add_nc_u32_e32 v9, 0x80, v9
	s_and_b32 s4, exec_lo, s4
	s_delay_alu instid0(SALU_CYCLE_1) | instskip(NEXT) | instid1(SALU_CYCLE_1)
	s_or_b32 s15, s4, s15
	s_and_not1_b32 exec_lo, exec_lo, s15
	s_cbranch_execz .LBB102_21
.LBB102_14:                             ; =>This Inner Loop Header: Depth=1
	s_and_saveexec_b32 s4, s0
	s_cbranch_execz .LBB102_16
; %bb.15:                               ;   in Loop: Header=BB102_14 Depth=1
	ds_load_b32 v10, v9
	ds_load_b32 v11, v9 offset:4160
.LBB102_16:                             ;   in Loop: Header=BB102_14 Depth=1
	s_or_b32 exec_lo, exec_lo, s4
	s_waitcnt lgkmcnt(1)
	ds_bpermute_b32 v12, v4, v10
	s_waitcnt lgkmcnt(1)
	ds_bpermute_b32 v13, v4, v11
	s_waitcnt lgkmcnt(0)
	v_dual_add_f32 v10, v10, v12 :: v_dual_add_f32 v11, v11, v13
	ds_bpermute_b32 v12, v5, v10
	ds_bpermute_b32 v13, v5, v11
	s_waitcnt lgkmcnt(0)
	v_dual_add_f32 v10, v10, v12 :: v_dual_add_f32 v11, v11, v13
	ds_bpermute_b32 v12, v6, v10
	;; [unrolled: 4-line block ×3, first 2 shown]
	ds_bpermute_b32 v13, v7, v11
	s_waitcnt lgkmcnt(0)
	v_dual_add_f32 v10, v10, v12 :: v_dual_add_f32 v11, v11, v13
	s_and_saveexec_b32 s4, s1
	s_cbranch_execz .LBB102_13
; %bb.17:                               ;   in Loop: Header=BB102_14 Depth=1
	s_and_not1_b32 vcc_lo, exec_lo, s2
	s_cbranch_vccnz .LBB102_19
; %bb.18:                               ;   in Loop: Header=BB102_14 Depth=1
	v_bfe_u32 v12, v10, 16, 1
	v_cmp_o_f32_e32 vcc_lo, v10, v10
	s_delay_alu instid0(VALU_DEP_2) | instskip(NEXT) | instid1(VALU_DEP_1)
	v_add3_u32 v12, v10, v12, 0x7fff
	v_lshrrev_b32_e32 v12, 16, v12
	s_delay_alu instid0(VALU_DEP_1)
	v_cndmask_b32_e32 v12, 0x7fc0, v12, vcc_lo
	global_store_b16 v[2:3], v12, off
.LBB102_19:                             ;   in Loop: Header=BB102_14 Depth=1
	s_and_not1_b32 vcc_lo, exec_lo, s3
	s_cbranch_vccnz .LBB102_13
; %bb.20:                               ;   in Loop: Header=BB102_14 Depth=1
	v_bfe_u32 v12, v11, 16, 1
	v_cmp_o_f32_e32 vcc_lo, v11, v11
	s_delay_alu instid0(VALU_DEP_2) | instskip(NEXT) | instid1(VALU_DEP_1)
	v_add3_u32 v12, v11, v12, 0x7fff
	v_lshrrev_b32_e32 v12, 16, v12
	s_delay_alu instid0(VALU_DEP_1)
	v_cndmask_b32_e32 v12, 0x7fc0, v12, vcc_lo
	global_store_b16 v[0:1], v12, off
	s_branch .LBB102_13
.LBB102_21:
	s_nop 0
	s_sendmsg sendmsg(MSG_DEALLOC_VGPRS)
	s_endpgm
	.section	.rodata,"a",@progbits
	.p2align	6, 0x0
	.amdhsa_kernel _ZN2at6native12_GLOBAL__N_135GammaBetaBackwardCUDAKernelTemplateIN3c108BFloat16EfLj64ELj16ELj128ELb0ELb1ELb0EEEvllPKT_S7_PKT0_SA_PS5_SB_
		.amdhsa_group_segment_fixed_size 0
		.amdhsa_private_segment_fixed_size 0
		.amdhsa_kernarg_size 320
		.amdhsa_user_sgpr_count 14
		.amdhsa_user_sgpr_dispatch_ptr 0
		.amdhsa_user_sgpr_queue_ptr 0
		.amdhsa_user_sgpr_kernarg_segment_ptr 1
		.amdhsa_user_sgpr_dispatch_id 0
		.amdhsa_user_sgpr_private_segment_size 0
		.amdhsa_wavefront_size32 1
		.amdhsa_uses_dynamic_stack 0
		.amdhsa_enable_private_segment 0
		.amdhsa_system_sgpr_workgroup_id_x 1
		.amdhsa_system_sgpr_workgroup_id_y 1
		.amdhsa_system_sgpr_workgroup_id_z 0
		.amdhsa_system_sgpr_workgroup_info 0
		.amdhsa_system_vgpr_workitem_id 1
		.amdhsa_next_free_vgpr 50
		.amdhsa_next_free_sgpr 28
		.amdhsa_reserve_vcc 1
		.amdhsa_float_round_mode_32 0
		.amdhsa_float_round_mode_16_64 0
		.amdhsa_float_denorm_mode_32 3
		.amdhsa_float_denorm_mode_16_64 3
		.amdhsa_dx10_clamp 1
		.amdhsa_ieee_mode 1
		.amdhsa_fp16_overflow 0
		.amdhsa_workgroup_processor_mode 1
		.amdhsa_memory_ordered 1
		.amdhsa_forward_progress 0
		.amdhsa_shared_vgpr_count 0
		.amdhsa_exception_fp_ieee_invalid_op 0
		.amdhsa_exception_fp_denorm_src 0
		.amdhsa_exception_fp_ieee_div_zero 0
		.amdhsa_exception_fp_ieee_overflow 0
		.amdhsa_exception_fp_ieee_underflow 0
		.amdhsa_exception_fp_ieee_inexact 0
		.amdhsa_exception_int_div_zero 0
	.end_amdhsa_kernel
	.section	.text._ZN2at6native12_GLOBAL__N_135GammaBetaBackwardCUDAKernelTemplateIN3c108BFloat16EfLj64ELj16ELj128ELb0ELb1ELb0EEEvllPKT_S7_PKT0_SA_PS5_SB_,"axG",@progbits,_ZN2at6native12_GLOBAL__N_135GammaBetaBackwardCUDAKernelTemplateIN3c108BFloat16EfLj64ELj16ELj128ELb0ELb1ELb0EEEvllPKT_S7_PKT0_SA_PS5_SB_,comdat
.Lfunc_end102:
	.size	_ZN2at6native12_GLOBAL__N_135GammaBetaBackwardCUDAKernelTemplateIN3c108BFloat16EfLj64ELj16ELj128ELb0ELb1ELb0EEEvllPKT_S7_PKT0_SA_PS5_SB_, .Lfunc_end102-_ZN2at6native12_GLOBAL__N_135GammaBetaBackwardCUDAKernelTemplateIN3c108BFloat16EfLj64ELj16ELj128ELb0ELb1ELb0EEEvllPKT_S7_PKT0_SA_PS5_SB_
                                        ; -- End function
	.section	.AMDGPU.csdata,"",@progbits
; Kernel info:
; codeLenInByte = 1964
; NumSgprs: 30
; NumVgprs: 50
; ScratchSize: 0
; MemoryBound: 0
; FloatMode: 240
; IeeeMode: 1
; LDSByteSize: 0 bytes/workgroup (compile time only)
; SGPRBlocks: 3
; VGPRBlocks: 6
; NumSGPRsForWavesPerEU: 30
; NumVGPRsForWavesPerEU: 50
; Occupancy: 16
; WaveLimiterHint : 0
; COMPUTE_PGM_RSRC2:SCRATCH_EN: 0
; COMPUTE_PGM_RSRC2:USER_SGPR: 14
; COMPUTE_PGM_RSRC2:TRAP_HANDLER: 0
; COMPUTE_PGM_RSRC2:TGID_X_EN: 1
; COMPUTE_PGM_RSRC2:TGID_Y_EN: 1
; COMPUTE_PGM_RSRC2:TGID_Z_EN: 0
; COMPUTE_PGM_RSRC2:TIDIG_COMP_CNT: 1
	.section	.text._ZN2at6native12_GLOBAL__N_135GammaBetaBackwardCUDAKernelTemplateIN3c108BFloat16EfLj64ELj16ELj128ELb0ELb0ELb0EEEvllPKT_S7_PKT0_SA_PS5_SB_,"axG",@progbits,_ZN2at6native12_GLOBAL__N_135GammaBetaBackwardCUDAKernelTemplateIN3c108BFloat16EfLj64ELj16ELj128ELb0ELb0ELb0EEEvllPKT_S7_PKT0_SA_PS5_SB_,comdat
	.globl	_ZN2at6native12_GLOBAL__N_135GammaBetaBackwardCUDAKernelTemplateIN3c108BFloat16EfLj64ELj16ELj128ELb0ELb0ELb0EEEvllPKT_S7_PKT0_SA_PS5_SB_ ; -- Begin function _ZN2at6native12_GLOBAL__N_135GammaBetaBackwardCUDAKernelTemplateIN3c108BFloat16EfLj64ELj16ELj128ELb0ELb0ELb0EEEvllPKT_S7_PKT0_SA_PS5_SB_
	.p2align	8
	.type	_ZN2at6native12_GLOBAL__N_135GammaBetaBackwardCUDAKernelTemplateIN3c108BFloat16EfLj64ELj16ELj128ELb0ELb0ELb0EEEvllPKT_S7_PKT0_SA_PS5_SB_,@function
_ZN2at6native12_GLOBAL__N_135GammaBetaBackwardCUDAKernelTemplateIN3c108BFloat16EfLj64ELj16ELj128ELb0ELb0ELb0EEEvllPKT_S7_PKT0_SA_PS5_SB_: ; @_ZN2at6native12_GLOBAL__N_135GammaBetaBackwardCUDAKernelTemplateIN3c108BFloat16EfLj64ELj16ELj128ELb0ELb0ELb0EEEvllPKT_S7_PKT0_SA_PS5_SB_
; %bb.0:
	s_clause 0x1
	s_load_b256 s[4:11], s[0:1], 0x0
	s_load_b128 s[24:27], s[0:1], 0x20
	s_mov_b32 s29, 0
	s_lshl_b32 s12, s15, 7
	s_mov_b32 s13, s29
	s_lshl_b32 s33, s14, 6
	s_delay_alu instid0(SALU_CYCLE_1) | instskip(SKIP_3) | instid1(VALU_DEP_2)
	s_or_b32 s28, s33, 63
	s_waitcnt lgkmcnt(0)
	v_cmp_lt_i64_e64 s15, s[12:13], s[4:5]
	v_cmp_ge_i64_e64 s2, s[28:29], s[6:7]
	v_cndmask_b32_e64 v1, 0, 1, s15
	s_delay_alu instid0(VALU_DEP_2) | instskip(NEXT) | instid1(VALU_DEP_1)
	s_and_b32 vcc_lo, exec_lo, s2
	v_cmp_ne_u32_e64 s2, 1, v1
	s_cbranch_vccz .LBB103_49
; %bb.1:
	v_mov_b32_e32 v1, 0
	v_mov_b32_e32 v59, 0
	s_delay_alu instid0(VALU_DEP_3)
	s_and_b32 vcc_lo, exec_lo, s2
	s_cbranch_vccnz .LBB103_50
; %bb.2:
	v_bfe_u32 v27, v0, 10, 10
	s_load_b32 s3, s[0:1], 0x44
	v_dual_mov_b32 v2, 0 :: v_dual_and_b32 v29, 0x3ff, v0
	s_add_u32 s30, s0, 64
	s_delay_alu instid0(VALU_DEP_2) | instskip(NEXT) | instid1(VALU_DEP_2)
	v_dual_mov_b32 v59, 0 :: v_dual_lshlrev_b32 v28, 3, v27
	v_add_nc_u32_e32 v1, s33, v29
	s_addc_u32 s31, s1, 0
	v_mov_b32_e32 v63, 0
	s_delay_alu instid0(VALU_DEP_3) | instskip(NEXT) | instid1(VALU_DEP_1)
	v_add_co_u32 v9, s2, v28, s12
	v_add_co_ci_u32_e64 v10, null, 0, 0, s2
	v_cmp_gt_i64_e64 s2, s[6:7], v[1:2]
	s_delay_alu instid0(VALU_DEP_3) | instskip(NEXT) | instid1(VALU_DEP_3)
	v_add_co_u32 v5, vcc_lo, v9, 7
	v_add_co_ci_u32_e32 v3, vcc_lo, 0, v10, vcc_lo
	v_add_co_u32 v8, vcc_lo, v9, 6
	s_delay_alu instid0(VALU_DEP_3) | instskip(NEXT) | instid1(VALU_DEP_3)
	v_mul_lo_u32 v6, s7, v5
	v_mul_lo_u32 v7, s6, v3
	v_mad_u64_u32 v[3:4], null, s6, v5, 0
	v_add_co_ci_u32_e32 v5, vcc_lo, 0, v10, vcc_lo
	v_lshlrev_b64 v[25:26], 1, v[1:2]
	v_mul_lo_u32 v1, s7, v8
	s_waitcnt lgkmcnt(0)
	s_lshl_b32 s28, s3, 7
	s_mov_b32 s16, 0
	s_delay_alu instid0(VALU_DEP_4) | instskip(SKIP_3) | instid1(VALU_DEP_3)
	v_add3_u32 v4, v4, v7, v6
	v_mul_lo_u32 v7, s6, v5
	v_mad_u64_u32 v[5:6], null, s6, v8, 0
	s_mul_i32 s3, s7, s28
	v_lshlrev_b64 v[3:4], 1, v[3:4]
	s_mul_hi_u32 s17, s6, s28
	s_mul_i32 s18, s6, s28
	s_add_i32 s19, s17, s3
	s_mov_b64 s[38:39], s[12:13]
	s_delay_alu instid0(VALU_DEP_2) | instskip(SKIP_4) | instid1(VALU_DEP_1)
	v_add3_u32 v6, v6, v7, v1
	v_add_co_u32 v30, vcc_lo, s8, v3
	v_add_co_ci_u32_e32 v31, vcc_lo, s9, v4, vcc_lo
	v_add_co_u32 v1, vcc_lo, v9, 5
	v_add_co_u32 v32, s3, s10, v3
	v_add_co_ci_u32_e64 v33, s3, s11, v4, s3
	v_lshlrev_b64 v[3:4], 1, v[5:6]
	v_add_co_ci_u32_e32 v5, vcc_lo, 0, v10, vcc_lo
	v_add_co_u32 v12, vcc_lo, v9, 4
	v_mul_lo_u32 v11, s7, v1
	s_delay_alu instid0(VALU_DEP_3) | instskip(SKIP_4) | instid1(VALU_DEP_3)
	v_mul_lo_u32 v13, s6, v5
	v_mad_u64_u32 v[5:6], null, s6, v1, 0
	v_add_co_ci_u32_e32 v7, vcc_lo, 0, v10, vcc_lo
	v_mul_lo_u32 v1, s7, v12
	v_add_co_u32 v34, vcc_lo, s8, v3
	v_mul_lo_u32 v14, s6, v7
	v_mad_u64_u32 v[7:8], null, s6, v12, 0
	v_add3_u32 v6, v6, v13, v11
	v_add_co_ci_u32_e32 v35, vcc_lo, s9, v4, vcc_lo
	v_add_co_u32 v36, vcc_lo, s10, v3
	v_add_co_ci_u32_e32 v37, vcc_lo, s11, v4, vcc_lo
	s_delay_alu instid0(VALU_DEP_4) | instskip(SKIP_3) | instid1(VALU_DEP_4)
	v_lshlrev_b64 v[3:4], 1, v[5:6]
	v_add3_u32 v8, v8, v14, v1
	v_add_co_u32 v1, vcc_lo, v9, 3
	v_add_co_ci_u32_e32 v11, vcc_lo, 0, v10, vcc_lo
	v_add_co_u32 v38, vcc_lo, s8, v3
	s_delay_alu instid0(VALU_DEP_4)
	v_lshlrev_b64 v[5:6], 1, v[7:8]
	v_add_co_ci_u32_e32 v39, vcc_lo, s9, v4, vcc_lo
	v_mul_lo_u32 v12, s7, v1
	v_mul_lo_u32 v11, s6, v11
	v_mad_u64_u32 v[7:8], null, s6, v1, 0
	v_add_co_u32 v40, vcc_lo, s10, v3
	v_add_co_ci_u32_e32 v41, vcc_lo, s11, v4, vcc_lo
	v_add_co_u32 v42, vcc_lo, s8, v5
	v_add_co_ci_u32_e32 v43, vcc_lo, s9, v6, vcc_lo
	v_add_co_u32 v1, vcc_lo, v9, 2
	v_add3_u32 v8, v8, v11, v12
	v_add_co_ci_u32_e32 v11, vcc_lo, 0, v10, vcc_lo
	v_add_co_u32 v44, vcc_lo, s10, v5
	v_add_co_ci_u32_e32 v45, vcc_lo, s11, v6, vcc_lo
	v_mul_lo_u32 v12, s7, v1
	s_delay_alu instid0(VALU_DEP_4)
	v_mul_lo_u32 v11, s6, v11
	v_mad_u64_u32 v[5:6], null, s6, v1, 0
	v_lshlrev_b64 v[3:4], 1, v[7:8]
	v_mul_lo_u32 v1, s7, v9
	v_mul_lo_u32 v10, s6, v10
	v_mad_u64_u32 v[7:8], null, s6, v9, 0
	s_lshl_b64 s[34:35], s[18:19], 1
	s_delay_alu instid0(VALU_DEP_4)
	v_add_co_u32 v46, vcc_lo, s8, v3
	v_add3_u32 v6, v6, v11, v12
	v_add_co_ci_u32_e32 v47, vcc_lo, s9, v4, vcc_lo
	v_add_co_u32 v48, vcc_lo, s10, v3
	v_add3_u32 v8, v8, v10, v1
	v_add_co_ci_u32_e32 v49, vcc_lo, s11, v4, vcc_lo
	v_lshlrev_b64 v[3:4], 1, v[5:6]
	v_add_co_u32 v5, vcc_lo, v7, s6
	s_delay_alu instid0(VALU_DEP_4) | instskip(SKIP_1) | instid1(VALU_DEP_3)
	v_add_co_ci_u32_e32 v6, vcc_lo, s7, v8, vcc_lo
	s_add_u32 s36, s12, 0x7f
	v_add_co_u32 v50, vcc_lo, s8, v3
	s_delay_alu instid0(VALU_DEP_2) | instskip(SKIP_3) | instid1(VALU_DEP_4)
	v_lshlrev_b64 v[5:6], 1, v[5:6]
	v_add_co_ci_u32_e32 v51, vcc_lo, s9, v4, vcc_lo
	v_add_co_u32 v52, vcc_lo, s10, v3
	v_add_co_ci_u32_e32 v53, vcc_lo, s11, v4, vcc_lo
	v_add_co_u32 v54, vcc_lo, s8, v5
	v_lshlrev_b64 v[3:4], 1, v[7:8]
	v_add_co_ci_u32_e32 v55, vcc_lo, s9, v6, vcc_lo
	v_add_co_u32 v56, vcc_lo, s10, v5
	v_add_co_ci_u32_e32 v57, vcc_lo, s11, v6, vcc_lo
	s_delay_alu instid0(VALU_DEP_4)
	v_add_co_u32 v58, vcc_lo, s8, v3
	v_add_co_ci_u32_e32 v60, vcc_lo, s9, v4, vcc_lo
	v_add_co_u32 v61, vcc_lo, s10, v3
	v_add_co_ci_u32_e32 v62, vcc_lo, s11, v4, vcc_lo
	s_addc_u32 s37, 0, 0
.LBB103_3:                              ; =>This Inner Loop Header: Depth=1
	s_delay_alu instid0(SALU_CYCLE_1) | instskip(SKIP_1) | instid1(VALU_DEP_1)
	v_cmp_ge_i64_e64 s3, s[36:37], s[4:5]
	v_add_co_u32 v64, s17, v28, s36
	v_add_co_ci_u32_e64 v65, null, 0, s37, s17
	s_delay_alu instid0(VALU_DEP_3)
	s_and_b32 vcc_lo, exec_lo, s3
	s_cbranch_vccz .LBB103_25
; %bb.4:                                ;   in Loop: Header=BB103_3 Depth=1
	s_load_b32 s3, s[30:31], 0xc
	v_dual_mov_b32 v67, 0 :: v_dual_mov_b32 v66, 0
	s_waitcnt lgkmcnt(0)
	s_and_b32 s3, s3, 0xffff
	s_delay_alu instid0(SALU_CYCLE_1) | instskip(SKIP_1) | instid1(VALU_DEP_1)
	v_mad_u32_u24 v1, v27, s3, v29
	s_mov_b32 s3, exec_lo
	v_and_b32_e32 v1, 31, v1
	s_delay_alu instid0(VALU_DEP_1)
	v_cmpx_gt_u32_e32 8, v1
	s_cbranch_execz .LBB103_8
; %bb.5:                                ;   in Loop: Header=BB103_3 Depth=1
	v_add_co_u32 v1, vcc_lo, v64, v1
	v_add_co_ci_u32_e32 v4, vcc_lo, 0, v65, vcc_lo
	v_dual_mov_b32 v66, 0 :: v_dual_mov_b32 v67, 0
	s_delay_alu instid0(VALU_DEP_3) | instskip(NEXT) | instid1(VALU_DEP_3)
	v_add_co_u32 v3, vcc_lo, 0xffffff81, v1
	v_add_co_ci_u32_e32 v4, vcc_lo, -1, v4, vcc_lo
	s_mov_b32 s17, exec_lo
	s_delay_alu instid0(VALU_DEP_1)
	v_cmpx_gt_i64_e64 s[4:5], v[3:4]
	s_cbranch_execz .LBB103_7
; %bb.6:                                ;   in Loop: Header=BB103_3 Depth=1
	v_lshlrev_b64 v[3:4], 2, v[3:4]
	s_delay_alu instid0(VALU_DEP_1) | instskip(NEXT) | instid1(VALU_DEP_2)
	v_add_co_u32 v5, vcc_lo, s24, v3
	v_add_co_ci_u32_e32 v6, vcc_lo, s25, v4, vcc_lo
	v_add_co_u32 v3, vcc_lo, s26, v3
	v_add_co_ci_u32_e32 v4, vcc_lo, s27, v4, vcc_lo
	global_load_b32 v66, v[5:6], off
	global_load_b32 v67, v[3:4], off
.LBB103_7:                              ;   in Loop: Header=BB103_3 Depth=1
	s_or_b32 exec_lo, exec_lo, s17
.LBB103_8:                              ;   in Loop: Header=BB103_3 Depth=1
	s_delay_alu instid0(SALU_CYCLE_1)
	s_or_b32 exec_lo, exec_lo, s3
	v_add_co_u32 v3, vcc_lo, 0xffffff81, v64
	v_add_co_ci_u32_e32 v4, vcc_lo, -1, v65, vcc_lo
	s_mov_b32 s22, s16
	s_mov_b32 s23, s16
	;; [unrolled: 1-line block ×7, first 2 shown]
	v_dual_mov_b32 v9, s16 :: v_dual_mov_b32 v10, s17
	v_dual_mov_b32 v15, s22 :: v_dual_mov_b32 v16, s23
	;; [unrolled: 1-line block ×4, first 2 shown]
	v_cmp_gt_i64_e32 vcc_lo, s[4:5], v[3:4]
	s_delay_alu instid0(VALU_DEP_4) | instskip(NEXT) | instid1(VALU_DEP_3)
	v_dual_mov_b32 v24, v16 :: v_dual_mov_b32 v23, v15
	v_dual_mov_b32 v21, v13 :: v_dual_mov_b32 v22, v14
	;; [unrolled: 1-line block ×4, first 2 shown]
	s_and_b32 s17, s2, vcc_lo
	s_delay_alu instid0(SALU_CYCLE_1)
	s_and_saveexec_b32 s3, s17
	s_cbranch_execz .LBB103_10
; %bb.9:                                ;   in Loop: Header=BB103_3 Depth=1
	v_add_co_u32 v3, vcc_lo, v58, v25
	v_add_co_ci_u32_e32 v4, vcc_lo, v60, v26, vcc_lo
	v_add_co_u32 v5, vcc_lo, v61, v25
	v_add_co_ci_u32_e32 v6, vcc_lo, v62, v26, vcc_lo
	v_mov_b32_e32 v8, v2
	global_load_u16 v1, v[3:4], off
	global_load_u16 v9, v[5:6], off
	v_mov_b32_e32 v3, v2
	v_mov_b32_e32 v4, v2
	;; [unrolled: 1-line block ×6, first 2 shown]
	s_waitcnt vmcnt(1)
	v_lshlrev_b32_e32 v1, 16, v1
	s_waitcnt vmcnt(0)
	v_lshlrev_b32_e32 v9, 16, v9
	v_dual_mov_b32 v11, v2 :: v_dual_mov_b32 v24, v8
	v_dual_mov_b32 v10, v2 :: v_dual_mov_b32 v23, v7
	;; [unrolled: 1-line block ×6, first 2 shown]
	v_mov_b32_e32 v22, v6
	v_mov_b32_e32 v18, v2
.LBB103_10:                             ;   in Loop: Header=BB103_3 Depth=1
	s_or_b32 exec_lo, exec_lo, s3
	v_add_co_u32 v3, vcc_lo, 0xffffff82, v64
	v_add_co_ci_u32_e32 v4, vcc_lo, -1, v65, vcc_lo
	s_delay_alu instid0(VALU_DEP_1) | instskip(SKIP_1) | instid1(SALU_CYCLE_1)
	v_cmp_gt_i64_e32 vcc_lo, s[4:5], v[3:4]
	s_and_b32 s17, s2, vcc_lo
	s_and_saveexec_b32 s3, s17
	s_cbranch_execz .LBB103_12
; %bb.11:                               ;   in Loop: Header=BB103_3 Depth=1
	v_add_co_u32 v3, vcc_lo, v54, v25
	v_add_co_ci_u32_e32 v4, vcc_lo, v55, v26, vcc_lo
	v_add_co_u32 v5, vcc_lo, v56, v25
	v_add_co_ci_u32_e32 v6, vcc_lo, v57, v26, vcc_lo
	global_load_u16 v1, v[3:4], off
	global_load_u16 v3, v[5:6], off
	s_waitcnt vmcnt(1)
	v_lshlrev_b32_e32 v18, 16, v1
	s_waitcnt vmcnt(0)
	v_lshlrev_b32_e32 v10, 16, v3
.LBB103_12:                             ;   in Loop: Header=BB103_3 Depth=1
	s_or_b32 exec_lo, exec_lo, s3
	v_add_co_u32 v3, vcc_lo, 0xffffff83, v64
	v_add_co_ci_u32_e32 v4, vcc_lo, -1, v65, vcc_lo
	s_delay_alu instid0(VALU_DEP_1) | instskip(SKIP_1) | instid1(SALU_CYCLE_1)
	v_cmp_gt_i64_e32 vcc_lo, s[4:5], v[3:4]
	s_and_b32 s17, s2, vcc_lo
	s_and_saveexec_b32 s3, s17
	s_cbranch_execz .LBB103_14
; %bb.13:                               ;   in Loop: Header=BB103_3 Depth=1
	v_add_co_u32 v3, vcc_lo, v50, v25
	v_add_co_ci_u32_e32 v4, vcc_lo, v51, v26, vcc_lo
	v_add_co_u32 v5, vcc_lo, v52, v25
	v_add_co_ci_u32_e32 v6, vcc_lo, v53, v26, vcc_lo
	global_load_u16 v1, v[3:4], off
	global_load_u16 v3, v[5:6], off
	s_waitcnt vmcnt(1)
	v_lshlrev_b32_e32 v19, 16, v1
	s_waitcnt vmcnt(0)
	v_lshlrev_b32_e32 v11, 16, v3
.LBB103_14:                             ;   in Loop: Header=BB103_3 Depth=1
	;; [unrolled: 20-line block ×7, first 2 shown]
	s_or_b32 exec_lo, exec_lo, s3
	s_waitcnt vmcnt(1)
	ds_bpermute_b32 v1, v2, v66
	ds_bpermute_b32 v3, v2, v66 offset:4
	ds_bpermute_b32 v4, v2, v66 offset:8
	;; [unrolled: 1-line block ×3, first 2 shown]
	s_waitcnt vmcnt(0)
	ds_bpermute_b32 v5, v2, v67
	ds_bpermute_b32 v7, v2, v67 offset:4
	ds_bpermute_b32 v8, v2, v66 offset:16
	;; [unrolled: 1-line block ×5, first 2 shown]
	s_waitcnt lgkmcnt(9)
	v_sub_f32_e32 v1, v9, v1
	v_add_f32_e32 v9, v59, v17
	s_waitcnt lgkmcnt(7)
	v_sub_f32_e32 v4, v11, v4
	s_waitcnt lgkmcnt(6)
	v_dual_sub_f32 v6, v12, v6 :: v_dual_sub_f32 v3, v10, v3
	v_mul_f32_e32 v1, v17, v1
	ds_bpermute_b32 v10, v2, v67 offset:16
	ds_bpermute_b32 v17, v2, v66 offset:24
	v_mul_f32_e32 v6, v20, v6
	v_dual_mul_f32 v4, v19, v4 :: v_dual_mul_f32 v3, v18, v3
	s_waitcnt lgkmcnt(5)
	v_sub_f32_e32 v8, v13, v8
	v_fma_f32 v1, v1, v5, v63
	ds_bpermute_b32 v5, v2, v67 offset:20
	ds_bpermute_b32 v11, v2, v67 offset:24
	v_dual_mul_f32 v8, v21, v8 :: v_dual_fmac_f32 v1, v3, v7
	v_add_f32_e32 v7, v18, v9
	ds_bpermute_b32 v3, v2, v67 offset:28
	s_waitcnt lgkmcnt(7)
	v_fmac_f32_e32 v1, v4, v68
	v_add_f32_e32 v7, v19, v7
	ds_bpermute_b32 v4, v2, v66 offset:28
	s_waitcnt lgkmcnt(6)
	v_sub_f32_e32 v9, v14, v70
	v_dual_fmac_f32 v1, v6, v69 :: v_dual_add_f32 v6, v20, v7
	s_waitcnt lgkmcnt(4)
	v_sub_f32_e32 v7, v15, v17
	s_delay_alu instid0(VALU_DEP_3) | instskip(NEXT) | instid1(VALU_DEP_3)
	v_mul_f32_e32 v9, v22, v9
	v_fmac_f32_e32 v1, v8, v10
	s_delay_alu instid0(VALU_DEP_3) | instskip(SKIP_1) | instid1(VALU_DEP_2)
	v_dual_add_f32 v6, v21, v6 :: v_dual_mul_f32 v7, v23, v7
	s_waitcnt lgkmcnt(3)
	v_fmac_f32_e32 v1, v9, v5
	s_delay_alu instid0(VALU_DEP_2) | instskip(SKIP_1) | instid1(VALU_DEP_2)
	v_add_f32_e32 v5, v22, v6
	s_waitcnt lgkmcnt(2)
	v_fmac_f32_e32 v1, v7, v11
	s_delay_alu instid0(VALU_DEP_2)
	v_add_f32_e32 v5, v23, v5
	s_branch .LBB103_40
.LBB103_25:                             ;   in Loop: Header=BB103_3 Depth=1
                                        ; implicit-def: $vgpr3
                                        ; implicit-def: $vgpr9_vgpr10_vgpr11_vgpr12_vgpr13_vgpr14_vgpr15_vgpr16
                                        ; implicit-def: $vgpr17_vgpr18_vgpr19_vgpr20_vgpr21_vgpr22_vgpr23_vgpr24
                                        ; implicit-def: $vgpr4
                                        ; implicit-def: $vgpr1
                                        ; implicit-def: $vgpr5
	s_cbranch_execz .LBB103_40
; %bb.26:                               ;   in Loop: Header=BB103_3 Depth=1
	s_load_b32 s3, s[30:31], 0x0
	v_dual_mov_b32 v67, 0 :: v_dual_mov_b32 v66, 0
	s_waitcnt lgkmcnt(0)
	s_cmp_lt_u32 s14, s3
	s_cselect_b32 s3, 12, 18
	s_delay_alu instid0(SALU_CYCLE_1)
	s_add_u32 s18, s30, s3
	s_addc_u32 s19, s31, 0
	s_mov_b32 s3, exec_lo
	global_load_u16 v1, v2, s[18:19]
	s_waitcnt vmcnt(0)
	v_mad_u32_u24 v1, v27, v1, v29
	s_delay_alu instid0(VALU_DEP_1) | instskip(NEXT) | instid1(VALU_DEP_1)
	v_and_b32_e32 v1, 31, v1
	v_cmpx_gt_u32_e32 8, v1
	s_cbranch_execz .LBB103_30
; %bb.27:                               ;   in Loop: Header=BB103_3 Depth=1
	v_add_co_u32 v1, vcc_lo, v64, v1
	v_add_co_ci_u32_e32 v4, vcc_lo, 0, v65, vcc_lo
	v_dual_mov_b32 v66, 0 :: v_dual_mov_b32 v67, 0
	s_delay_alu instid0(VALU_DEP_3) | instskip(NEXT) | instid1(VALU_DEP_3)
	v_add_co_u32 v3, vcc_lo, 0xffffff81, v1
	v_add_co_ci_u32_e32 v4, vcc_lo, -1, v4, vcc_lo
	s_mov_b32 s17, exec_lo
	s_delay_alu instid0(VALU_DEP_1)
	v_cmpx_gt_i64_e64 s[4:5], v[3:4]
	s_cbranch_execz .LBB103_29
; %bb.28:                               ;   in Loop: Header=BB103_3 Depth=1
	v_lshlrev_b64 v[3:4], 2, v[3:4]
	s_delay_alu instid0(VALU_DEP_1) | instskip(NEXT) | instid1(VALU_DEP_2)
	v_add_co_u32 v5, vcc_lo, s24, v3
	v_add_co_ci_u32_e32 v6, vcc_lo, s25, v4, vcc_lo
	v_add_co_u32 v3, vcc_lo, s26, v3
	v_add_co_ci_u32_e32 v4, vcc_lo, s27, v4, vcc_lo
	global_load_b32 v66, v[5:6], off
	global_load_b32 v67, v[3:4], off
.LBB103_29:                             ;   in Loop: Header=BB103_3 Depth=1
	s_or_b32 exec_lo, exec_lo, s17
.LBB103_30:                             ;   in Loop: Header=BB103_3 Depth=1
	s_delay_alu instid0(SALU_CYCLE_1)
	s_or_b32 exec_lo, exec_lo, s3
	s_mov_b32 s22, s16
	s_mov_b32 s23, s16
	;; [unrolled: 1-line block ×7, first 2 shown]
	v_dual_mov_b32 v9, s16 :: v_dual_mov_b32 v10, s17
	v_dual_mov_b32 v15, s22 :: v_dual_mov_b32 v16, s23
	;; [unrolled: 1-line block ×4, first 2 shown]
	s_delay_alu instid0(VALU_DEP_3) | instskip(NEXT) | instid1(VALU_DEP_3)
	v_dual_mov_b32 v24, v16 :: v_dual_mov_b32 v23, v15
	v_dual_mov_b32 v20, v12 :: v_dual_mov_b32 v19, v11
	s_delay_alu instid0(VALU_DEP_3)
	v_dual_mov_b32 v22, v14 :: v_dual_mov_b32 v21, v13
	v_dual_mov_b32 v18, v10 :: v_dual_mov_b32 v17, v9
	s_and_saveexec_b32 s3, s2
	s_cbranch_execnz .LBB103_42
; %bb.31:                               ;   in Loop: Header=BB103_3 Depth=1
	s_or_b32 exec_lo, exec_lo, s3
	s_and_saveexec_b32 s3, s2
	s_cbranch_execnz .LBB103_43
.LBB103_32:                             ;   in Loop: Header=BB103_3 Depth=1
	s_or_b32 exec_lo, exec_lo, s3
	s_and_saveexec_b32 s3, s2
	s_cbranch_execnz .LBB103_44
.LBB103_33:                             ;   in Loop: Header=BB103_3 Depth=1
	s_or_b32 exec_lo, exec_lo, s3
	s_and_saveexec_b32 s3, s2
	s_cbranch_execnz .LBB103_45
.LBB103_34:                             ;   in Loop: Header=BB103_3 Depth=1
	s_or_b32 exec_lo, exec_lo, s3
	s_and_saveexec_b32 s3, s2
	s_cbranch_execnz .LBB103_46
.LBB103_35:                             ;   in Loop: Header=BB103_3 Depth=1
	s_or_b32 exec_lo, exec_lo, s3
	s_and_saveexec_b32 s3, s2
	s_cbranch_execnz .LBB103_47
.LBB103_36:                             ;   in Loop: Header=BB103_3 Depth=1
	s_or_b32 exec_lo, exec_lo, s3
	s_and_saveexec_b32 s3, s2
	s_cbranch_execnz .LBB103_48
.LBB103_37:                             ;   in Loop: Header=BB103_3 Depth=1
	s_or_b32 exec_lo, exec_lo, s3
	s_and_saveexec_b32 s3, s2
	s_cbranch_execz .LBB103_39
.LBB103_38:                             ;   in Loop: Header=BB103_3 Depth=1
	v_add_co_u32 v3, vcc_lo, v30, v25
	v_add_co_ci_u32_e32 v4, vcc_lo, v31, v26, vcc_lo
	v_add_co_u32 v5, vcc_lo, v32, v25
	v_add_co_ci_u32_e32 v6, vcc_lo, v33, v26, vcc_lo
	global_load_u16 v1, v[3:4], off
	global_load_u16 v3, v[5:6], off
	s_waitcnt vmcnt(1)
	v_lshlrev_b32_e32 v24, 16, v1
	s_waitcnt vmcnt(0)
	v_lshlrev_b32_e32 v16, 16, v3
.LBB103_39:                             ;   in Loop: Header=BB103_3 Depth=1
	s_or_b32 exec_lo, exec_lo, s3
	s_waitcnt vmcnt(1)
	ds_bpermute_b32 v1, v2, v66
	ds_bpermute_b32 v3, v2, v66 offset:4
	ds_bpermute_b32 v4, v2, v66 offset:8
	s_waitcnt vmcnt(0)
	ds_bpermute_b32 v5, v2, v67
	ds_bpermute_b32 v6, v2, v66 offset:12
	ds_bpermute_b32 v7, v2, v67 offset:4
	;; [unrolled: 1-line block ×5, first 2 shown]
	s_waitcnt lgkmcnt(8)
	v_sub_f32_e32 v1, v9, v1
	ds_bpermute_b32 v9, v2, v67 offset:12
	s_waitcnt lgkmcnt(7)
	v_dual_sub_f32 v4, v11, v4 :: v_dual_sub_f32 v3, v10, v3
	v_add_f32_e32 v10, v59, v17
	s_waitcnt lgkmcnt(5)
	v_dual_mul_f32 v1, v17, v1 :: v_dual_sub_f32 v6, v12, v6
	ds_bpermute_b32 v17, v2, v67 offset:16
	v_dual_mul_f32 v3, v18, v3 :: v_dual_mul_f32 v4, v19, v4
	v_dual_fmac_f32 v63, v1, v5 :: v_dual_mul_f32 v6, v20, v6
	ds_bpermute_b32 v1, v2, v66 offset:24
	ds_bpermute_b32 v5, v2, v67 offset:20
	s_waitcnt lgkmcnt(4)
	v_sub_f32_e32 v11, v14, v65
	v_fmac_f32_e32 v63, v3, v7
	v_add_f32_e32 v3, v18, v10
	v_sub_f32_e32 v7, v13, v8
	ds_bpermute_b32 v8, v2, v67 offset:24
	v_dual_fmac_f32 v63, v4, v64 :: v_dual_add_f32 v10, v19, v3
	v_mul_f32_e32 v7, v21, v7
	ds_bpermute_b32 v3, v2, v67 offset:28
	ds_bpermute_b32 v4, v2, v66 offset:28
	s_waitcnt lgkmcnt(6)
	v_dual_fmac_f32 v63, v6, v9 :: v_dual_add_f32 v6, v20, v10
	v_mul_f32_e32 v9, v22, v11
	s_waitcnt lgkmcnt(5)
	s_delay_alu instid0(VALU_DEP_2) | instskip(SKIP_3) | instid1(VALU_DEP_2)
	v_dual_fmac_f32 v63, v7, v17 :: v_dual_add_f32 v6, v21, v6
	s_waitcnt lgkmcnt(4)
	v_sub_f32_e32 v1, v15, v1
	s_waitcnt lgkmcnt(3)
	v_fmac_f32_e32 v63, v9, v5
	v_add_f32_e32 v5, v22, v6
	s_delay_alu instid0(VALU_DEP_3) | instskip(NEXT) | instid1(VALU_DEP_2)
	v_mul_f32_e32 v1, v23, v1
	v_add_f32_e32 v5, v23, v5
	s_waitcnt lgkmcnt(2)
	s_delay_alu instid0(VALU_DEP_2) | instskip(NEXT) | instid1(VALU_DEP_1)
	v_fmac_f32_e32 v63, v1, v8
	v_mov_b32_e32 v1, v63
.LBB103_40:                             ;   in Loop: Header=BB103_3 Depth=1
	v_add_co_u32 v30, vcc_lo, v30, s34
	v_add_co_ci_u32_e32 v31, vcc_lo, s35, v31, vcc_lo
	v_add_co_u32 v32, vcc_lo, v32, s34
	v_add_co_ci_u32_e32 v33, vcc_lo, s35, v33, vcc_lo
	;; [unrolled: 2-line block ×12, first 2 shown]
	v_add_co_u32 v54, vcc_lo, v54, s34
	s_waitcnt lgkmcnt(0)
	v_sub_f32_e32 v4, v16, v4
	v_add_co_ci_u32_e32 v55, vcc_lo, s35, v55, vcc_lo
	v_add_co_u32 v56, vcc_lo, v56, s34
	s_add_u32 s38, s38, s28
	v_add_co_ci_u32_e32 v57, vcc_lo, s35, v57, vcc_lo
	v_mul_f32_e32 v4, v24, v4
	s_addc_u32 s39, s39, 0
	v_add_co_u32 v58, vcc_lo, v58, s34
	v_cmp_lt_i64_e64 s3, s[38:39], s[4:5]
	v_add_co_ci_u32_e32 v60, vcc_lo, s35, v60, vcc_lo
	v_add_co_u32 v61, vcc_lo, v61, s34
	v_add_f32_e32 v59, v5, v24
	v_fmac_f32_e32 v1, v4, v3
	v_add_co_ci_u32_e32 v62, vcc_lo, s35, v62, vcc_lo
	s_add_u32 s36, s36, s28
	s_addc_u32 s37, s37, 0
	s_and_b32 vcc_lo, exec_lo, s3
	s_cbranch_vccz .LBB103_50
; %bb.41:                               ;   in Loop: Header=BB103_3 Depth=1
	v_mov_b32_e32 v63, v1
	s_branch .LBB103_3
.LBB103_42:                             ;   in Loop: Header=BB103_3 Depth=1
	v_add_co_u32 v3, vcc_lo, v58, v25
	v_add_co_ci_u32_e32 v4, vcc_lo, v60, v26, vcc_lo
	v_add_co_u32 v5, vcc_lo, v61, v25
	v_add_co_ci_u32_e32 v6, vcc_lo, v62, v26, vcc_lo
	v_mov_b32_e32 v8, v2
	global_load_u16 v1, v[3:4], off
	global_load_u16 v9, v[5:6], off
	v_mov_b32_e32 v3, v2
	v_mov_b32_e32 v4, v2
	;; [unrolled: 1-line block ×6, first 2 shown]
	s_waitcnt vmcnt(1)
	v_lshlrev_b32_e32 v1, 16, v1
	s_waitcnt vmcnt(0)
	v_lshlrev_b32_e32 v9, 16, v9
	v_dual_mov_b32 v11, v2 :: v_dual_mov_b32 v24, v8
	v_dual_mov_b32 v10, v2 :: v_dual_mov_b32 v23, v7
	;; [unrolled: 1-line block ×6, first 2 shown]
	v_mov_b32_e32 v22, v6
	v_mov_b32_e32 v18, v2
	s_or_b32 exec_lo, exec_lo, s3
	s_and_saveexec_b32 s3, s2
	s_cbranch_execz .LBB103_32
.LBB103_43:                             ;   in Loop: Header=BB103_3 Depth=1
	v_add_co_u32 v3, vcc_lo, v54, v25
	v_add_co_ci_u32_e32 v4, vcc_lo, v55, v26, vcc_lo
	v_add_co_u32 v5, vcc_lo, v56, v25
	v_add_co_ci_u32_e32 v6, vcc_lo, v57, v26, vcc_lo
	global_load_u16 v1, v[3:4], off
	global_load_u16 v3, v[5:6], off
	s_waitcnt vmcnt(1)
	v_lshlrev_b32_e32 v18, 16, v1
	s_waitcnt vmcnt(0)
	v_lshlrev_b32_e32 v10, 16, v3
	s_or_b32 exec_lo, exec_lo, s3
	s_and_saveexec_b32 s3, s2
	s_cbranch_execz .LBB103_33
.LBB103_44:                             ;   in Loop: Header=BB103_3 Depth=1
	v_add_co_u32 v3, vcc_lo, v50, v25
	v_add_co_ci_u32_e32 v4, vcc_lo, v51, v26, vcc_lo
	v_add_co_u32 v5, vcc_lo, v52, v25
	v_add_co_ci_u32_e32 v6, vcc_lo, v53, v26, vcc_lo
	global_load_u16 v1, v[3:4], off
	global_load_u16 v3, v[5:6], off
	s_waitcnt vmcnt(1)
	v_lshlrev_b32_e32 v19, 16, v1
	s_waitcnt vmcnt(0)
	v_lshlrev_b32_e32 v11, 16, v3
	s_or_b32 exec_lo, exec_lo, s3
	s_and_saveexec_b32 s3, s2
	s_cbranch_execz .LBB103_34
.LBB103_45:                             ;   in Loop: Header=BB103_3 Depth=1
	v_add_co_u32 v3, vcc_lo, v46, v25
	v_add_co_ci_u32_e32 v4, vcc_lo, v47, v26, vcc_lo
	v_add_co_u32 v5, vcc_lo, v48, v25
	v_add_co_ci_u32_e32 v6, vcc_lo, v49, v26, vcc_lo
	global_load_u16 v1, v[3:4], off
	global_load_u16 v3, v[5:6], off
	s_waitcnt vmcnt(1)
	v_lshlrev_b32_e32 v20, 16, v1
	s_waitcnt vmcnt(0)
	v_lshlrev_b32_e32 v12, 16, v3
	s_or_b32 exec_lo, exec_lo, s3
	s_and_saveexec_b32 s3, s2
	s_cbranch_execz .LBB103_35
.LBB103_46:                             ;   in Loop: Header=BB103_3 Depth=1
	v_add_co_u32 v3, vcc_lo, v42, v25
	v_add_co_ci_u32_e32 v4, vcc_lo, v43, v26, vcc_lo
	v_add_co_u32 v5, vcc_lo, v44, v25
	v_add_co_ci_u32_e32 v6, vcc_lo, v45, v26, vcc_lo
	global_load_u16 v1, v[3:4], off
	global_load_u16 v3, v[5:6], off
	s_waitcnt vmcnt(1)
	v_lshlrev_b32_e32 v21, 16, v1
	s_waitcnt vmcnt(0)
	v_lshlrev_b32_e32 v13, 16, v3
	s_or_b32 exec_lo, exec_lo, s3
	s_and_saveexec_b32 s3, s2
	s_cbranch_execz .LBB103_36
.LBB103_47:                             ;   in Loop: Header=BB103_3 Depth=1
	v_add_co_u32 v3, vcc_lo, v38, v25
	v_add_co_ci_u32_e32 v4, vcc_lo, v39, v26, vcc_lo
	v_add_co_u32 v5, vcc_lo, v40, v25
	v_add_co_ci_u32_e32 v6, vcc_lo, v41, v26, vcc_lo
	global_load_u16 v1, v[3:4], off
	global_load_u16 v3, v[5:6], off
	s_waitcnt vmcnt(1)
	v_lshlrev_b32_e32 v22, 16, v1
	s_waitcnt vmcnt(0)
	v_lshlrev_b32_e32 v14, 16, v3
	s_or_b32 exec_lo, exec_lo, s3
	s_and_saveexec_b32 s3, s2
	s_cbranch_execz .LBB103_37
.LBB103_48:                             ;   in Loop: Header=BB103_3 Depth=1
	v_add_co_u32 v3, vcc_lo, v34, v25
	v_add_co_ci_u32_e32 v4, vcc_lo, v35, v26, vcc_lo
	v_add_co_u32 v5, vcc_lo, v36, v25
	v_add_co_ci_u32_e32 v6, vcc_lo, v37, v26, vcc_lo
	global_load_u16 v1, v[3:4], off
	global_load_u16 v3, v[5:6], off
	s_waitcnt vmcnt(1)
	v_lshlrev_b32_e32 v23, 16, v1
	s_waitcnt vmcnt(0)
	v_lshlrev_b32_e32 v15, 16, v3
	s_or_b32 exec_lo, exec_lo, s3
	s_and_saveexec_b32 s3, s2
	s_cbranch_execnz .LBB103_38
	s_branch .LBB103_39
.LBB103_49:
	s_mov_b32 s29, -1
                                        ; implicit-def: $vgpr1
                                        ; implicit-def: $vgpr59
.LBB103_50:
	s_delay_alu instid0(SALU_CYCLE_1)
	s_and_not1_b32 vcc_lo, exec_lo, s29
	s_cbranch_vccnz .LBB103_83
; %bb.51:
	v_mov_b32_e32 v1, 0
	v_mov_b32_e32 v59, 0
	s_and_not1_b32 vcc_lo, exec_lo, s15
	s_mov_b32 s16, 0
	s_cbranch_vccnz .LBB103_83
; %bb.52:
	s_load_b32 s2, s[0:1], 0x44
	v_dual_mov_b32 v2, 0 :: v_dual_and_b32 v55, 0x3ff, v0
	v_bfe_u32 v56, v0, 10, 10
	s_add_u32 s28, s0, 64
	s_addc_u32 s29, s1, 0
	s_delay_alu instid0(VALU_DEP_2) | instskip(NEXT) | instid1(VALU_DEP_2)
	v_dual_mov_b32 v92, 0 :: v_dual_add_nc_u32 v1, s33, v55
	v_lshlrev_b32_e32 v3, 4, v56
	v_lshlrev_b32_e32 v57, 3, v56
	v_mov_b32_e32 v91, 0
	s_delay_alu instid0(VALU_DEP_4)
	v_lshlrev_b64 v[25:26], 1, v[1:2]
	s_waitcnt lgkmcnt(0)
	s_lshl_b32 s15, s2, 7
	s_add_u32 s30, s12, 0x7f
	s_addc_u32 s31, 0, 0
	s_lshl_b64 s[2:3], s[12:13], 1
	s_mul_i32 s17, s7, s15
	v_add_co_u32 v1, s2, v3, s2
	s_delay_alu instid0(VALU_DEP_1) | instskip(SKIP_1) | instid1(VALU_DEP_3)
	v_add_co_ci_u32_e64 v3, null, 0, s3, s2
	v_add_co_u32 v59, s3, v57, s12
	v_add_co_u32 v7, vcc_lo, v1, 2
	s_delay_alu instid0(VALU_DEP_3) | instskip(SKIP_3) | instid1(VALU_DEP_4)
	v_add_co_ci_u32_e32 v4, vcc_lo, 0, v3, vcc_lo
	v_add_co_u32 v8, vcc_lo, v1, 4
	v_add_co_ci_u32_e32 v5, vcc_lo, 0, v3, vcc_lo
	v_add_co_u32 v11, vcc_lo, v1, 6
	v_mul_lo_u32 v9, s6, v4
	v_add_co_ci_u32_e32 v4, vcc_lo, 0, v3, vcc_lo
	v_add_co_u32 v14, vcc_lo, v1, 8
	v_mul_lo_u32 v12, s6, v5
	;; [unrolled: 3-line block ×4, first 2 shown]
	v_add_co_ci_u32_e32 v5, vcc_lo, 0, v3, vcc_lo
	v_add_co_ci_u32_e64 v75, null, 0, 0, s3
	v_add_co_u32 v1, vcc_lo, v1, 14
	v_mul_lo_u32 v21, s6, v4
	s_delay_alu instid0(VALU_DEP_4) | instskip(SKIP_4) | instid1(VALU_DEP_4)
	v_mul_lo_u32 v23, s6, v5
	v_add_co_ci_u32_e32 v5, vcc_lo, 0, v3, vcc_lo
	v_mul_lo_u32 v6, s7, v59
	v_mul_lo_u32 v41, s6, v75
	v_mad_u64_u32 v[3:4], null, s6, v59, 0
	v_mul_lo_u32 v61, s6, v5
	v_mad_u64_u32 v[27:28], null, s6, v7, s[8:9]
	;; [unrolled: 2-line block ×3, first 2 shown]
	v_add3_u32 v4, v4, v41, v6
	v_mad_u64_u32 v[41:42], null, s6, v7, s[10:11]
	v_mul_lo_u32 v13, s7, v8
	v_mad_u64_u32 v[43:44], null, s6, v8, s[10:11]
	s_delay_alu instid0(VALU_DEP_4)
	v_lshlrev_b64 v[5:6], 1, v[3:4]
	v_add3_u32 v28, v10, v28, v9
	v_mad_u64_u32 v[31:32], null, s6, v11, s[8:9]
	v_add3_u32 v42, v10, v42, v9
	v_add3_u32 v30, v13, v30, v12
	v_add_co_u32 v58, vcc_lo, s8, v5
	v_add_co_ci_u32_e32 v60, vcc_lo, s9, v6, vcc_lo
	v_add_co_u32 v9, vcc_lo, v59, 7
	v_add_co_ci_u32_e32 v7, vcc_lo, 0, v75, vcc_lo
	v_add3_u32 v44, v13, v44, v12
	v_add_co_u32 v12, vcc_lo, v59, 6
	v_mul_lo_u32 v16, s7, v11
	v_mad_u64_u32 v[39:40], null, s6, v1, s[8:9]
	v_mul_lo_u32 v62, s7, v1
	v_mad_u64_u32 v[45:46], null, s6, v11, s[10:11]
	v_mad_u64_u32 v[53:54], null, s6, v1, s[10:11]
	v_mul_lo_u32 v1, s7, v9
	v_mul_lo_u32 v11, s6, v7
	v_mad_u64_u32 v[7:8], null, s6, v9, 0
	v_add_co_ci_u32_e32 v10, vcc_lo, 0, v75, vcc_lo
	v_mad_u64_u32 v[33:34], null, s6, v14, s[8:9]
	v_mul_lo_u32 v19, s7, v14
	v_mad_u64_u32 v[47:48], null, s6, v14, s[10:11]
	v_mul_lo_u32 v13, s7, v12
	v_mul_lo_u32 v14, s6, v10
	v_mad_u64_u32 v[9:10], null, s6, v12, 0
	v_add3_u32 v8, v8, v11, v1
	v_add3_u32 v40, v62, v40, v61
	;; [unrolled: 1-line block ×3, first 2 shown]
	v_add_co_u32 v61, vcc_lo, s10, v5
	v_add_co_ci_u32_e32 v62, vcc_lo, s11, v6, vcc_lo
	v_lshlrev_b64 v[5:6], 1, v[7:8]
	v_add3_u32 v10, v10, v14, v13
	v_add_co_u32 v1, vcc_lo, v59, 5
	v_add_co_ci_u32_e32 v11, vcc_lo, 0, v75, vcc_lo
	s_delay_alu instid0(VALU_DEP_4) | instskip(NEXT) | instid1(VALU_DEP_4)
	v_add_co_u32 v63, vcc_lo, s8, v5
	v_lshlrev_b64 v[7:8], 1, v[9:10]
	v_add_co_ci_u32_e32 v64, vcc_lo, s9, v6, vcc_lo
	v_mul_lo_u32 v12, s7, v1
	v_mul_lo_u32 v11, s6, v11
	v_mad_u64_u32 v[9:10], null, s6, v1, 0
	v_add_co_u32 v65, vcc_lo, s10, v5
	v_add_co_ci_u32_e32 v66, vcc_lo, s11, v6, vcc_lo
	v_add_co_u32 v67, vcc_lo, s8, v7
	v_add_co_ci_u32_e32 v68, vcc_lo, s9, v8, vcc_lo
	s_mul_hi_u32 s2, s6, s15
	v_add_co_u32 v1, vcc_lo, v59, 4
	v_add3_u32 v10, v10, v11, v12
	s_add_i32 s3, s2, s17
	v_add_co_u32 v69, s2, s10, v7
	v_add_co_ci_u32_e32 v7, vcc_lo, 0, v75, vcc_lo
	v_add_co_u32 v12, vcc_lo, v59, 3
	v_lshlrev_b64 v[5:6], 1, v[9:10]
	v_add_co_ci_u32_e32 v9, vcc_lo, 0, v75, vcc_lo
	v_add_co_ci_u32_e64 v70, s2, s11, v8, s2
	v_mul_lo_u32 v11, s7, v1
	v_mul_lo_u32 v13, s6, v7
	v_mad_u64_u32 v[7:8], null, s6, v1, 0
	v_mul_lo_u32 v1, s7, v12
	v_mul_lo_u32 v14, s6, v9
	v_mad_u64_u32 v[9:10], null, s6, v12, 0
	v_add_co_u32 v71, vcc_lo, s8, v5
	v_add_co_ci_u32_e32 v72, vcc_lo, s9, v6, vcc_lo
	v_add3_u32 v8, v8, v13, v11
	v_add_co_u32 v73, vcc_lo, s10, v5
	v_add_co_ci_u32_e32 v74, vcc_lo, s11, v6, vcc_lo
	v_add3_u32 v10, v10, v14, v1
	v_add_co_u32 v1, vcc_lo, v59, 2
	v_lshlrev_b64 v[5:6], 1, v[7:8]
	v_add_co_ci_u32_e32 v11, vcc_lo, 0, v75, vcc_lo
	s_delay_alu instid0(VALU_DEP_4) | instskip(NEXT) | instid1(VALU_DEP_4)
	v_lshlrev_b64 v[7:8], 1, v[9:10]
	v_mul_lo_u32 v12, s7, v1
	v_mad_u64_u32 v[9:10], null, s6, v1, 0
	v_add_co_u32 v75, vcc_lo, s8, v5
	v_mul_lo_u32 v11, s6, v11
	v_add_co_ci_u32_e32 v76, vcc_lo, s9, v6, vcc_lo
	v_add_co_u32 v77, vcc_lo, s10, v5
	v_add_co_ci_u32_e32 v78, vcc_lo, s11, v6, vcc_lo
	v_add_co_u32 v79, vcc_lo, s8, v7
	v_add_co_ci_u32_e32 v80, vcc_lo, s9, v8, vcc_lo
	v_add3_u32 v10, v10, v11, v12
	v_add_co_u32 v81, vcc_lo, s10, v7
	v_add_co_ci_u32_e32 v82, vcc_lo, s11, v8, vcc_lo
	v_add_co_u32 v3, vcc_lo, v3, s6
	s_delay_alu instid0(VALU_DEP_4) | instskip(SKIP_3) | instid1(VALU_DEP_4)
	v_lshlrev_b64 v[5:6], 1, v[9:10]
	v_add_co_ci_u32_e32 v4, vcc_lo, s7, v4, vcc_lo
	v_mad_u64_u32 v[35:36], null, s6, v18, s[8:9]
	v_mul_lo_u32 v22, s7, v18
	v_add_co_u32 v83, vcc_lo, s8, v5
	s_delay_alu instid0(VALU_DEP_4)
	v_lshlrev_b64 v[3:4], 1, v[3:4]
	v_add_co_ci_u32_e32 v84, vcc_lo, s9, v6, vcc_lo
	v_mad_u64_u32 v[37:38], null, s6, v20, s[8:9]
	v_mul_lo_u32 v24, s7, v20
	v_mad_u64_u32 v[49:50], null, s6, v18, s[10:11]
	v_mad_u64_u32 v[51:52], null, s6, v20, s[10:11]
	v_add_co_u32 v85, vcc_lo, s10, v5
	v_add_co_ci_u32_e32 v86, vcc_lo, s11, v6, vcc_lo
	v_add_co_u32 v87, vcc_lo, s8, v3
	v_add_co_ci_u32_e32 v88, vcc_lo, s9, v4, vcc_lo
	v_add_co_u32 v89, vcc_lo, s10, v3
	v_add3_u32 v32, v16, v32, v15
	v_add3_u32 v34, v19, v34, v17
	;; [unrolled: 1-line block ×8, first 2 shown]
	v_add_co_ci_u32_e32 v90, vcc_lo, s11, v4, vcc_lo
	s_mul_i32 s2, s6, s15
	s_delay_alu instid0(SALU_CYCLE_1)
	s_lshl_b64 s[2:3], s[2:3], 1
.LBB103_53:                             ; =>This Inner Loop Header: Depth=1
	v_cmp_ge_i64_e64 s8, s[30:31], s[4:5]
	v_add_co_u32 v93, s9, v57, s30
	s_delay_alu instid0(VALU_DEP_1) | instskip(NEXT) | instid1(VALU_DEP_3)
	v_add_co_ci_u32_e64 v94, null, 0, s31, s9
	s_and_b32 vcc_lo, exec_lo, s8
	s_cbranch_vccz .LBB103_75
; %bb.54:                               ;   in Loop: Header=BB103_53 Depth=1
	s_load_b32 s8, s[28:29], 0xc
	v_mov_b32_e32 v95, 0
	v_mov_b32_e32 v59, 0
	s_waitcnt lgkmcnt(0)
	s_and_b32 s8, s8, 0xffff
	s_delay_alu instid0(SALU_CYCLE_1) | instskip(SKIP_1) | instid1(VALU_DEP_1)
	v_mad_u32_u24 v1, v56, s8, v55
	s_mov_b32 s8, exec_lo
	v_and_b32_e32 v1, 31, v1
	s_delay_alu instid0(VALU_DEP_1)
	v_cmpx_gt_u32_e32 8, v1
	s_cbranch_execz .LBB103_58
; %bb.55:                               ;   in Loop: Header=BB103_53 Depth=1
	v_add_co_u32 v1, vcc_lo, v93, v1
	v_add_co_ci_u32_e32 v4, vcc_lo, 0, v94, vcc_lo
	v_mov_b32_e32 v59, 0
	s_delay_alu instid0(VALU_DEP_3) | instskip(NEXT) | instid1(VALU_DEP_3)
	v_add_co_u32 v3, vcc_lo, 0xffffff81, v1
	v_add_co_ci_u32_e32 v4, vcc_lo, -1, v4, vcc_lo
	v_mov_b32_e32 v95, 0
	s_mov_b32 s9, exec_lo
	s_delay_alu instid0(VALU_DEP_2)
	v_cmpx_gt_i64_e64 s[4:5], v[3:4]
	s_cbranch_execz .LBB103_57
; %bb.56:                               ;   in Loop: Header=BB103_53 Depth=1
	v_lshlrev_b64 v[3:4], 2, v[3:4]
	s_delay_alu instid0(VALU_DEP_1) | instskip(NEXT) | instid1(VALU_DEP_2)
	v_add_co_u32 v5, vcc_lo, s24, v3
	v_add_co_ci_u32_e32 v6, vcc_lo, s25, v4, vcc_lo
	v_add_co_u32 v3, vcc_lo, s26, v3
	v_add_co_ci_u32_e32 v4, vcc_lo, s27, v4, vcc_lo
	global_load_b32 v59, v[5:6], off
	global_load_b32 v95, v[3:4], off
.LBB103_57:                             ;   in Loop: Header=BB103_53 Depth=1
	s_or_b32 exec_lo, exec_lo, s9
.LBB103_58:                             ;   in Loop: Header=BB103_53 Depth=1
	s_delay_alu instid0(SALU_CYCLE_1)
	s_or_b32 exec_lo, exec_lo, s8
	s_mov_b32 s22, s16
	s_mov_b32 s23, s16
	;; [unrolled: 1-line block ×7, first 2 shown]
	v_dual_mov_b32 v9, s16 :: v_dual_mov_b32 v10, s17
	v_dual_mov_b32 v15, s22 :: v_dual_mov_b32 v16, s23
	;; [unrolled: 1-line block ×4, first 2 shown]
	v_add_co_u32 v3, vcc_lo, 0xffffff81, v93
	s_delay_alu instid0(VALU_DEP_4) | instskip(SKIP_1) | instid1(VALU_DEP_4)
	v_dual_mov_b32 v24, v16 :: v_dual_mov_b32 v23, v15
	v_add_co_ci_u32_e32 v4, vcc_lo, -1, v94, vcc_lo
	v_dual_mov_b32 v22, v14 :: v_dual_mov_b32 v21, v13
	v_dual_mov_b32 v20, v12 :: v_dual_mov_b32 v19, v11
	;; [unrolled: 1-line block ×3, first 2 shown]
	s_mov_b32 s8, exec_lo
	v_cmpx_gt_i64_e64 s[4:5], v[3:4]
	s_cbranch_execz .LBB103_60
; %bb.59:                               ;   in Loop: Header=BB103_53 Depth=1
	v_add_co_u32 v3, vcc_lo, v58, v25
	v_add_co_ci_u32_e32 v4, vcc_lo, v60, v26, vcc_lo
	v_add_co_u32 v5, vcc_lo, v61, v25
	v_add_co_ci_u32_e32 v6, vcc_lo, v62, v26, vcc_lo
	v_mov_b32_e32 v8, v2
	global_load_u16 v1, v[3:4], off
	global_load_u16 v9, v[5:6], off
	v_mov_b32_e32 v3, v2
	v_mov_b32_e32 v4, v2
	;; [unrolled: 1-line block ×6, first 2 shown]
	s_waitcnt vmcnt(1)
	v_lshlrev_b32_e32 v1, 16, v1
	s_waitcnt vmcnt(0)
	v_lshlrev_b32_e32 v9, 16, v9
	v_dual_mov_b32 v11, v2 :: v_dual_mov_b32 v24, v8
	v_dual_mov_b32 v10, v2 :: v_dual_mov_b32 v23, v7
	;; [unrolled: 1-line block ×6, first 2 shown]
	v_mov_b32_e32 v22, v6
	v_mov_b32_e32 v18, v2
.LBB103_60:                             ;   in Loop: Header=BB103_53 Depth=1
	s_or_b32 exec_lo, exec_lo, s8
	v_add_co_u32 v3, vcc_lo, 0xffffff82, v93
	v_add_co_ci_u32_e32 v4, vcc_lo, -1, v94, vcc_lo
	s_mov_b32 s8, exec_lo
	s_delay_alu instid0(VALU_DEP_1)
	v_cmpx_gt_i64_e64 s[4:5], v[3:4]
	s_cbranch_execz .LBB103_62
; %bb.61:                               ;   in Loop: Header=BB103_53 Depth=1
	v_add_co_u32 v3, vcc_lo, v87, v25
	v_add_co_ci_u32_e32 v4, vcc_lo, v88, v26, vcc_lo
	v_add_co_u32 v5, vcc_lo, v89, v25
	v_add_co_ci_u32_e32 v6, vcc_lo, v90, v26, vcc_lo
	global_load_u16 v1, v[3:4], off
	global_load_u16 v3, v[5:6], off
	s_waitcnt vmcnt(1)
	v_lshlrev_b32_e32 v18, 16, v1
	s_waitcnt vmcnt(0)
	v_lshlrev_b32_e32 v10, 16, v3
.LBB103_62:                             ;   in Loop: Header=BB103_53 Depth=1
	s_or_b32 exec_lo, exec_lo, s8
	v_add_co_u32 v3, vcc_lo, 0xffffff83, v93
	v_add_co_ci_u32_e32 v4, vcc_lo, -1, v94, vcc_lo
	s_mov_b32 s8, exec_lo
	s_delay_alu instid0(VALU_DEP_1)
	v_cmpx_gt_i64_e64 s[4:5], v[3:4]
	s_cbranch_execz .LBB103_64
; %bb.63:                               ;   in Loop: Header=BB103_53 Depth=1
	v_add_co_u32 v3, vcc_lo, v83, v25
	v_add_co_ci_u32_e32 v4, vcc_lo, v84, v26, vcc_lo
	v_add_co_u32 v5, vcc_lo, v85, v25
	v_add_co_ci_u32_e32 v6, vcc_lo, v86, v26, vcc_lo
	global_load_u16 v1, v[3:4], off
	global_load_u16 v3, v[5:6], off
	s_waitcnt vmcnt(1)
	v_lshlrev_b32_e32 v19, 16, v1
	s_waitcnt vmcnt(0)
	v_lshlrev_b32_e32 v11, 16, v3
.LBB103_64:                             ;   in Loop: Header=BB103_53 Depth=1
	;; [unrolled: 19-line block ×7, first 2 shown]
	s_or_b32 exec_lo, exec_lo, s8
	s_waitcnt vmcnt(1)
	ds_bpermute_b32 v3, v2, v59
	ds_bpermute_b32 v5, v2, v59 offset:4
	s_waitcnt vmcnt(0)
	ds_bpermute_b32 v1, v2, v95
	ds_bpermute_b32 v4, v2, v95 offset:4
	s_waitcnt lgkmcnt(3)
	v_sub_f32_e32 v3, v9, v3
	s_waitcnt lgkmcnt(2)
	v_sub_f32_e32 v5, v10, v5
	s_delay_alu instid0(VALU_DEP_2) | instskip(NEXT) | instid1(VALU_DEP_2)
	v_mul_f32_e32 v3, v17, v3
	v_mul_f32_e32 v5, v18, v5
	s_waitcnt lgkmcnt(1)
	s_delay_alu instid0(VALU_DEP_2) | instskip(SKIP_2) | instid1(VALU_DEP_2)
	v_fma_f32 v1, v3, v1, v91
	v_add_f32_e32 v3, v92, v17
	s_waitcnt lgkmcnt(0)
	v_fmac_f32_e32 v1, v5, v4
	ds_bpermute_b32 v5, v2, v59 offset:8
	ds_bpermute_b32 v4, v2, v95 offset:8
	v_add_f32_e32 v3, v18, v3
	s_delay_alu instid0(VALU_DEP_1) | instskip(NEXT) | instid1(VALU_DEP_1)
	v_add_f32_e32 v3, v19, v3
	v_add_f32_e32 v3, v20, v3
	s_delay_alu instid0(VALU_DEP_1) | instskip(SKIP_2) | instid1(VALU_DEP_2)
	v_add_f32_e32 v3, v21, v3
	s_waitcnt lgkmcnt(1)
	v_sub_f32_e32 v5, v11, v5
	v_add_f32_e32 v3, v22, v3
	s_delay_alu instid0(VALU_DEP_2) | instskip(NEXT) | instid1(VALU_DEP_2)
	v_mul_f32_e32 v5, v19, v5
	v_add_f32_e32 v3, v23, v3
	s_waitcnt lgkmcnt(0)
	s_delay_alu instid0(VALU_DEP_2) | instskip(SKIP_4) | instid1(VALU_DEP_1)
	v_fmac_f32_e32 v1, v5, v4
	ds_bpermute_b32 v5, v2, v59 offset:12
	ds_bpermute_b32 v4, v2, v95 offset:12
	s_waitcnt lgkmcnt(1)
	v_sub_f32_e32 v5, v12, v5
	v_mul_f32_e32 v5, v20, v5
	s_waitcnt lgkmcnt(0)
	s_delay_alu instid0(VALU_DEP_1) | instskip(SKIP_4) | instid1(VALU_DEP_1)
	v_fmac_f32_e32 v1, v5, v4
	ds_bpermute_b32 v5, v2, v59 offset:16
	ds_bpermute_b32 v4, v2, v95 offset:16
	s_waitcnt lgkmcnt(1)
	v_sub_f32_e32 v5, v13, v5
	v_mul_f32_e32 v5, v21, v5
	s_waitcnt lgkmcnt(0)
	s_delay_alu instid0(VALU_DEP_1) | instskip(SKIP_4) | instid1(VALU_DEP_1)
	;; [unrolled: 8-line block ×3, first 2 shown]
	v_fmac_f32_e32 v1, v5, v4
	ds_bpermute_b32 v5, v2, v59 offset:24
	ds_bpermute_b32 v4, v2, v95 offset:24
	s_waitcnt lgkmcnt(1)
	v_sub_f32_e32 v5, v15, v5
	v_mul_f32_e32 v5, v23, v5
	s_waitcnt lgkmcnt(0)
	s_delay_alu instid0(VALU_DEP_1)
	v_fmac_f32_e32 v1, v5, v4
	ds_bpermute_b32 v5, v2, v59 offset:28
	ds_bpermute_b32 v4, v2, v95 offset:28
	v_add_f32_e32 v59, v24, v3
	s_waitcnt lgkmcnt(1)
	v_sub_f32_e32 v5, v16, v5
	s_delay_alu instid0(VALU_DEP_1) | instskip(SKIP_1) | instid1(VALU_DEP_1)
	v_mul_f32_e32 v5, v24, v5
	s_waitcnt lgkmcnt(0)
	v_fmac_f32_e32 v1, v5, v4
	s_branch .LBB103_81
.LBB103_75:                             ;   in Loop: Header=BB103_53 Depth=1
                                        ; implicit-def: $vgpr59
                                        ; implicit-def: $vgpr1
	s_cbranch_execz .LBB103_81
; %bb.76:                               ;   in Loop: Header=BB103_53 Depth=1
	s_load_b32 s8, s[28:29], 0x0
	v_mov_b32_e32 v5, 0
	s_waitcnt lgkmcnt(0)
	s_cmp_lt_u32 s14, s8
	s_cselect_b32 s8, 12, 18
	s_delay_alu instid0(SALU_CYCLE_1)
	s_add_u32 s8, s28, s8
	s_addc_u32 s9, s29, 0
	global_load_u16 v1, v2, s[8:9]
	s_mov_b32 s8, exec_lo
	s_waitcnt vmcnt(0)
	v_mad_u32_u24 v1, v56, v1, v55
	s_delay_alu instid0(VALU_DEP_1) | instskip(SKIP_1) | instid1(VALU_DEP_2)
	v_and_b32_e32 v3, 31, v1
	v_mov_b32_e32 v1, 0
	v_cmpx_gt_u32_e32 8, v3
	s_cbranch_execz .LBB103_80
; %bb.77:                               ;   in Loop: Header=BB103_53 Depth=1
	v_add_co_u32 v1, vcc_lo, v93, v3
	v_add_co_ci_u32_e32 v4, vcc_lo, 0, v94, vcc_lo
	v_mov_b32_e32 v5, 0
	s_delay_alu instid0(VALU_DEP_3) | instskip(NEXT) | instid1(VALU_DEP_3)
	v_add_co_u32 v3, vcc_lo, 0xffffff81, v1
	v_add_co_ci_u32_e32 v4, vcc_lo, -1, v4, vcc_lo
	v_mov_b32_e32 v1, 0
	s_mov_b32 s9, exec_lo
	s_delay_alu instid0(VALU_DEP_2)
	v_cmpx_gt_i64_e64 s[4:5], v[3:4]
	s_cbranch_execz .LBB103_79
; %bb.78:                               ;   in Loop: Header=BB103_53 Depth=1
	v_lshlrev_b64 v[3:4], 2, v[3:4]
	s_delay_alu instid0(VALU_DEP_1) | instskip(NEXT) | instid1(VALU_DEP_2)
	v_add_co_u32 v5, vcc_lo, s24, v3
	v_add_co_ci_u32_e32 v6, vcc_lo, s25, v4, vcc_lo
	v_add_co_u32 v3, vcc_lo, s26, v3
	v_add_co_ci_u32_e32 v4, vcc_lo, s27, v4, vcc_lo
	global_load_b32 v1, v[5:6], off
	global_load_b32 v5, v[3:4], off
.LBB103_79:                             ;   in Loop: Header=BB103_53 Depth=1
	s_or_b32 exec_lo, exec_lo, s9
.LBB103_80:                             ;   in Loop: Header=BB103_53 Depth=1
	s_delay_alu instid0(SALU_CYCLE_1)
	s_or_b32 exec_lo, exec_lo, s8
	v_add_co_u32 v3, vcc_lo, v58, v25
	v_add_co_ci_u32_e32 v4, vcc_lo, v60, v26, vcc_lo
	s_waitcnt vmcnt(1)
	ds_bpermute_b32 v21, v2, v1
	global_load_u16 v3, v[3:4], off
	s_waitcnt vmcnt(0)
	v_lshlrev_b32_e32 v6, 16, v3
	v_add_co_u32 v3, vcc_lo, v61, v25
	v_add_co_ci_u32_e32 v4, vcc_lo, v62, v26, vcc_lo
	global_load_u16 v3, v[3:4], off
	s_waitcnt vmcnt(0)
	v_lshlrev_b32_e32 v7, 16, v3
	v_add_co_u32 v3, vcc_lo, v27, v25
	v_add_co_ci_u32_e32 v4, vcc_lo, v28, v26, vcc_lo
	s_waitcnt lgkmcnt(0)
	s_delay_alu instid0(VALU_DEP_3)
	v_sub_f32_e32 v7, v7, v21
	global_load_u16 v3, v[3:4], off
	s_waitcnt vmcnt(0)
	v_dual_mul_f32 v7, v7, v6 :: v_dual_lshlrev_b32 v8, 16, v3
	v_add_co_u32 v3, vcc_lo, v41, v25
	v_add_co_ci_u32_e32 v4, vcc_lo, v42, v26, vcc_lo
	global_load_u16 v3, v[3:4], off
	s_waitcnt vmcnt(0)
	v_lshlrev_b32_e32 v9, 16, v3
	v_add_co_u32 v3, vcc_lo, v29, v25
	v_add_co_ci_u32_e32 v4, vcc_lo, v30, v26, vcc_lo
	global_load_u16 v3, v[3:4], off
	s_waitcnt vmcnt(0)
	v_lshlrev_b32_e32 v10, 16, v3
	;; [unrolled: 5-line block ×12, first 2 shown]
	v_add_co_u32 v3, vcc_lo, v53, v25
	v_add_co_ci_u32_e32 v4, vcc_lo, v54, v26, vcc_lo
	global_load_u16 v3, v[3:4], off
	ds_bpermute_b32 v4, v2, v5
	s_waitcnt lgkmcnt(0)
	v_fmac_f32_e32 v91, v7, v4
	ds_bpermute_b32 v7, v2, v1 offset:4
	v_add_f32_e32 v4, v92, v6
	ds_bpermute_b32 v6, v2, v5 offset:4
	v_add_f32_e32 v4, v4, v8
	s_waitcnt lgkmcnt(1)
	s_delay_alu instid0(VALU_DEP_1) | instskip(NEXT) | instid1(VALU_DEP_1)
	v_dual_add_f32 v4, v4, v10 :: v_dual_sub_f32 v7, v9, v7
	v_mul_f32_e32 v7, v7, v8
	s_waitcnt lgkmcnt(0)
	s_delay_alu instid0(VALU_DEP_1) | instskip(SKIP_4) | instid1(VALU_DEP_1)
	v_dual_add_f32 v4, v4, v12 :: v_dual_fmac_f32 v91, v7, v6
	ds_bpermute_b32 v7, v2, v1 offset:8
	ds_bpermute_b32 v6, v2, v5 offset:8
	s_waitcnt lgkmcnt(1)
	v_dual_add_f32 v4, v4, v14 :: v_dual_sub_f32 v7, v11, v7
	v_dual_mul_f32 v7, v7, v10 :: v_dual_add_f32 v4, v4, v16
	s_waitcnt lgkmcnt(0)
	s_delay_alu instid0(VALU_DEP_1) | instskip(SKIP_4) | instid1(VALU_DEP_1)
	v_fmac_f32_e32 v91, v7, v6
	ds_bpermute_b32 v7, v2, v1 offset:12
	ds_bpermute_b32 v6, v2, v5 offset:12
	s_waitcnt lgkmcnt(1)
	v_dual_add_f32 v4, v4, v18 :: v_dual_sub_f32 v7, v13, v7
	v_mul_f32_e32 v7, v7, v12
	s_delay_alu instid0(VALU_DEP_2) | instskip(SKIP_1) | instid1(VALU_DEP_2)
	v_add_f32_e32 v59, v4, v20
	s_waitcnt lgkmcnt(0)
	v_fmac_f32_e32 v91, v7, v6
	ds_bpermute_b32 v7, v2, v1 offset:16
	ds_bpermute_b32 v6, v2, v5 offset:16
	s_waitcnt lgkmcnt(1)
	v_sub_f32_e32 v7, v15, v7
	s_delay_alu instid0(VALU_DEP_1) | instskip(SKIP_1) | instid1(VALU_DEP_1)
	v_mul_f32_e32 v7, v7, v14
	s_waitcnt lgkmcnt(0)
	v_fmac_f32_e32 v91, v7, v6
	ds_bpermute_b32 v7, v2, v1 offset:20
	ds_bpermute_b32 v6, v2, v5 offset:20
	s_waitcnt lgkmcnt(1)
	v_sub_f32_e32 v7, v17, v7
	s_delay_alu instid0(VALU_DEP_1) | instskip(SKIP_1) | instid1(VALU_DEP_1)
	v_mul_f32_e32 v7, v7, v16
	s_waitcnt lgkmcnt(0)
	v_fmac_f32_e32 v91, v7, v6
	ds_bpermute_b32 v7, v2, v1 offset:24
	ds_bpermute_b32 v1, v2, v1 offset:28
	;; [unrolled: 1-line block ×4, first 2 shown]
	s_waitcnt lgkmcnt(3)
	v_sub_f32_e32 v7, v19, v7
	s_delay_alu instid0(VALU_DEP_1) | instskip(SKIP_1) | instid1(VALU_DEP_1)
	v_mul_f32_e32 v7, v7, v18
	s_waitcnt lgkmcnt(1)
	v_fmac_f32_e32 v91, v7, v6
	s_waitcnt vmcnt(0)
	v_lshlrev_b32_e32 v3, 16, v3
	s_delay_alu instid0(VALU_DEP_1) | instskip(NEXT) | instid1(VALU_DEP_1)
	v_sub_f32_e32 v1, v3, v1
	v_mul_f32_e32 v1, v1, v20
	s_waitcnt lgkmcnt(0)
	s_delay_alu instid0(VALU_DEP_1) | instskip(NEXT) | instid1(VALU_DEP_1)
	v_fmac_f32_e32 v91, v1, v5
	v_mov_b32_e32 v1, v91
.LBB103_81:                             ;   in Loop: Header=BB103_53 Depth=1
	v_add_co_u32 v27, vcc_lo, v27, s2
	v_add_co_ci_u32_e32 v28, vcc_lo, s3, v28, vcc_lo
	v_add_co_u32 v29, vcc_lo, v29, s2
	v_add_co_ci_u32_e32 v30, vcc_lo, s3, v30, vcc_lo
	;; [unrolled: 2-line block ×27, first 2 shown]
	v_add_co_u32 v85, vcc_lo, v85, s2
	s_add_u32 s12, s12, s15
	v_add_co_ci_u32_e32 v86, vcc_lo, s3, v86, vcc_lo
	s_addc_u32 s13, s13, 0
	v_add_co_u32 v87, vcc_lo, v87, s2
	v_cmp_ge_i64_e64 s8, s[12:13], s[4:5]
	v_add_co_ci_u32_e32 v88, vcc_lo, s3, v88, vcc_lo
	v_add_co_u32 v89, vcc_lo, v89, s2
	v_add_co_ci_u32_e32 v90, vcc_lo, s3, v90, vcc_lo
	s_add_u32 s30, s30, s15
	s_addc_u32 s31, s31, 0
	s_and_b32 vcc_lo, exec_lo, s8
	s_cbranch_vccnz .LBB103_83
; %bb.82:                               ;   in Loop: Header=BB103_53 Depth=1
	v_dual_mov_b32 v92, v59 :: v_dual_mov_b32 v91, v1
	s_branch .LBB103_53
.LBB103_83:
	v_and_b32_e32 v2, 0x3ff, v0
	v_bfe_u32 v0, v0, 10, 10
	s_mov_b32 s15, 0
	s_mov_b32 s2, exec_lo
	s_delay_alu instid0(VALU_DEP_1) | instskip(NEXT) | instid1(VALU_DEP_1)
	v_mad_u32_u24 v3, 0x41, v0, v2
	v_sub_nc_u32_e32 v0, v3, v0
	v_lshl_add_u32 v3, v3, 2, 0
	ds_store_b32 v3, v1
	ds_store_b32 v3, v59 offset:4160
	s_waitcnt lgkmcnt(0)
	s_barrier
	buffer_gl0_inv
	v_cmpx_gt_u32_e32 0x800, v0
	s_cbranch_execz .LBB103_93
; %bb.84:
	v_mbcnt_lo_u32_b32 v1, -1, 0
	v_lshrrev_b32_e32 v4, 5, v0
	s_load_b128 s[8:11], s[0:1], 0x30
	v_cmp_eq_u32_e64 s0, 0, v2
	s_lshl_b64 s[4:5], s[14:15], 6
	v_xor_b32_e32 v0, 8, v1
	v_xor_b32_e32 v5, 2, v1
	;; [unrolled: 1-line block ×3, first 2 shown]
                                        ; implicit-def: $vgpr12
	v_mov_b32_e32 v9, 0
	s_delay_alu instid0(VALU_DEP_4) | instskip(SKIP_3) | instid1(VALU_DEP_3)
	v_cmp_gt_i32_e32 vcc_lo, 32, v0
	v_and_b32_e32 v3, 31, v2
	v_xor_b32_e32 v2, 4, v1
	v_cndmask_b32_e32 v0, v1, v0, vcc_lo
	v_mad_u32_u24 v11, 0x41, v3, v4
	s_delay_alu instid0(VALU_DEP_3)
	v_cmp_gt_i32_e32 vcc_lo, 32, v2
	v_cmp_gt_u32_e64 s1, 16, v3
	v_cndmask_b32_e32 v2, v1, v2, vcc_lo
	v_cmp_gt_i32_e32 vcc_lo, 32, v5
	s_waitcnt lgkmcnt(0)
	s_cmp_lg_u64 s[8:9], 0
	s_cselect_b32 s3, -1, 0
	s_cmp_lg_u64 s[10:11], 0
	v_cndmask_b32_e32 v7, v1, v5, vcc_lo
	v_cmp_gt_i32_e32 vcc_lo, 32, v6
	v_lshlrev_b32_e32 v5, 2, v0
	v_lshlrev_b32_e32 v0, 1, v4
	s_cselect_b32 s12, -1, 0
	s_lshl_b64 s[16:17], s[14:15], 7
	v_cndmask_b32_e32 v1, v1, v6, vcc_lo
	v_lshlrev_b32_e32 v6, 2, v2
	v_add_co_u32 v2, s2, s16, v0
	s_delay_alu instid0(VALU_DEP_1) | instskip(NEXT) | instid1(VALU_DEP_4)
	v_add_co_ci_u32_e64 v10, null, s17, 0, s2
	v_lshlrev_b32_e32 v8, 2, v1
	s_delay_alu instid0(VALU_DEP_3) | instskip(NEXT) | instid1(VALU_DEP_3)
	v_add_co_u32 v0, vcc_lo, s10, v2
	v_add_co_ci_u32_e32 v1, vcc_lo, s11, v10, vcc_lo
	v_add_co_u32 v2, vcc_lo, s8, v2
	v_lshlrev_b32_e32 v7, 2, v7
	v_add_co_ci_u32_e32 v3, vcc_lo, s9, v10, vcc_lo
	v_lshl_add_u32 v10, v11, 2, 0
                                        ; implicit-def: $vgpr11
	s_branch .LBB103_86
.LBB103_85:                             ;   in Loop: Header=BB103_86 Depth=1
	s_or_b32 exec_lo, exec_lo, s2
	v_add_co_u32 v4, vcc_lo, v4, 32
	v_add_co_ci_u32_e32 v9, vcc_lo, 0, v9, vcc_lo
	v_add_co_u32 v0, vcc_lo, v0, 64
	s_delay_alu instid0(VALU_DEP_3) | instskip(SKIP_2) | instid1(VALU_DEP_3)
	v_subrev_nc_u32_e32 v13, 32, v4
	v_add_co_ci_u32_e32 v1, vcc_lo, 0, v1, vcc_lo
	v_add_co_u32 v2, s2, v2, 64
	v_cmp_lt_u32_e32 vcc_lo, 31, v13
	v_add_co_ci_u32_e64 v3, s2, 0, v3, s2
	v_add_nc_u32_e32 v10, 0x80, v10
	s_or_b32 s15, vcc_lo, s15
	s_delay_alu instid0(SALU_CYCLE_1)
	s_and_not1_b32 exec_lo, exec_lo, s15
	s_cbranch_execz .LBB103_93
.LBB103_86:                             ; =>This Inner Loop Header: Depth=1
	s_and_saveexec_b32 s2, s1
	s_cbranch_execz .LBB103_88
; %bb.87:                               ;   in Loop: Header=BB103_86 Depth=1
	ds_load_b32 v11, v10
	ds_load_b32 v12, v10 offset:4160
.LBB103_88:                             ;   in Loop: Header=BB103_86 Depth=1
	s_or_b32 exec_lo, exec_lo, s2
	s_waitcnt lgkmcnt(1)
	ds_bpermute_b32 v13, v5, v11
	s_waitcnt lgkmcnt(1)
	ds_bpermute_b32 v14, v5, v12
	s_waitcnt lgkmcnt(0)
	v_dual_add_f32 v11, v11, v13 :: v_dual_add_f32 v12, v12, v14
	ds_bpermute_b32 v13, v6, v11
	ds_bpermute_b32 v14, v6, v12
	s_waitcnt lgkmcnt(0)
	v_dual_add_f32 v11, v11, v13 :: v_dual_add_f32 v12, v12, v14
	ds_bpermute_b32 v13, v7, v11
	ds_bpermute_b32 v14, v7, v12
	s_waitcnt lgkmcnt(0)
	v_dual_add_f32 v13, v11, v13 :: v_dual_add_f32 v14, v12, v14
	v_add_co_u32 v11, vcc_lo, s4, v4
	v_add_co_ci_u32_e32 v12, vcc_lo, s5, v9, vcc_lo
	ds_bpermute_b32 v15, v8, v13
	ds_bpermute_b32 v16, v8, v14
	v_cmp_gt_i64_e32 vcc_lo, s[6:7], v[11:12]
	s_and_b32 s8, s0, vcc_lo
	s_waitcnt lgkmcnt(0)
	v_dual_add_f32 v11, v13, v15 :: v_dual_add_f32 v12, v14, v16
	s_and_saveexec_b32 s2, s8
	s_cbranch_execz .LBB103_85
; %bb.89:                               ;   in Loop: Header=BB103_86 Depth=1
	s_and_not1_b32 vcc_lo, exec_lo, s3
	s_cbranch_vccnz .LBB103_91
; %bb.90:                               ;   in Loop: Header=BB103_86 Depth=1
	v_bfe_u32 v13, v11, 16, 1
	v_cmp_o_f32_e32 vcc_lo, v11, v11
	s_delay_alu instid0(VALU_DEP_2) | instskip(NEXT) | instid1(VALU_DEP_1)
	v_add3_u32 v13, v11, v13, 0x7fff
	v_lshrrev_b32_e32 v13, 16, v13
	s_delay_alu instid0(VALU_DEP_1)
	v_cndmask_b32_e32 v13, 0x7fc0, v13, vcc_lo
	global_store_b16 v[2:3], v13, off
.LBB103_91:                             ;   in Loop: Header=BB103_86 Depth=1
	s_and_not1_b32 vcc_lo, exec_lo, s12
	s_cbranch_vccnz .LBB103_85
; %bb.92:                               ;   in Loop: Header=BB103_86 Depth=1
	v_bfe_u32 v13, v12, 16, 1
	v_cmp_o_f32_e32 vcc_lo, v12, v12
	s_delay_alu instid0(VALU_DEP_2) | instskip(NEXT) | instid1(VALU_DEP_1)
	v_add3_u32 v13, v12, v13, 0x7fff
	v_lshrrev_b32_e32 v13, 16, v13
	s_delay_alu instid0(VALU_DEP_1)
	v_cndmask_b32_e32 v13, 0x7fc0, v13, vcc_lo
	global_store_b16 v[0:1], v13, off
	s_branch .LBB103_85
.LBB103_93:
	s_nop 0
	s_sendmsg sendmsg(MSG_DEALLOC_VGPRS)
	s_endpgm
	.section	.rodata,"a",@progbits
	.p2align	6, 0x0
	.amdhsa_kernel _ZN2at6native12_GLOBAL__N_135GammaBetaBackwardCUDAKernelTemplateIN3c108BFloat16EfLj64ELj16ELj128ELb0ELb0ELb0EEEvllPKT_S7_PKT0_SA_PS5_SB_
		.amdhsa_group_segment_fixed_size 0
		.amdhsa_private_segment_fixed_size 0
		.amdhsa_kernarg_size 320
		.amdhsa_user_sgpr_count 14
		.amdhsa_user_sgpr_dispatch_ptr 0
		.amdhsa_user_sgpr_queue_ptr 0
		.amdhsa_user_sgpr_kernarg_segment_ptr 1
		.amdhsa_user_sgpr_dispatch_id 0
		.amdhsa_user_sgpr_private_segment_size 0
		.amdhsa_wavefront_size32 1
		.amdhsa_uses_dynamic_stack 0
		.amdhsa_enable_private_segment 0
		.amdhsa_system_sgpr_workgroup_id_x 1
		.amdhsa_system_sgpr_workgroup_id_y 1
		.amdhsa_system_sgpr_workgroup_id_z 0
		.amdhsa_system_sgpr_workgroup_info 0
		.amdhsa_system_vgpr_workitem_id 1
		.amdhsa_next_free_vgpr 96
		.amdhsa_next_free_sgpr 40
		.amdhsa_reserve_vcc 1
		.amdhsa_float_round_mode_32 0
		.amdhsa_float_round_mode_16_64 0
		.amdhsa_float_denorm_mode_32 3
		.amdhsa_float_denorm_mode_16_64 3
		.amdhsa_dx10_clamp 1
		.amdhsa_ieee_mode 1
		.amdhsa_fp16_overflow 0
		.amdhsa_workgroup_processor_mode 1
		.amdhsa_memory_ordered 1
		.amdhsa_forward_progress 0
		.amdhsa_shared_vgpr_count 0
		.amdhsa_exception_fp_ieee_invalid_op 0
		.amdhsa_exception_fp_denorm_src 0
		.amdhsa_exception_fp_ieee_div_zero 0
		.amdhsa_exception_fp_ieee_overflow 0
		.amdhsa_exception_fp_ieee_underflow 0
		.amdhsa_exception_fp_ieee_inexact 0
		.amdhsa_exception_int_div_zero 0
	.end_amdhsa_kernel
	.section	.text._ZN2at6native12_GLOBAL__N_135GammaBetaBackwardCUDAKernelTemplateIN3c108BFloat16EfLj64ELj16ELj128ELb0ELb0ELb0EEEvllPKT_S7_PKT0_SA_PS5_SB_,"axG",@progbits,_ZN2at6native12_GLOBAL__N_135GammaBetaBackwardCUDAKernelTemplateIN3c108BFloat16EfLj64ELj16ELj128ELb0ELb0ELb0EEEvllPKT_S7_PKT0_SA_PS5_SB_,comdat
.Lfunc_end103:
	.size	_ZN2at6native12_GLOBAL__N_135GammaBetaBackwardCUDAKernelTemplateIN3c108BFloat16EfLj64ELj16ELj128ELb0ELb0ELb0EEEvllPKT_S7_PKT0_SA_PS5_SB_, .Lfunc_end103-_ZN2at6native12_GLOBAL__N_135GammaBetaBackwardCUDAKernelTemplateIN3c108BFloat16EfLj64ELj16ELj128ELb0ELb0ELb0EEEvllPKT_S7_PKT0_SA_PS5_SB_
                                        ; -- End function
	.section	.AMDGPU.csdata,"",@progbits
; Kernel info:
; codeLenInByte = 8808
; NumSgprs: 42
; NumVgprs: 96
; ScratchSize: 0
; MemoryBound: 0
; FloatMode: 240
; IeeeMode: 1
; LDSByteSize: 0 bytes/workgroup (compile time only)
; SGPRBlocks: 5
; VGPRBlocks: 11
; NumSGPRsForWavesPerEU: 42
; NumVGPRsForWavesPerEU: 96
; Occupancy: 16
; WaveLimiterHint : 0
; COMPUTE_PGM_RSRC2:SCRATCH_EN: 0
; COMPUTE_PGM_RSRC2:USER_SGPR: 14
; COMPUTE_PGM_RSRC2:TRAP_HANDLER: 0
; COMPUTE_PGM_RSRC2:TGID_X_EN: 1
; COMPUTE_PGM_RSRC2:TGID_Y_EN: 1
; COMPUTE_PGM_RSRC2:TGID_Z_EN: 0
; COMPUTE_PGM_RSRC2:TIDIG_COMP_CNT: 1
	.section	.text._ZN2at6native12_GLOBAL__N_135GammaBetaBackwardCUDAKernelTemplateIN3c108BFloat16EfLj64ELj16ELj256ELb0ELb1ELb0EEEvllPKT_S7_PKT0_SA_PS5_SB_,"axG",@progbits,_ZN2at6native12_GLOBAL__N_135GammaBetaBackwardCUDAKernelTemplateIN3c108BFloat16EfLj64ELj16ELj256ELb0ELb1ELb0EEEvllPKT_S7_PKT0_SA_PS5_SB_,comdat
	.globl	_ZN2at6native12_GLOBAL__N_135GammaBetaBackwardCUDAKernelTemplateIN3c108BFloat16EfLj64ELj16ELj256ELb0ELb1ELb0EEEvllPKT_S7_PKT0_SA_PS5_SB_ ; -- Begin function _ZN2at6native12_GLOBAL__N_135GammaBetaBackwardCUDAKernelTemplateIN3c108BFloat16EfLj64ELj16ELj256ELb0ELb1ELb0EEEvllPKT_S7_PKT0_SA_PS5_SB_
	.p2align	8
	.type	_ZN2at6native12_GLOBAL__N_135GammaBetaBackwardCUDAKernelTemplateIN3c108BFloat16EfLj64ELj16ELj256ELb0ELb1ELb0EEEvllPKT_S7_PKT0_SA_PS5_SB_,@function
_ZN2at6native12_GLOBAL__N_135GammaBetaBackwardCUDAKernelTemplateIN3c108BFloat16EfLj64ELj16ELj256ELb0ELb1ELb0EEEvllPKT_S7_PKT0_SA_PS5_SB_: ; @_ZN2at6native12_GLOBAL__N_135GammaBetaBackwardCUDAKernelTemplateIN3c108BFloat16EfLj64ELj16ELj256ELb0ELb1ELb0EEEvllPKT_S7_PKT0_SA_PS5_SB_
; %bb.0:
	s_load_b128 s[20:23], s[0:1], 0x0
	s_mov_b32 s3, 0
	s_lshl_b32 s2, s15, 8
	v_bfe_u32 v7, v0, 10, 10
	s_waitcnt lgkmcnt(0)
	v_cmp_lt_i64_e64 s4, s[2:3], s[20:21]
	s_delay_alu instid0(VALU_DEP_1)
	s_and_b32 vcc_lo, exec_lo, s4
	s_cbranch_vccnz .LBB104_2
; %bb.1:
	v_bfe_u32 v1, v0, 10, 10
	s_mov_b32 s5, 0
	s_mov_b32 s4, s3
	s_branch .LBB104_3
.LBB104_2:
	s_mov_b32 s4, -1
                                        ; implicit-def: $sgpr5
                                        ; implicit-def: $vgpr1
.LBB104_3:
	s_load_b128 s[16:19], s[0:1], 0x30
	v_dual_mov_b32 v20, s5 :: v_dual_mov_b32 v25, s5
	v_and_b32_e32 v6, 0x3ff, v0
	s_and_not1_b32 vcc_lo, exec_lo, s4
	s_cbranch_vccnz .LBB104_11
; %bb.4:
	s_clause 0x2
	s_load_b32 s12, s[0:1], 0x4c
	s_load_b32 s15, s[0:1], 0x44
	s_load_b256 s[4:11], s[0:1], 0x10
	v_dual_mov_b32 v1, 0 :: v_dual_lshlrev_b32 v2, 4, v7
	v_lshl_add_u32 v0, s14, 6, v6
	v_dual_mov_b32 v8, 16 :: v_dual_mov_b32 v9, 4
	s_delay_alu instid0(VALU_DEP_3) | instskip(NEXT) | instid1(VALU_DEP_1)
	v_add_co_u32 v2, s0, v2, s2
	v_add_co_ci_u32_e64 v3, null, 0, 0, s0
	s_delay_alu instid0(VALU_DEP_4) | instskip(NEXT) | instid1(VALU_DEP_3)
	v_lshlrev_b64 v[26:27], 1, v[0:1]
	v_mul_lo_u32 v20, s23, v2
	v_mad_u64_u32 v[4:5], null, s22, v2, 0
	s_delay_alu instid0(VALU_DEP_4)
	v_mul_lo_u32 v23, s22, v3
	v_dual_mov_b32 v10, 8 :: v_dual_mov_b32 v11, 12
	v_dual_mov_b32 v12, 20 :: v_dual_mov_b32 v13, 24
	s_waitcnt lgkmcnt(0)
	s_and_b32 s0, s12, 0xffff
	s_lshl_b32 s12, s15, 8
	v_mad_u32_u24 v18, v7, s0, v6
	s_delay_alu instid0(VALU_DEP_4) | instskip(SKIP_2) | instid1(VALU_DEP_2)
	v_add3_u32 v5, v5, v23, v20
	s_mul_i32 s1, s23, s12
	s_mul_hi_u32 s15, s22, s12
	v_dual_mov_b32 v19, 48 :: v_dual_and_b32 v24, 31, v18
	v_dual_mov_b32 v14, 28 :: v_dual_mov_b32 v15, 32
	v_dual_mov_b32 v16, 36 :: v_dual_mov_b32 v17, 40
	s_delay_alu instid0(VALU_DEP_3)
	v_cmp_gt_u32_e64 s0, 16, v24
	v_add_co_u32 v2, vcc_lo, v2, v24
	v_lshlrev_b64 v[24:25], 1, v[4:5]
	v_add_co_ci_u32_e32 v3, vcc_lo, 0, v3, vcc_lo
	v_dual_mov_b32 v18, 44 :: v_dual_mov_b32 v21, 52
	v_dual_mov_b32 v22, 56 :: v_dual_mov_b32 v23, 60
	s_delay_alu instid0(VALU_DEP_4) | instskip(NEXT) | instid1(VALU_DEP_4)
	v_add_co_u32 v0, vcc_lo, v24, v26
	v_lshlrev_b64 v[4:5], 2, v[2:3]
	v_add_co_ci_u32_e32 v24, vcc_lo, v25, v27, vcc_lo
	v_dual_mov_b32 v25, 0 :: v_dual_mov_b32 v20, 0
	s_mov_b32 s13, 0
	s_add_i32 s27, s15, s1
	s_mul_i32 s26, s22, s12
	s_lshl_b64 s[24:25], s[12:13], 2
	s_lshl_b64 s[26:27], s[26:27], 1
	;; [unrolled: 1-line block ×3, first 2 shown]
	s_branch .LBB104_7
.LBB104_5:                              ;   in Loop: Header=BB104_7 Depth=1
	s_or_b32 exec_lo, exec_lo, s13
.LBB104_6:                              ;   in Loop: Header=BB104_7 Depth=1
	s_delay_alu instid0(SALU_CYCLE_1)
	s_or_b32 exec_lo, exec_lo, s1
	v_add_co_u32 v28, vcc_lo, s4, v0
	v_add_co_ci_u32_e32 v29, vcc_lo, s5, v24, vcc_lo
	v_add_co_u32 v30, vcc_lo, s6, v0
	v_add_co_ci_u32_e32 v31, vcc_lo, s7, v24, vcc_lo
	global_load_u16 v38, v[28:29], off
	v_add_co_u32 v28, vcc_lo, v28, s22
	v_add_co_ci_u32_e32 v29, vcc_lo, s23, v29, vcc_lo
	v_add_co_u32 v32, vcc_lo, v30, s22
	v_add_co_ci_u32_e32 v33, vcc_lo, s23, v31, vcc_lo
	s_delay_alu instid0(VALU_DEP_4) | instskip(NEXT) | instid1(VALU_DEP_4)
	v_add_co_u32 v34, vcc_lo, v28, s22
	v_add_co_ci_u32_e32 v35, vcc_lo, s23, v29, vcc_lo
	s_delay_alu instid0(VALU_DEP_4) | instskip(NEXT) | instid1(VALU_DEP_4)
	v_add_co_u32 v36, vcc_lo, v32, s22
	v_add_co_ci_u32_e32 v37, vcc_lo, s23, v33, vcc_lo
	global_load_u16 v39, v[30:31], off
	global_load_u16 v40, v[28:29], off
	global_load_u16 v41, v[32:33], off
	global_load_u16 v42, v[34:35], off
	global_load_u16 v43, v[36:37], off
	v_add_co_u32 v28, vcc_lo, v34, s22
	v_add_co_ci_u32_e32 v29, vcc_lo, s23, v35, vcc_lo
	v_add_co_u32 v30, vcc_lo, v36, s22
	v_add_co_ci_u32_e32 v31, vcc_lo, s23, v37, vcc_lo
	s_delay_alu instid0(VALU_DEP_4) | instskip(NEXT) | instid1(VALU_DEP_4)
	v_add_co_u32 v32, vcc_lo, v28, s22
	v_add_co_ci_u32_e32 v33, vcc_lo, s23, v29, vcc_lo
	s_delay_alu instid0(VALU_DEP_4) | instskip(NEXT) | instid1(VALU_DEP_4)
	v_add_co_u32 v34, vcc_lo, v30, s22
	v_add_co_ci_u32_e32 v35, vcc_lo, s23, v31, vcc_lo
	s_delay_alu instid0(VALU_DEP_4) | instskip(NEXT) | instid1(VALU_DEP_4)
	v_add_co_u32 v36, vcc_lo, v32, s22
	v_add_co_ci_u32_e32 v37, vcc_lo, s23, v33, vcc_lo
	global_load_u16 v44, v[28:29], off
	global_load_u16 v45, v[30:31], off
	global_load_u16 v46, v[32:33], off
	global_load_u16 v47, v[34:35], off
	global_load_u16 v48, v[36:37], off
	v_add_co_u32 v28, vcc_lo, v34, s22
	v_add_co_ci_u32_e32 v29, vcc_lo, s23, v35, vcc_lo
	v_add_co_u32 v30, vcc_lo, v36, s22
	v_add_co_ci_u32_e32 v31, vcc_lo, s23, v37, vcc_lo
	s_delay_alu instid0(VALU_DEP_4) | instskip(NEXT) | instid1(VALU_DEP_4)
	;; [unrolled: 18-line block ×5, first 2 shown]
	v_add_co_u32 v32, vcc_lo, v28, s22
	v_add_co_ci_u32_e32 v33, vcc_lo, s23, v29, vcc_lo
	s_delay_alu instid0(VALU_DEP_4) | instskip(NEXT) | instid1(VALU_DEP_4)
	v_add_co_u32 v34, vcc_lo, v30, s22
	v_add_co_ci_u32_e32 v35, vcc_lo, s23, v31, vcc_lo
	global_load_u16 v36, v[28:29], off
	global_load_u16 v37, v[30:31], off
	;; [unrolled: 1-line block ×4, first 2 shown]
	v_add_co_u32 v28, vcc_lo, v34, s22
	v_add_co_ci_u32_e32 v29, vcc_lo, s23, v35, vcc_lo
	v_add_co_u32 v30, vcc_lo, v32, s22
	v_add_co_ci_u32_e32 v31, vcc_lo, s23, v33, vcc_lo
	global_load_u16 v28, v[28:29], off
	global_load_u16 v29, v[30:31], off
	s_waitcnt vmcnt(33)
	ds_bpermute_b32 v31, v1, v26
	s_waitcnt vmcnt(32)
	ds_bpermute_b32 v30, v1, v27
	ds_bpermute_b32 v33, v9, v26
	;; [unrolled: 1-line block ×31, first 2 shown]
	v_add_co_u32 v4, vcc_lo, v4, s24
	s_add_u32 s2, s2, s12
	v_add_co_ci_u32_e32 v5, vcc_lo, s25, v5, vcc_lo
	s_addc_u32 s3, s3, 0
	v_add_co_u32 v2, vcc_lo, v2, s12
	v_add_co_ci_u32_e32 v3, vcc_lo, 0, v3, vcc_lo
	v_cmp_lt_i64_e64 s1, s[2:3], s[20:21]
	v_add_co_u32 v0, vcc_lo, v0, s26
	v_add_co_ci_u32_e32 v24, vcc_lo, s27, v24, vcc_lo
	s_delay_alu instid0(VALU_DEP_3) | instskip(SKIP_3) | instid1(VALU_DEP_1)
	s_and_b32 vcc_lo, exec_lo, s1
	s_waitcnt vmcnt(30)
	v_lshlrev_b32_e32 v39, 16, v39
	s_waitcnt lgkmcnt(31)
	v_dual_sub_f32 v31, v39, v31 :: v_dual_lshlrev_b32 v38, 16, v38
	s_delay_alu instid0(VALU_DEP_1) | instskip(NEXT) | instid1(VALU_DEP_2)
	v_add_f32_e32 v25, v25, v38
	v_mul_f32_e32 v31, v31, v38
	s_waitcnt vmcnt(27)
	v_lshlrev_b32_e32 v38, 16, v42
	v_lshlrev_b32_e32 v39, 16, v40
	;; [unrolled: 1-line block ×3, first 2 shown]
	s_waitcnt vmcnt(26)
	v_lshlrev_b32_e32 v40, 16, v43
	s_waitcnt lgkmcnt(29)
	s_delay_alu instid0(VALU_DEP_2) | instskip(SKIP_1) | instid1(VALU_DEP_2)
	v_dual_fmac_f32 v20, v31, v30 :: v_dual_sub_f32 v33, v41, v33
	s_waitcnt lgkmcnt(28)
	v_sub_f32_e32 v31, v40, v35
	s_delay_alu instid0(VALU_DEP_2) | instskip(SKIP_1) | instid1(VALU_DEP_1)
	v_mul_f32_e32 v30, v33, v39
	s_waitcnt lgkmcnt(27)
	v_fmac_f32_e32 v20, v30, v32
	s_waitcnt vmcnt(24)
	v_dual_mul_f32 v30, v31, v38 :: v_dual_lshlrev_b32 v33, 16, v45
	s_waitcnt vmcnt(22)
	v_lshlrev_b32_e32 v32, 16, v47
	s_waitcnt lgkmcnt(26)
	s_delay_alu instid0(VALU_DEP_2) | instskip(SKIP_3) | instid1(VALU_DEP_1)
	v_dual_add_f32 v25, v25, v39 :: v_dual_fmac_f32 v20, v30, v34
	v_lshlrev_b32_e32 v35, 16, v44
	s_waitcnt vmcnt(21) lgkmcnt(25)
	v_dual_sub_f32 v31, v33, v67 :: v_dual_lshlrev_b32 v34, 16, v48
	v_dual_mul_f32 v30, v31, v35 :: v_dual_lshlrev_b32 v33, 16, v46
	s_waitcnt lgkmcnt(24)
	v_sub_f32_e32 v31, v32, v69
	s_waitcnt vmcnt(20)
	v_dual_add_f32 v25, v25, v38 :: v_dual_lshlrev_b32 v32, 16, v49
	s_waitcnt lgkmcnt(23)
	v_fmac_f32_e32 v20, v30, v66
	s_waitcnt lgkmcnt(22)
	s_delay_alu instid0(VALU_DEP_2)
	v_dual_mul_f32 v30, v31, v33 :: v_dual_sub_f32 v31, v32, v71
	v_add_f32_e32 v25, v25, v35
	s_waitcnt vmcnt(18)
	v_lshlrev_b32_e32 v32, 16, v51
	s_waitcnt lgkmcnt(21)
	v_fmac_f32_e32 v20, v30, v68
	v_dual_mul_f32 v30, v31, v34 :: v_dual_add_f32 v25, v25, v33
	s_waitcnt lgkmcnt(19)
	v_sub_f32_e32 v31, v32, v73
	s_waitcnt vmcnt(16)
	v_lshlrev_b32_e32 v32, 16, v53
	v_fmac_f32_e32 v20, v30, v70
	v_lshlrev_b32_e32 v33, 16, v50
	v_dual_add_f32 v25, v25, v34 :: v_dual_lshlrev_b32 v34, 16, v52
	s_waitcnt lgkmcnt(18)
	s_delay_alu instid0(VALU_DEP_2) | instskip(SKIP_1) | instid1(VALU_DEP_1)
	v_dual_mul_f32 v30, v31, v33 :: v_dual_sub_f32 v31, v32, v75
	s_waitcnt lgkmcnt(17)
	v_fmac_f32_e32 v20, v30, v72
	s_waitcnt vmcnt(14)
	v_dual_add_f32 v25, v25, v33 :: v_dual_lshlrev_b32 v32, 16, v55
	s_waitcnt lgkmcnt(15)
	s_delay_alu instid0(VALU_DEP_1) | instskip(SKIP_1) | instid1(VALU_DEP_2)
	v_dual_mul_f32 v30, v31, v34 :: v_dual_sub_f32 v31, v32, v77
	s_waitcnt vmcnt(12)
	v_dual_add_f32 v25, v25, v34 :: v_dual_lshlrev_b32 v32, 16, v57
	s_delay_alu instid0(VALU_DEP_2) | instskip(SKIP_3) | instid1(VALU_DEP_2)
	v_fmac_f32_e32 v20, v30, v74
	v_lshlrev_b32_e32 v33, 16, v54
	v_lshlrev_b32_e32 v34, 16, v56
	s_waitcnt lgkmcnt(13)
	v_dual_mul_f32 v30, v31, v33 :: v_dual_sub_f32 v31, v32, v79
	s_delay_alu instid0(VALU_DEP_1) | instskip(SKIP_3) | instid1(VALU_DEP_2)
	v_dual_fmac_f32 v20, v30, v76 :: v_dual_add_f32 v25, v25, v33
	s_waitcnt vmcnt(11)
	v_lshlrev_b32_e32 v33, 16, v58
	s_waitcnt vmcnt(10)
	v_dual_add_f32 v25, v25, v34 :: v_dual_lshlrev_b32 v32, 16, v59
	s_waitcnt lgkmcnt(11)
	s_delay_alu instid0(VALU_DEP_1) | instskip(SKIP_1) | instid1(VALU_DEP_2)
	v_dual_mul_f32 v30, v31, v34 :: v_dual_sub_f32 v31, v32, v81
	s_waitcnt vmcnt(9)
	v_dual_add_f32 v25, v25, v33 :: v_dual_lshlrev_b32 v34, 16, v60
	s_waitcnt vmcnt(8)
	v_lshlrev_b32_e32 v32, 16, v61
	v_fmac_f32_e32 v20, v30, v78
	s_waitcnt vmcnt(7)
	v_dual_mul_f32 v30, v31, v33 :: v_dual_lshlrev_b32 v33, 16, v62
	v_add_f32_e32 v25, v25, v34
	s_waitcnt lgkmcnt(10)
	v_sub_f32_e32 v31, v32, v83
	s_waitcnt vmcnt(6)
	s_delay_alu instid0(VALU_DEP_2) | instskip(SKIP_3) | instid1(VALU_DEP_2)
	v_dual_add_f32 v25, v25, v33 :: v_dual_lshlrev_b32 v32, 16, v63
	s_waitcnt lgkmcnt(9)
	v_fmac_f32_e32 v20, v30, v80
	s_waitcnt lgkmcnt(8)
	v_dual_mul_f32 v30, v31, v34 :: v_dual_sub_f32 v31, v32, v85
	s_waitcnt vmcnt(5)
	v_lshlrev_b32_e32 v34, 16, v36
	s_waitcnt vmcnt(4)
	v_lshlrev_b32_e32 v32, 16, v37
	s_waitcnt vmcnt(0) lgkmcnt(7)
	v_dual_fmac_f32 v20, v30, v82 :: v_dual_lshlrev_b32 v29, 16, v29
	v_dual_mul_f32 v30, v31, v33 :: v_dual_lshlrev_b32 v33, 16, v64
	v_add_f32_e32 v25, v25, v34
	s_waitcnt lgkmcnt(6)
	v_dual_sub_f32 v31, v32, v87 :: v_dual_lshlrev_b32 v32, 16, v65
	s_waitcnt lgkmcnt(5)
	s_delay_alu instid0(VALU_DEP_2) | instskip(SKIP_1) | instid1(VALU_DEP_2)
	v_dual_fmac_f32 v20, v30, v84 :: v_dual_add_f32 v25, v25, v33
	s_waitcnt lgkmcnt(4)
	v_dual_mul_f32 v30, v31, v34 :: v_dual_sub_f32 v31, v32, v89
	s_delay_alu instid0(VALU_DEP_2) | instskip(SKIP_1) | instid1(VALU_DEP_2)
	v_dual_add_f32 v25, v25, v29 :: v_dual_lshlrev_b32 v28, 16, v28
	s_waitcnt lgkmcnt(3)
	v_fmac_f32_e32 v20, v30, v86
	s_delay_alu instid0(VALU_DEP_3) | instskip(SKIP_3) | instid1(VALU_DEP_2)
	v_mul_f32_e32 v30, v31, v33
	s_waitcnt lgkmcnt(2)
	v_sub_f32_e32 v26, v28, v26
	s_waitcnt lgkmcnt(1)
	v_fmac_f32_e32 v20, v30, v88
	s_delay_alu instid0(VALU_DEP_2) | instskip(SKIP_1) | instid1(VALU_DEP_1)
	v_mul_f32_e32 v26, v26, v29
	s_waitcnt lgkmcnt(0)
	v_fmac_f32_e32 v20, v26, v27
	s_cbranch_vccz .LBB104_10
.LBB104_7:                              ; =>This Inner Loop Header: Depth=1
	v_dual_mov_b32 v27, 0 :: v_dual_mov_b32 v26, 0
	s_and_saveexec_b32 s1, s0
	s_cbranch_execz .LBB104_6
; %bb.8:                                ;   in Loop: Header=BB104_7 Depth=1
	v_dual_mov_b32 v26, 0 :: v_dual_mov_b32 v27, 0
	s_mov_b32 s13, exec_lo
	v_cmpx_gt_i64_e64 s[20:21], v[2:3]
	s_cbranch_execz .LBB104_5
; %bb.9:                                ;   in Loop: Header=BB104_7 Depth=1
	v_add_co_u32 v26, vcc_lo, s8, v4
	v_add_co_ci_u32_e32 v27, vcc_lo, s9, v5, vcc_lo
	v_add_co_u32 v28, vcc_lo, s10, v4
	v_add_co_ci_u32_e32 v29, vcc_lo, s11, v5, vcc_lo
	global_load_b32 v26, v[26:27], off
	global_load_b32 v27, v[28:29], off
	s_branch .LBB104_5
.LBB104_10:
	v_mov_b32_e32 v1, v7
.LBB104_11:
	s_delay_alu instid0(VALU_DEP_1) | instskip(SKIP_2) | instid1(VALU_DEP_1)
	v_mad_u32_u24 v2, 0x41, v1, v6
	s_mov_b32 s15, 0
	s_mov_b32 s0, exec_lo
	v_sub_nc_u32_e32 v0, v2, v1
	v_lshl_add_u32 v1, v2, 2, 0
	ds_store_b32 v1, v20
	ds_store_b32 v1, v25 offset:4160
	s_waitcnt lgkmcnt(0)
	s_barrier
	buffer_gl0_inv
	v_cmpx_gt_u32_e32 0x800, v0
	s_cbranch_execz .LBB104_21
; %bb.12:
	v_mbcnt_lo_u32_b32 v1, -1, 0
	v_lshrrev_b32_e32 v3, 5, v0
	v_cmp_eq_u32_e64 s1, 0, v6
	s_cmp_lg_u64 s[16:17], 0
	s_cselect_b32 s2, -1, 0
	v_xor_b32_e32 v0, 8, v1
	v_xor_b32_e32 v4, 4, v1
	;; [unrolled: 1-line block ×3, first 2 shown]
	s_cmp_lg_u64 s[18:19], 0
	s_delay_alu instid0(VALU_DEP_3)
	v_cmp_gt_i32_e32 vcc_lo, 32, v0
	s_cselect_b32 s3, -1, 0
	s_lshl_b64 s[4:5], s[14:15], 7
	v_cndmask_b32_e32 v0, v1, v0, vcc_lo
	v_cmp_gt_i32_e32 vcc_lo, 32, v4
	v_and_b32_e32 v2, 31, v6
	v_xor_b32_e32 v6, 1, v1
	v_cndmask_b32_e32 v7, v1, v4, vcc_lo
	v_cmp_gt_i32_e32 vcc_lo, 32, v5
	s_delay_alu instid0(VALU_DEP_4)
	v_mad_u32_u24 v11, 0x41, v2, v3
	v_cmp_gt_u32_e64 s0, 16, v2
	v_cndmask_b32_e32 v8, v1, v5, vcc_lo
	v_cmp_gt_i32_e32 vcc_lo, 32, v6
	v_lshlrev_b32_e32 v5, 2, v7
	v_lshlrev_b32_e32 v4, 2, v0
	v_dual_cndmask_b32 v1, v1, v6 :: v_dual_lshlrev_b32 v0, 1, v3
	v_lshlrev_b32_e32 v6, 2, v8
	v_subrev_nc_u32_e32 v8, 32, v3
	s_delay_alu instid0(VALU_DEP_3) | instskip(NEXT) | instid1(VALU_DEP_1)
	v_add_co_u32 v9, s4, s4, v0
	v_add_co_ci_u32_e64 v10, null, s5, 0, s4
	v_lshlrev_b32_e32 v7, 2, v1
	s_delay_alu instid0(VALU_DEP_3) | instskip(NEXT) | instid1(VALU_DEP_3)
	v_add_co_u32 v0, vcc_lo, s18, v9
	v_add_co_ci_u32_e32 v1, vcc_lo, s19, v10, vcc_lo
	v_add_co_u32 v2, vcc_lo, s16, v9
	v_add_co_ci_u32_e32 v3, vcc_lo, s17, v10, vcc_lo
	v_lshl_add_u32 v9, v11, 2, 0
                                        ; implicit-def: $vgpr10
                                        ; implicit-def: $vgpr11
	s_branch .LBB104_14
.LBB104_13:                             ;   in Loop: Header=BB104_14 Depth=1
	s_or_b32 exec_lo, exec_lo, s4
	v_add_co_u32 v0, vcc_lo, v0, 64
	v_add_co_u32 v8, s4, v8, 32
	v_add_co_ci_u32_e32 v1, vcc_lo, 0, v1, vcc_lo
	v_add_co_u32 v2, vcc_lo, v2, 64
	s_xor_b32 s4, s4, -1
	v_add_co_ci_u32_e32 v3, vcc_lo, 0, v3, vcc_lo
	v_add_nc_u32_e32 v9, 0x80, v9
	s_and_b32 s4, exec_lo, s4
	s_delay_alu instid0(SALU_CYCLE_1) | instskip(NEXT) | instid1(SALU_CYCLE_1)
	s_or_b32 s15, s4, s15
	s_and_not1_b32 exec_lo, exec_lo, s15
	s_cbranch_execz .LBB104_21
.LBB104_14:                             ; =>This Inner Loop Header: Depth=1
	s_and_saveexec_b32 s4, s0
	s_cbranch_execz .LBB104_16
; %bb.15:                               ;   in Loop: Header=BB104_14 Depth=1
	ds_load_b32 v10, v9
	ds_load_b32 v11, v9 offset:4160
.LBB104_16:                             ;   in Loop: Header=BB104_14 Depth=1
	s_or_b32 exec_lo, exec_lo, s4
	s_waitcnt lgkmcnt(1)
	ds_bpermute_b32 v12, v4, v10
	s_waitcnt lgkmcnt(1)
	ds_bpermute_b32 v13, v4, v11
	s_waitcnt lgkmcnt(0)
	v_dual_add_f32 v10, v10, v12 :: v_dual_add_f32 v11, v11, v13
	ds_bpermute_b32 v12, v5, v10
	ds_bpermute_b32 v13, v5, v11
	s_waitcnt lgkmcnt(0)
	v_dual_add_f32 v10, v10, v12 :: v_dual_add_f32 v11, v11, v13
	ds_bpermute_b32 v12, v6, v10
	;; [unrolled: 4-line block ×3, first 2 shown]
	ds_bpermute_b32 v13, v7, v11
	s_waitcnt lgkmcnt(0)
	v_dual_add_f32 v10, v10, v12 :: v_dual_add_f32 v11, v11, v13
	s_and_saveexec_b32 s4, s1
	s_cbranch_execz .LBB104_13
; %bb.17:                               ;   in Loop: Header=BB104_14 Depth=1
	s_and_not1_b32 vcc_lo, exec_lo, s2
	s_cbranch_vccnz .LBB104_19
; %bb.18:                               ;   in Loop: Header=BB104_14 Depth=1
	v_bfe_u32 v12, v10, 16, 1
	v_cmp_o_f32_e32 vcc_lo, v10, v10
	s_delay_alu instid0(VALU_DEP_2) | instskip(NEXT) | instid1(VALU_DEP_1)
	v_add3_u32 v12, v10, v12, 0x7fff
	v_lshrrev_b32_e32 v12, 16, v12
	s_delay_alu instid0(VALU_DEP_1)
	v_cndmask_b32_e32 v12, 0x7fc0, v12, vcc_lo
	global_store_b16 v[2:3], v12, off
.LBB104_19:                             ;   in Loop: Header=BB104_14 Depth=1
	s_and_not1_b32 vcc_lo, exec_lo, s3
	s_cbranch_vccnz .LBB104_13
; %bb.20:                               ;   in Loop: Header=BB104_14 Depth=1
	v_bfe_u32 v12, v11, 16, 1
	v_cmp_o_f32_e32 vcc_lo, v11, v11
	s_delay_alu instid0(VALU_DEP_2) | instskip(NEXT) | instid1(VALU_DEP_1)
	v_add3_u32 v12, v11, v12, 0x7fff
	v_lshrrev_b32_e32 v12, 16, v12
	s_delay_alu instid0(VALU_DEP_1)
	v_cndmask_b32_e32 v12, 0x7fc0, v12, vcc_lo
	global_store_b16 v[0:1], v12, off
	s_branch .LBB104_13
.LBB104_21:
	s_nop 0
	s_sendmsg sendmsg(MSG_DEALLOC_VGPRS)
	s_endpgm
	.section	.rodata,"a",@progbits
	.p2align	6, 0x0
	.amdhsa_kernel _ZN2at6native12_GLOBAL__N_135GammaBetaBackwardCUDAKernelTemplateIN3c108BFloat16EfLj64ELj16ELj256ELb0ELb1ELb0EEEvllPKT_S7_PKT0_SA_PS5_SB_
		.amdhsa_group_segment_fixed_size 0
		.amdhsa_private_segment_fixed_size 0
		.amdhsa_kernarg_size 320
		.amdhsa_user_sgpr_count 14
		.amdhsa_user_sgpr_dispatch_ptr 0
		.amdhsa_user_sgpr_queue_ptr 0
		.amdhsa_user_sgpr_kernarg_segment_ptr 1
		.amdhsa_user_sgpr_dispatch_id 0
		.amdhsa_user_sgpr_private_segment_size 0
		.amdhsa_wavefront_size32 1
		.amdhsa_uses_dynamic_stack 0
		.amdhsa_enable_private_segment 0
		.amdhsa_system_sgpr_workgroup_id_x 1
		.amdhsa_system_sgpr_workgroup_id_y 1
		.amdhsa_system_sgpr_workgroup_id_z 0
		.amdhsa_system_sgpr_workgroup_info 0
		.amdhsa_system_vgpr_workitem_id 1
		.amdhsa_next_free_vgpr 90
		.amdhsa_next_free_sgpr 28
		.amdhsa_reserve_vcc 1
		.amdhsa_float_round_mode_32 0
		.amdhsa_float_round_mode_16_64 0
		.amdhsa_float_denorm_mode_32 3
		.amdhsa_float_denorm_mode_16_64 3
		.amdhsa_dx10_clamp 1
		.amdhsa_ieee_mode 1
		.amdhsa_fp16_overflow 0
		.amdhsa_workgroup_processor_mode 1
		.amdhsa_memory_ordered 1
		.amdhsa_forward_progress 0
		.amdhsa_shared_vgpr_count 0
		.amdhsa_exception_fp_ieee_invalid_op 0
		.amdhsa_exception_fp_denorm_src 0
		.amdhsa_exception_fp_ieee_div_zero 0
		.amdhsa_exception_fp_ieee_overflow 0
		.amdhsa_exception_fp_ieee_underflow 0
		.amdhsa_exception_fp_ieee_inexact 0
		.amdhsa_exception_int_div_zero 0
	.end_amdhsa_kernel
	.section	.text._ZN2at6native12_GLOBAL__N_135GammaBetaBackwardCUDAKernelTemplateIN3c108BFloat16EfLj64ELj16ELj256ELb0ELb1ELb0EEEvllPKT_S7_PKT0_SA_PS5_SB_,"axG",@progbits,_ZN2at6native12_GLOBAL__N_135GammaBetaBackwardCUDAKernelTemplateIN3c108BFloat16EfLj64ELj16ELj256ELb0ELb1ELb0EEEvllPKT_S7_PKT0_SA_PS5_SB_,comdat
.Lfunc_end104:
	.size	_ZN2at6native12_GLOBAL__N_135GammaBetaBackwardCUDAKernelTemplateIN3c108BFloat16EfLj64ELj16ELj256ELb0ELb1ELb0EEEvllPKT_S7_PKT0_SA_PS5_SB_, .Lfunc_end104-_ZN2at6native12_GLOBAL__N_135GammaBetaBackwardCUDAKernelTemplateIN3c108BFloat16EfLj64ELj16ELj256ELb0ELb1ELb0EEEvllPKT_S7_PKT0_SA_PS5_SB_
                                        ; -- End function
	.section	.AMDGPU.csdata,"",@progbits
; Kernel info:
; codeLenInByte = 2808
; NumSgprs: 30
; NumVgprs: 90
; ScratchSize: 0
; MemoryBound: 0
; FloatMode: 240
; IeeeMode: 1
; LDSByteSize: 0 bytes/workgroup (compile time only)
; SGPRBlocks: 3
; VGPRBlocks: 11
; NumSGPRsForWavesPerEU: 30
; NumVGPRsForWavesPerEU: 90
; Occupancy: 16
; WaveLimiterHint : 0
; COMPUTE_PGM_RSRC2:SCRATCH_EN: 0
; COMPUTE_PGM_RSRC2:USER_SGPR: 14
; COMPUTE_PGM_RSRC2:TRAP_HANDLER: 0
; COMPUTE_PGM_RSRC2:TGID_X_EN: 1
; COMPUTE_PGM_RSRC2:TGID_Y_EN: 1
; COMPUTE_PGM_RSRC2:TGID_Z_EN: 0
; COMPUTE_PGM_RSRC2:TIDIG_COMP_CNT: 1
	.section	.text._ZN2at6native12_GLOBAL__N_135GammaBetaBackwardCUDAKernelTemplateIN3c108BFloat16EfLj64ELj16ELj256ELb0ELb0ELb0EEEvllPKT_S7_PKT0_SA_PS5_SB_,"axG",@progbits,_ZN2at6native12_GLOBAL__N_135GammaBetaBackwardCUDAKernelTemplateIN3c108BFloat16EfLj64ELj16ELj256ELb0ELb0ELb0EEEvllPKT_S7_PKT0_SA_PS5_SB_,comdat
	.globl	_ZN2at6native12_GLOBAL__N_135GammaBetaBackwardCUDAKernelTemplateIN3c108BFloat16EfLj64ELj16ELj256ELb0ELb0ELb0EEEvllPKT_S7_PKT0_SA_PS5_SB_ ; -- Begin function _ZN2at6native12_GLOBAL__N_135GammaBetaBackwardCUDAKernelTemplateIN3c108BFloat16EfLj64ELj16ELj256ELb0ELb0ELb0EEEvllPKT_S7_PKT0_SA_PS5_SB_
	.p2align	8
	.type	_ZN2at6native12_GLOBAL__N_135GammaBetaBackwardCUDAKernelTemplateIN3c108BFloat16EfLj64ELj16ELj256ELb0ELb0ELb0EEEvllPKT_S7_PKT0_SA_PS5_SB_,@function
_ZN2at6native12_GLOBAL__N_135GammaBetaBackwardCUDAKernelTemplateIN3c108BFloat16EfLj64ELj16ELj256ELb0ELb0ELb0EEEvllPKT_S7_PKT0_SA_PS5_SB_: ; @_ZN2at6native12_GLOBAL__N_135GammaBetaBackwardCUDAKernelTemplateIN3c108BFloat16EfLj64ELj16ELj256ELb0ELb0ELb0EEEvllPKT_S7_PKT0_SA_PS5_SB_
; %bb.0:
	s_clause 0x1
	s_load_b256 s[4:11], s[0:1], 0x0
	s_load_b128 s[36:39], s[0:1], 0x20
	s_mov_b32 s35, 0
	s_lshl_b32 s12, s15, 8
	s_mov_b32 s13, s35
	s_lshl_b32 s33, s14, 6
	s_delay_alu instid0(SALU_CYCLE_1) | instskip(SKIP_3) | instid1(VALU_DEP_2)
	s_or_b32 s34, s33, 63
	s_waitcnt lgkmcnt(0)
	v_cmp_lt_i64_e64 s15, s[12:13], s[4:5]
	v_cmp_ge_i64_e64 s2, s[34:35], s[6:7]
	v_cndmask_b32_e64 v1, 0, 1, s15
	s_delay_alu instid0(VALU_DEP_2) | instskip(NEXT) | instid1(VALU_DEP_1)
	s_and_b32 vcc_lo, exec_lo, s2
	v_cmp_ne_u32_e64 s2, 1, v1
	s_cbranch_vccz .LBB105_81
; %bb.1:
	v_mov_b32_e32 v1, 0
	v_mov_b32_e32 v113, 0
	s_delay_alu instid0(VALU_DEP_3)
	s_and_b32 vcc_lo, exec_lo, s2
	s_cbranch_vccnz .LBB105_82
; %bb.2:
	v_bfe_u32 v51, v0, 10, 10
	v_and_b32_e32 v53, 0x3ff, v0
	s_load_b32 s3, s[0:1], 0x44
	s_add_u32 s40, s0, 64
	s_addc_u32 s41, s1, 0
	v_dual_mov_b32 v113, 0 :: v_dual_lshlrev_b32 v52, 4, v51
	v_mov_b32_e32 v119, 0
	s_mov_b32 s16, 0
	s_mov_b64 s[46:47], s[12:13]
	s_delay_alu instid0(VALU_DEP_2) | instskip(NEXT) | instid1(VALU_DEP_1)
	v_add_co_u32 v9, s2, v52, s12
	v_add_co_ci_u32_e64 v10, null, 0, 0, s2
	s_delay_alu instid0(VALU_DEP_2) | instskip(NEXT) | instid1(VALU_DEP_2)
	v_add_co_u32 v1, vcc_lo, v9, 15
	v_add_co_ci_u32_e32 v2, vcc_lo, 0, v10, vcc_lo
	v_add_co_u32 v7, vcc_lo, v9, 14
	s_delay_alu instid0(VALU_DEP_3) | instskip(NEXT) | instid1(VALU_DEP_3)
	v_mul_lo_u32 v5, s7, v1
	v_mul_lo_u32 v6, s6, v2
	v_mad_u64_u32 v[3:4], null, s6, v1, 0
	v_dual_mov_b32 v2, 0 :: v_dual_add_nc_u32 v1, s33, v53
	s_waitcnt lgkmcnt(0)
	s_lshl_b32 s34, s3, 8
	s_delay_alu instid0(SALU_CYCLE_1) | instskip(SKIP_1) | instid1(VALU_DEP_2)
	s_mul_i32 s3, s7, s34
	s_mul_hi_u32 s17, s6, s34
	v_add3_u32 v4, v4, v6, v5
	v_add_co_ci_u32_e32 v5, vcc_lo, 0, v10, vcc_lo
	v_cmp_gt_i64_e64 s2, s[6:7], v[1:2]
	v_lshlrev_b64 v[49:50], 1, v[1:2]
	s_delay_alu instid0(VALU_DEP_4) | instskip(SKIP_4) | instid1(VALU_DEP_4)
	v_lshlrev_b64 v[3:4], 1, v[3:4]
	v_mul_lo_u32 v1, s7, v7
	v_mul_lo_u32 v11, s6, v5
	v_mad_u64_u32 v[5:6], null, s6, v7, 0
	s_add_i32 s19, s17, s3
	v_add_co_u32 v54, vcc_lo, s8, v3
	v_add_co_ci_u32_e32 v55, vcc_lo, s9, v4, vcc_lo
	v_add_co_u32 v12, vcc_lo, v9, 13
	v_add_co_ci_u32_e32 v8, vcc_lo, 0, v10, vcc_lo
	v_add3_u32 v6, v6, v11, v1
	s_delay_alu instid0(VALU_DEP_3) | instskip(SKIP_1) | instid1(VALU_DEP_4)
	v_mul_lo_u32 v13, s7, v12
	v_add_co_u32 v56, vcc_lo, s10, v3
	v_mul_lo_u32 v14, s6, v8
	v_mad_u64_u32 v[7:8], null, s6, v12, 0
	v_add_co_ci_u32_e32 v57, vcc_lo, s11, v4, vcc_lo
	v_lshlrev_b64 v[3:4], 1, v[5:6]
	v_add_co_u32 v1, vcc_lo, v9, 12
	v_add_co_ci_u32_e32 v11, vcc_lo, 0, v10, vcc_lo
	v_add3_u32 v8, v8, v14, v13
	s_delay_alu instid0(VALU_DEP_4) | instskip(SKIP_1) | instid1(VALU_DEP_3)
	v_add_co_u32 v58, vcc_lo, s8, v3
	v_add_co_ci_u32_e32 v59, vcc_lo, s9, v4, vcc_lo
	v_lshlrev_b64 v[5:6], 1, v[7:8]
	v_add_co_u32 v60, vcc_lo, s10, v3
	v_mul_lo_u32 v12, s7, v1
	v_mul_lo_u32 v11, s6, v11
	v_mad_u64_u32 v[7:8], null, s6, v1, 0
	v_add_co_ci_u32_e32 v61, vcc_lo, s11, v4, vcc_lo
	v_add_co_u32 v62, vcc_lo, s8, v5
	v_add_co_ci_u32_e32 v63, vcc_lo, s9, v6, vcc_lo
	v_add_co_u32 v1, vcc_lo, v9, 11
	v_add_co_u32 v64, s3, s10, v5
	v_add_co_ci_u32_e32 v5, vcc_lo, 0, v10, vcc_lo
	v_add3_u32 v8, v8, v11, v12
	v_add_co_u32 v12, vcc_lo, v9, 10
	v_add_co_ci_u32_e64 v65, s3, s11, v6, s3
	v_mul_lo_u32 v11, s7, v1
	v_mul_lo_u32 v13, s6, v5
	v_mad_u64_u32 v[5:6], null, s6, v1, 0
	v_lshlrev_b64 v[3:4], 1, v[7:8]
	v_add_co_ci_u32_e32 v7, vcc_lo, 0, v10, vcc_lo
	v_mul_lo_u32 v1, s7, v12
	s_mul_i32 s18, s6, s34
	s_delay_alu instid0(VALU_DEP_2)
	v_mul_lo_u32 v14, s6, v7
	v_mad_u64_u32 v[7:8], null, s6, v12, 0
	v_add_co_u32 v66, vcc_lo, s8, v3
	v_add3_u32 v6, v6, v13, v11
	v_add_co_ci_u32_e32 v67, vcc_lo, s9, v4, vcc_lo
	v_add_co_u32 v68, vcc_lo, s10, v3
	v_add_co_ci_u32_e32 v69, vcc_lo, s11, v4, vcc_lo
	s_delay_alu instid0(VALU_DEP_4) | instskip(SKIP_3) | instid1(VALU_DEP_4)
	v_lshlrev_b64 v[3:4], 1, v[5:6]
	v_add3_u32 v8, v8, v14, v1
	v_add_co_u32 v1, vcc_lo, v9, 9
	v_add_co_ci_u32_e32 v11, vcc_lo, 0, v10, vcc_lo
	v_add_co_u32 v70, vcc_lo, s8, v3
	s_delay_alu instid0(VALU_DEP_4)
	v_lshlrev_b64 v[5:6], 1, v[7:8]
	v_add_co_ci_u32_e32 v71, vcc_lo, s9, v4, vcc_lo
	v_add_co_u32 v72, vcc_lo, s10, v3
	v_mul_lo_u32 v12, s7, v1
	v_mul_lo_u32 v11, s6, v11
	v_mad_u64_u32 v[7:8], null, s6, v1, 0
	v_add_co_ci_u32_e32 v73, vcc_lo, s11, v4, vcc_lo
	v_add_co_u32 v74, vcc_lo, s8, v5
	v_add_co_ci_u32_e32 v75, vcc_lo, s9, v6, vcc_lo
	v_add_co_u32 v1, vcc_lo, v9, 8
	v_add_co_u32 v76, s3, s10, v5
	v_add_co_ci_u32_e32 v5, vcc_lo, 0, v10, vcc_lo
	v_add3_u32 v8, v8, v11, v12
	v_add_co_u32 v12, vcc_lo, v9, 7
	v_add_co_ci_u32_e64 v77, s3, s11, v6, s3
	v_mul_lo_u32 v11, s7, v1
	v_mul_lo_u32 v13, s6, v5
	v_mad_u64_u32 v[5:6], null, s6, v1, 0
	v_lshlrev_b64 v[3:4], 1, v[7:8]
	v_add_co_ci_u32_e32 v7, vcc_lo, 0, v10, vcc_lo
	v_mul_lo_u32 v1, s7, v12
	s_lshl_b64 s[42:43], s[18:19], 1
	s_add_u32 s44, s12, 0xff
	s_delay_alu instid0(VALU_DEP_2)
	v_mul_lo_u32 v14, s6, v7
	v_mad_u64_u32 v[7:8], null, s6, v12, 0
	v_add_co_u32 v78, vcc_lo, s8, v3
	v_add3_u32 v6, v6, v13, v11
	v_add_co_ci_u32_e32 v79, vcc_lo, s9, v4, vcc_lo
	v_add_co_u32 v80, vcc_lo, s10, v3
	v_add_co_ci_u32_e32 v81, vcc_lo, s11, v4, vcc_lo
	s_delay_alu instid0(VALU_DEP_4) | instskip(SKIP_3) | instid1(VALU_DEP_4)
	v_lshlrev_b64 v[3:4], 1, v[5:6]
	v_add3_u32 v8, v8, v14, v1
	v_add_co_u32 v1, vcc_lo, v9, 6
	v_add_co_ci_u32_e32 v11, vcc_lo, 0, v10, vcc_lo
	v_add_co_u32 v82, vcc_lo, s8, v3
	s_delay_alu instid0(VALU_DEP_4)
	v_lshlrev_b64 v[5:6], 1, v[7:8]
	v_add_co_ci_u32_e32 v83, vcc_lo, s9, v4, vcc_lo
	v_add_co_u32 v84, vcc_lo, s10, v3
	v_mul_lo_u32 v12, s7, v1
	v_mul_lo_u32 v11, s6, v11
	v_mad_u64_u32 v[7:8], null, s6, v1, 0
	v_add_co_ci_u32_e32 v85, vcc_lo, s11, v4, vcc_lo
	v_add_co_u32 v86, vcc_lo, s8, v5
	v_add_co_ci_u32_e32 v87, vcc_lo, s9, v6, vcc_lo
	v_add_co_u32 v1, vcc_lo, v9, 5
	v_add_co_u32 v88, s3, s10, v5
	v_add_co_ci_u32_e32 v5, vcc_lo, 0, v10, vcc_lo
	v_add3_u32 v8, v8, v11, v12
	v_add_co_u32 v12, vcc_lo, v9, 4
	v_add_co_ci_u32_e64 v89, s3, s11, v6, s3
	v_mul_lo_u32 v11, s7, v1
	v_mul_lo_u32 v13, s6, v5
	v_mad_u64_u32 v[5:6], null, s6, v1, 0
	v_lshlrev_b64 v[3:4], 1, v[7:8]
	v_add_co_ci_u32_e32 v7, vcc_lo, 0, v10, vcc_lo
	v_mul_lo_u32 v1, s7, v12
	s_addc_u32 s45, 0, 0
	s_delay_alu instid0(VALU_DEP_2)
	v_mul_lo_u32 v14, s6, v7
	v_mad_u64_u32 v[7:8], null, s6, v12, 0
	v_add_co_u32 v90, vcc_lo, s8, v3
	v_add3_u32 v6, v6, v13, v11
	v_add_co_ci_u32_e32 v91, vcc_lo, s9, v4, vcc_lo
	v_add_co_u32 v92, vcc_lo, s10, v3
	v_add_co_ci_u32_e32 v93, vcc_lo, s11, v4, vcc_lo
	s_delay_alu instid0(VALU_DEP_4) | instskip(SKIP_3) | instid1(VALU_DEP_4)
	v_lshlrev_b64 v[3:4], 1, v[5:6]
	v_add3_u32 v8, v8, v14, v1
	v_add_co_u32 v1, vcc_lo, v9, 3
	v_add_co_ci_u32_e32 v11, vcc_lo, 0, v10, vcc_lo
	v_add_co_u32 v94, vcc_lo, s8, v3
	s_delay_alu instid0(VALU_DEP_4)
	v_lshlrev_b64 v[5:6], 1, v[7:8]
	v_add_co_ci_u32_e32 v95, vcc_lo, s9, v4, vcc_lo
	v_mul_lo_u32 v12, s7, v1
	v_mul_lo_u32 v11, s6, v11
	v_mad_u64_u32 v[7:8], null, s6, v1, 0
	v_add_co_u32 v96, vcc_lo, s10, v3
	v_add_co_ci_u32_e32 v97, vcc_lo, s11, v4, vcc_lo
	v_add_co_u32 v98, vcc_lo, s8, v5
	v_add_co_ci_u32_e32 v99, vcc_lo, s9, v6, vcc_lo
	v_add_co_u32 v1, vcc_lo, v9, 2
	v_add3_u32 v8, v8, v11, v12
	v_add_co_ci_u32_e32 v11, vcc_lo, 0, v10, vcc_lo
	v_add_co_u32 v100, vcc_lo, s10, v5
	v_add_co_ci_u32_e32 v101, vcc_lo, s11, v6, vcc_lo
	v_mul_lo_u32 v12, s7, v1
	s_delay_alu instid0(VALU_DEP_4)
	v_mul_lo_u32 v11, s6, v11
	v_mad_u64_u32 v[5:6], null, s6, v1, 0
	v_lshlrev_b64 v[3:4], 1, v[7:8]
	v_mul_lo_u32 v1, s7, v9
	v_mul_lo_u32 v10, s6, v10
	v_mad_u64_u32 v[7:8], null, s6, v9, 0
	s_delay_alu instid0(VALU_DEP_4)
	v_add_co_u32 v102, vcc_lo, s8, v3
	v_add3_u32 v6, v6, v11, v12
	v_add_co_ci_u32_e32 v103, vcc_lo, s9, v4, vcc_lo
	v_add_co_u32 v104, vcc_lo, s10, v3
	v_add3_u32 v8, v8, v10, v1
	v_add_co_ci_u32_e32 v105, vcc_lo, s11, v4, vcc_lo
	v_lshlrev_b64 v[3:4], 1, v[5:6]
	v_add_co_u32 v5, vcc_lo, v7, s6
	s_delay_alu instid0(VALU_DEP_4) | instskip(NEXT) | instid1(VALU_DEP_3)
	v_add_co_ci_u32_e32 v6, vcc_lo, s7, v8, vcc_lo
	v_add_co_u32 v106, vcc_lo, s8, v3
	s_delay_alu instid0(VALU_DEP_2) | instskip(SKIP_3) | instid1(VALU_DEP_4)
	v_lshlrev_b64 v[5:6], 1, v[5:6]
	v_add_co_ci_u32_e32 v107, vcc_lo, s9, v4, vcc_lo
	v_add_co_u32 v108, vcc_lo, s10, v3
	v_add_co_ci_u32_e32 v109, vcc_lo, s11, v4, vcc_lo
	v_add_co_u32 v110, vcc_lo, s8, v5
	v_lshlrev_b64 v[3:4], 1, v[7:8]
	v_add_co_ci_u32_e32 v111, vcc_lo, s9, v6, vcc_lo
	v_add_co_u32 v112, vcc_lo, s10, v5
	v_add_co_ci_u32_e32 v114, vcc_lo, s11, v6, vcc_lo
	s_delay_alu instid0(VALU_DEP_4)
	v_add_co_u32 v115, vcc_lo, s8, v3
	v_add_co_ci_u32_e32 v116, vcc_lo, s9, v4, vcc_lo
	v_add_co_u32 v117, vcc_lo, s10, v3
	v_add_co_ci_u32_e32 v118, vcc_lo, s11, v4, vcc_lo
.LBB105_3:                              ; =>This Inner Loop Header: Depth=1
	v_cmp_ge_i64_e64 s3, s[44:45], s[4:5]
	v_add_co_u32 v120, s17, v52, s44
	s_delay_alu instid0(VALU_DEP_1) | instskip(NEXT) | instid1(VALU_DEP_3)
	v_add_co_ci_u32_e64 v121, null, 0, s45, s17
	s_and_b32 vcc_lo, exec_lo, s3
	s_cbranch_vccz .LBB105_41
; %bb.4:                                ;   in Loop: Header=BB105_3 Depth=1
	s_load_b32 s3, s[40:41], 0xc
	v_dual_mov_b32 v123, 0 :: v_dual_mov_b32 v122, 0
	s_waitcnt lgkmcnt(0)
	s_and_b32 s3, s3, 0xffff
	s_delay_alu instid0(SALU_CYCLE_1) | instskip(SKIP_1) | instid1(VALU_DEP_1)
	v_mad_u32_u24 v1, v51, s3, v53
	s_mov_b32 s3, exec_lo
	v_and_b32_e32 v1, 31, v1
	s_delay_alu instid0(VALU_DEP_1)
	v_cmpx_gt_u32_e32 16, v1
	s_cbranch_execz .LBB105_8
; %bb.5:                                ;   in Loop: Header=BB105_3 Depth=1
	v_add_co_u32 v1, vcc_lo, v120, v1
	v_add_co_ci_u32_e32 v4, vcc_lo, 0, v121, vcc_lo
	v_dual_mov_b32 v122, 0 :: v_dual_mov_b32 v123, 0
	s_delay_alu instid0(VALU_DEP_3) | instskip(NEXT) | instid1(VALU_DEP_3)
	v_add_co_u32 v3, vcc_lo, 0xffffff01, v1
	v_add_co_ci_u32_e32 v4, vcc_lo, -1, v4, vcc_lo
	s_mov_b32 s17, exec_lo
	s_delay_alu instid0(VALU_DEP_1)
	v_cmpx_gt_i64_e64 s[4:5], v[3:4]
	s_cbranch_execz .LBB105_7
; %bb.6:                                ;   in Loop: Header=BB105_3 Depth=1
	v_lshlrev_b64 v[3:4], 2, v[3:4]
	s_delay_alu instid0(VALU_DEP_1) | instskip(NEXT) | instid1(VALU_DEP_2)
	v_add_co_u32 v5, vcc_lo, s36, v3
	v_add_co_ci_u32_e32 v6, vcc_lo, s37, v4, vcc_lo
	v_add_co_u32 v3, vcc_lo, s38, v3
	v_add_co_ci_u32_e32 v4, vcc_lo, s39, v4, vcc_lo
	global_load_b32 v122, v[5:6], off
	global_load_b32 v123, v[3:4], off
.LBB105_7:                              ;   in Loop: Header=BB105_3 Depth=1
	s_or_b32 exec_lo, exec_lo, s17
.LBB105_8:                              ;   in Loop: Header=BB105_3 Depth=1
	s_delay_alu instid0(SALU_CYCLE_1)
	s_or_b32 exec_lo, exec_lo, s3
	v_add_co_u32 v3, vcc_lo, 0xffffff01, v120
	s_mov_b32 s31, s16
	v_add_co_ci_u32_e32 v4, vcc_lo, -1, v121, vcc_lo
	s_mov_b32 s17, s16
	s_mov_b32 s18, s16
	;; [unrolled: 1-line block ×14, first 2 shown]
	s_delay_alu instid0(SALU_CYCLE_1)
	v_dual_mov_b32 v32, s31 :: v_dual_mov_b32 v31, s30
	v_dual_mov_b32 v30, s29 :: v_dual_mov_b32 v29, s28
	;; [unrolled: 1-line block ×8, first 2 shown]
	v_cmp_gt_i64_e32 vcc_lo, s[4:5], v[3:4]
	v_dual_mov_b32 v48, v32 :: v_dual_mov_b32 v47, v31
	v_dual_mov_b32 v46, v30 :: v_dual_mov_b32 v45, v29
	;; [unrolled: 1-line block ×8, first 2 shown]
	s_and_b32 s17, s2, vcc_lo
	s_delay_alu instid0(SALU_CYCLE_1)
	s_and_saveexec_b32 s3, s17
	s_cbranch_execz .LBB105_10
; %bb.9:                                ;   in Loop: Header=BB105_3 Depth=1
	v_add_co_u32 v3, vcc_lo, v115, v49
	v_add_co_ci_u32_e32 v4, vcc_lo, v116, v50, vcc_lo
	v_add_co_u32 v5, vcc_lo, v117, v49
	v_add_co_ci_u32_e32 v6, vcc_lo, v118, v50, vcc_lo
	v_mov_b32_e32 v16, v2
	global_load_u16 v1, v[3:4], off
	global_load_u16 v17, v[5:6], off
	v_mov_b32_e32 v3, v2
	v_mov_b32_e32 v4, v2
	;; [unrolled: 1-line block ×16, first 2 shown]
	s_waitcnt vmcnt(1)
	v_dual_mov_b32 v32, v2 :: v_dual_lshlrev_b32 v1, 16, v1
	s_waitcnt vmcnt(0)
	v_lshlrev_b32_e32 v17, 16, v17
	v_dual_mov_b32 v19, v2 :: v_dual_mov_b32 v48, v16
	v_dual_mov_b32 v18, v2 :: v_dual_mov_b32 v47, v15
	;; [unrolled: 1-line block ×12, first 2 shown]
	v_mov_b32_e32 v42, v10
	v_mov_b32_e32 v38, v6
	;; [unrolled: 1-line block ×3, first 2 shown]
.LBB105_10:                             ;   in Loop: Header=BB105_3 Depth=1
	s_or_b32 exec_lo, exec_lo, s3
	v_add_co_u32 v3, vcc_lo, 0xffffff02, v120
	v_add_co_ci_u32_e32 v4, vcc_lo, -1, v121, vcc_lo
	s_delay_alu instid0(VALU_DEP_1) | instskip(SKIP_1) | instid1(SALU_CYCLE_1)
	v_cmp_gt_i64_e32 vcc_lo, s[4:5], v[3:4]
	s_and_b32 s17, s2, vcc_lo
	s_and_saveexec_b32 s3, s17
	s_cbranch_execz .LBB105_12
; %bb.11:                               ;   in Loop: Header=BB105_3 Depth=1
	v_add_co_u32 v3, vcc_lo, v110, v49
	v_add_co_ci_u32_e32 v4, vcc_lo, v111, v50, vcc_lo
	v_add_co_u32 v5, vcc_lo, v112, v49
	v_add_co_ci_u32_e32 v6, vcc_lo, v114, v50, vcc_lo
	global_load_u16 v1, v[3:4], off
	global_load_u16 v3, v[5:6], off
	s_waitcnt vmcnt(1)
	v_lshlrev_b32_e32 v34, 16, v1
	s_waitcnt vmcnt(0)
	v_lshlrev_b32_e32 v18, 16, v3
.LBB105_12:                             ;   in Loop: Header=BB105_3 Depth=1
	s_or_b32 exec_lo, exec_lo, s3
	v_add_co_u32 v3, vcc_lo, 0xffffff03, v120
	v_add_co_ci_u32_e32 v4, vcc_lo, -1, v121, vcc_lo
	s_delay_alu instid0(VALU_DEP_1) | instskip(SKIP_1) | instid1(SALU_CYCLE_1)
	v_cmp_gt_i64_e32 vcc_lo, s[4:5], v[3:4]
	s_and_b32 s17, s2, vcc_lo
	s_and_saveexec_b32 s3, s17
	s_cbranch_execz .LBB105_14
; %bb.13:                               ;   in Loop: Header=BB105_3 Depth=1
	v_add_co_u32 v3, vcc_lo, v106, v49
	v_add_co_ci_u32_e32 v4, vcc_lo, v107, v50, vcc_lo
	v_add_co_u32 v5, vcc_lo, v108, v49
	v_add_co_ci_u32_e32 v6, vcc_lo, v109, v50, vcc_lo
	global_load_u16 v1, v[3:4], off
	global_load_u16 v3, v[5:6], off
	s_waitcnt vmcnt(1)
	v_lshlrev_b32_e32 v35, 16, v1
	s_waitcnt vmcnt(0)
	v_lshlrev_b32_e32 v19, 16, v3
.LBB105_14:                             ;   in Loop: Header=BB105_3 Depth=1
	;; [unrolled: 20-line block ×15, first 2 shown]
	s_or_b32 exec_lo, exec_lo, s3
	s_waitcnt vmcnt(1)
	ds_bpermute_b32 v1, v2, v122
	ds_bpermute_b32 v3, v2, v122 offset:4
	ds_bpermute_b32 v6, v2, v122 offset:8
	;; [unrolled: 1-line block ×3, first 2 shown]
	s_waitcnt vmcnt(0)
	ds_bpermute_b32 v4, v2, v123
	ds_bpermute_b32 v7, v2, v123 offset:4
	ds_bpermute_b32 v8, v2, v123 offset:8
	v_add_f32_e32 v5, v113, v33
	ds_bpermute_b32 v12, v2, v122 offset:16
	ds_bpermute_b32 v16, v2, v122 offset:24
	;; [unrolled: 1-line block ×10, first 2 shown]
	s_waitcnt lgkmcnt(16)
	v_sub_f32_e32 v1, v17, v1
	ds_bpermute_b32 v17, v2, v122 offset:28
	s_waitcnt lgkmcnt(15)
	v_sub_f32_e32 v6, v19, v6
	s_waitcnt lgkmcnt(14)
	v_dual_sub_f32 v10, v20, v10 :: v_dual_sub_f32 v3, v18, v3
	v_mul_f32_e32 v1, v33, v1
	ds_bpermute_b32 v19, v2, v122 offset:40
	v_mul_f32_e32 v6, v35, v6
	v_dual_mul_f32 v10, v36, v10 :: v_dual_mul_f32 v3, v34, v3
	s_waitcnt lgkmcnt(14)
	v_fma_f32 v1, v1, v4, v119
	ds_bpermute_b32 v33, v2, v122 offset:36
	ds_bpermute_b32 v18, v2, v123 offset:36
	;; [unrolled: 1-line block ×3, first 2 shown]
	s_waitcnt lgkmcnt(16)
	v_fmac_f32_e32 v1, v3, v7
	s_waitcnt lgkmcnt(14)
	v_sub_f32_e32 v7, v21, v12
	s_waitcnt lgkmcnt(10)
	s_delay_alu instid0(VALU_DEP_2)
	v_dual_sub_f32 v12, v25, v126 :: v_dual_fmac_f32 v1, v6, v8
	ds_bpermute_b32 v6, v2, v122 offset:44
	v_sub_f32_e32 v8, v22, v14
	v_dual_mul_f32 v12, v41, v12 :: v_dual_fmac_f32 v1, v10, v9
	v_dual_sub_f32 v10, v23, v16 :: v_dual_add_f32 v3, v34, v5
	s_waitcnt lgkmcnt(4)
	v_sub_f32_e32 v14, v27, v19
	v_dual_mul_f32 v7, v37, v7 :: v_dual_mul_f32 v8, v38, v8
	s_delay_alu instid0(VALU_DEP_3)
	v_mul_f32_e32 v10, v39, v10
	v_add_f32_e32 v3, v35, v3
	ds_bpermute_b32 v5, v2, v123 offset:44
	ds_bpermute_b32 v9, v2, v123 offset:48
	v_dual_mul_f32 v14, v43, v14 :: v_dual_add_f32 v3, v36, v3
	s_waitcnt lgkmcnt(2)
	v_dual_sub_f32 v6, v28, v6 :: v_dual_fmac_f32 v1, v7, v11
	ds_bpermute_b32 v7, v2, v122 offset:48
	v_mul_f32_e32 v6, v44, v6
	v_fmac_f32_e32 v1, v8, v13
	v_sub_f32_e32 v13, v26, v33
	ds_bpermute_b32 v8, v2, v123 offset:52
	v_fmac_f32_e32 v1, v10, v15
	ds_bpermute_b32 v10, v2, v122 offset:52
	v_add_f32_e32 v3, v37, v3
	v_mul_f32_e32 v13, v42, v13
	s_waitcnt lgkmcnt(2)
	v_sub_f32_e32 v7, v29, v7
	s_waitcnt lgkmcnt(0)
	s_delay_alu instid0(VALU_DEP_1) | instskip(NEXT) | instid1(VALU_DEP_1)
	v_dual_mul_f32 v7, v45, v7 :: v_dual_sub_f32 v10, v30, v10
	v_dual_sub_f32 v11, v24, v17 :: v_dual_mul_f32 v10, v46, v10
	s_delay_alu instid0(VALU_DEP_1) | instskip(NEXT) | instid1(VALU_DEP_1)
	v_mul_f32_e32 v11, v40, v11
	v_fmac_f32_e32 v1, v11, v124
	ds_bpermute_b32 v11, v2, v122 offset:56
	v_fmac_f32_e32 v1, v12, v125
	ds_bpermute_b32 v12, v2, v123 offset:56
	v_fmac_f32_e32 v1, v13, v18
	s_delay_alu instid0(VALU_DEP_1) | instskip(SKIP_4) | instid1(VALU_DEP_2)
	v_fmac_f32_e32 v1, v14, v4
	ds_bpermute_b32 v4, v2, v122 offset:60
	s_waitcnt lgkmcnt(2)
	v_dual_fmac_f32 v1, v6, v5 :: v_dual_sub_f32 v6, v31, v11
	v_add_f32_e32 v3, v38, v3
	v_fmac_f32_e32 v1, v7, v9
	s_delay_alu instid0(VALU_DEP_3) | instskip(NEXT) | instid1(VALU_DEP_3)
	v_mul_f32_e32 v6, v47, v6
	v_add_f32_e32 v3, v39, v3
	s_delay_alu instid0(VALU_DEP_3) | instskip(NEXT) | instid1(VALU_DEP_2)
	v_fmac_f32_e32 v1, v10, v8
	v_add_f32_e32 v3, v40, v3
	s_waitcnt lgkmcnt(1)
	s_delay_alu instid0(VALU_DEP_2) | instskip(NEXT) | instid1(VALU_DEP_2)
	v_fmac_f32_e32 v1, v6, v12
	v_add_f32_e32 v3, v41, v3
	s_delay_alu instid0(VALU_DEP_1) | instskip(SKIP_2) | instid1(VALU_DEP_1)
	v_add_f32_e32 v13, v42, v3
	ds_bpermute_b32 v3, v2, v123 offset:60
	v_add_f32_e32 v13, v43, v13
	v_add_f32_e32 v5, v44, v13
	s_delay_alu instid0(VALU_DEP_1) | instskip(NEXT) | instid1(VALU_DEP_1)
	v_add_f32_e32 v5, v45, v5
	v_add_f32_e32 v5, v46, v5
	s_delay_alu instid0(VALU_DEP_1)
	v_add_f32_e32 v5, v47, v5
	s_branch .LBB105_64
.LBB105_41:                             ;   in Loop: Header=BB105_3 Depth=1
                                        ; implicit-def: $vgpr3
                                        ; implicit-def: $vgpr17_vgpr18_vgpr19_vgpr20_vgpr21_vgpr22_vgpr23_vgpr24_vgpr25_vgpr26_vgpr27_vgpr28_vgpr29_vgpr30_vgpr31_vgpr32
                                        ; implicit-def: $vgpr33_vgpr34_vgpr35_vgpr36_vgpr37_vgpr38_vgpr39_vgpr40_vgpr41_vgpr42_vgpr43_vgpr44_vgpr45_vgpr46_vgpr47_vgpr48
                                        ; implicit-def: $vgpr4
                                        ; implicit-def: $vgpr1
                                        ; implicit-def: $vgpr5
	s_cbranch_execz .LBB105_64
; %bb.42:                               ;   in Loop: Header=BB105_3 Depth=1
	s_load_b32 s3, s[40:41], 0x0
	v_dual_mov_b32 v123, 0 :: v_dual_mov_b32 v122, 0
	s_waitcnt lgkmcnt(0)
	s_cmp_lt_u32 s14, s3
	s_cselect_b32 s3, 12, 18
	s_delay_alu instid0(SALU_CYCLE_1)
	s_add_u32 s18, s40, s3
	s_addc_u32 s19, s41, 0
	s_mov_b32 s3, exec_lo
	global_load_u16 v1, v2, s[18:19]
	s_waitcnt vmcnt(0)
	v_mad_u32_u24 v1, v51, v1, v53
	s_delay_alu instid0(VALU_DEP_1) | instskip(NEXT) | instid1(VALU_DEP_1)
	v_and_b32_e32 v1, 31, v1
	v_cmpx_gt_u32_e32 16, v1
	s_cbranch_execz .LBB105_46
; %bb.43:                               ;   in Loop: Header=BB105_3 Depth=1
	v_add_co_u32 v1, vcc_lo, v120, v1
	v_add_co_ci_u32_e32 v4, vcc_lo, 0, v121, vcc_lo
	v_dual_mov_b32 v122, 0 :: v_dual_mov_b32 v123, 0
	s_delay_alu instid0(VALU_DEP_3) | instskip(NEXT) | instid1(VALU_DEP_3)
	v_add_co_u32 v3, vcc_lo, 0xffffff01, v1
	v_add_co_ci_u32_e32 v4, vcc_lo, -1, v4, vcc_lo
	s_mov_b32 s17, exec_lo
	s_delay_alu instid0(VALU_DEP_1)
	v_cmpx_gt_i64_e64 s[4:5], v[3:4]
	s_cbranch_execz .LBB105_45
; %bb.44:                               ;   in Loop: Header=BB105_3 Depth=1
	v_lshlrev_b64 v[3:4], 2, v[3:4]
	s_delay_alu instid0(VALU_DEP_1) | instskip(NEXT) | instid1(VALU_DEP_2)
	v_add_co_u32 v5, vcc_lo, s36, v3
	v_add_co_ci_u32_e32 v6, vcc_lo, s37, v4, vcc_lo
	v_add_co_u32 v3, vcc_lo, s38, v3
	v_add_co_ci_u32_e32 v4, vcc_lo, s39, v4, vcc_lo
	global_load_b32 v122, v[5:6], off
	global_load_b32 v123, v[3:4], off
.LBB105_45:                             ;   in Loop: Header=BB105_3 Depth=1
	s_or_b32 exec_lo, exec_lo, s17
.LBB105_46:                             ;   in Loop: Header=BB105_3 Depth=1
	s_delay_alu instid0(SALU_CYCLE_1)
	s_or_b32 exec_lo, exec_lo, s3
	s_mov_b32 s31, s16
	s_mov_b32 s17, s16
	s_mov_b32 s18, s16
	s_mov_b32 s19, s16
	s_mov_b32 s20, s16
	s_mov_b32 s21, s16
	s_mov_b32 s22, s16
	s_mov_b32 s23, s16
	s_mov_b32 s24, s16
	s_mov_b32 s25, s16
	s_mov_b32 s26, s16
	s_mov_b32 s27, s16
	s_mov_b32 s28, s16
	s_mov_b32 s29, s16
	s_mov_b32 s30, s16
	s_delay_alu instid0(SALU_CYCLE_1)
	v_dual_mov_b32 v32, s31 :: v_dual_mov_b32 v31, s30
	v_dual_mov_b32 v30, s29 :: v_dual_mov_b32 v29, s28
	;; [unrolled: 1-line block ×16, first 2 shown]
	s_and_saveexec_b32 s3, s2
	s_cbranch_execnz .LBB105_66
; %bb.47:                               ;   in Loop: Header=BB105_3 Depth=1
	s_or_b32 exec_lo, exec_lo, s3
	s_and_saveexec_b32 s3, s2
	s_cbranch_execnz .LBB105_67
.LBB105_48:                             ;   in Loop: Header=BB105_3 Depth=1
	s_or_b32 exec_lo, exec_lo, s3
	s_and_saveexec_b32 s3, s2
	s_cbranch_execnz .LBB105_68
.LBB105_49:                             ;   in Loop: Header=BB105_3 Depth=1
	s_or_b32 exec_lo, exec_lo, s3
	s_and_saveexec_b32 s3, s2
	s_cbranch_execnz .LBB105_69
.LBB105_50:                             ;   in Loop: Header=BB105_3 Depth=1
	s_or_b32 exec_lo, exec_lo, s3
	s_and_saveexec_b32 s3, s2
	s_cbranch_execnz .LBB105_70
.LBB105_51:                             ;   in Loop: Header=BB105_3 Depth=1
	s_or_b32 exec_lo, exec_lo, s3
	s_and_saveexec_b32 s3, s2
	s_cbranch_execnz .LBB105_71
.LBB105_52:                             ;   in Loop: Header=BB105_3 Depth=1
	s_or_b32 exec_lo, exec_lo, s3
	s_and_saveexec_b32 s3, s2
	s_cbranch_execnz .LBB105_72
.LBB105_53:                             ;   in Loop: Header=BB105_3 Depth=1
	s_or_b32 exec_lo, exec_lo, s3
	s_and_saveexec_b32 s3, s2
	s_cbranch_execnz .LBB105_73
.LBB105_54:                             ;   in Loop: Header=BB105_3 Depth=1
	s_or_b32 exec_lo, exec_lo, s3
	s_and_saveexec_b32 s3, s2
	s_cbranch_execnz .LBB105_74
.LBB105_55:                             ;   in Loop: Header=BB105_3 Depth=1
	s_or_b32 exec_lo, exec_lo, s3
	s_and_saveexec_b32 s3, s2
	s_cbranch_execnz .LBB105_75
.LBB105_56:                             ;   in Loop: Header=BB105_3 Depth=1
	s_or_b32 exec_lo, exec_lo, s3
	s_and_saveexec_b32 s3, s2
	s_cbranch_execnz .LBB105_76
.LBB105_57:                             ;   in Loop: Header=BB105_3 Depth=1
	s_or_b32 exec_lo, exec_lo, s3
	s_and_saveexec_b32 s3, s2
	s_cbranch_execnz .LBB105_77
.LBB105_58:                             ;   in Loop: Header=BB105_3 Depth=1
	s_or_b32 exec_lo, exec_lo, s3
	s_and_saveexec_b32 s3, s2
	s_cbranch_execnz .LBB105_78
.LBB105_59:                             ;   in Loop: Header=BB105_3 Depth=1
	s_or_b32 exec_lo, exec_lo, s3
	s_and_saveexec_b32 s3, s2
	s_cbranch_execnz .LBB105_79
.LBB105_60:                             ;   in Loop: Header=BB105_3 Depth=1
	s_or_b32 exec_lo, exec_lo, s3
	s_and_saveexec_b32 s3, s2
	s_cbranch_execnz .LBB105_80
.LBB105_61:                             ;   in Loop: Header=BB105_3 Depth=1
	s_or_b32 exec_lo, exec_lo, s3
	s_and_saveexec_b32 s3, s2
	s_cbranch_execz .LBB105_63
.LBB105_62:                             ;   in Loop: Header=BB105_3 Depth=1
	v_add_co_u32 v3, vcc_lo, v54, v49
	v_add_co_ci_u32_e32 v4, vcc_lo, v55, v50, vcc_lo
	v_add_co_u32 v5, vcc_lo, v56, v49
	v_add_co_ci_u32_e32 v6, vcc_lo, v57, v50, vcc_lo
	global_load_u16 v1, v[3:4], off
	global_load_u16 v3, v[5:6], off
	s_waitcnt vmcnt(1)
	v_lshlrev_b32_e32 v48, 16, v1
	s_waitcnt vmcnt(0)
	v_lshlrev_b32_e32 v32, 16, v3
.LBB105_63:                             ;   in Loop: Header=BB105_3 Depth=1
	s_or_b32 exec_lo, exec_lo, s3
	s_waitcnt vmcnt(1)
	ds_bpermute_b32 v1, v2, v122
	ds_bpermute_b32 v3, v2, v122 offset:4
	ds_bpermute_b32 v10, v2, v122 offset:12
	s_waitcnt vmcnt(0)
	ds_bpermute_b32 v4, v2, v123
	ds_bpermute_b32 v5, v2, v122 offset:8
	ds_bpermute_b32 v7, v2, v123 offset:4
	v_add_f32_e32 v6, v113, v33
	ds_bpermute_b32 v8, v2, v123 offset:8
	ds_bpermute_b32 v9, v2, v123 offset:12
	;; [unrolled: 1-line block ×10, first 2 shown]
	s_waitcnt lgkmcnt(15)
	v_sub_f32_e32 v1, v17, v1
	s_waitcnt lgkmcnt(13)
	v_dual_sub_f32 v3, v18, v3 :: v_dual_sub_f32 v10, v20, v10
	ds_bpermute_b32 v18, v2, v122 offset:32
	s_waitcnt lgkmcnt(12)
	v_sub_f32_e32 v5, v19, v5
	v_dual_mul_f32 v1, v33, v1 :: v_dual_add_f32 v6, v34, v6
	v_dual_mul_f32 v3, v34, v3 :: v_dual_mul_f32 v10, v36, v10
	ds_bpermute_b32 v17, v2, v123 offset:28
	v_dual_fmac_f32 v119, v1, v4 :: v_dual_add_f32 v6, v35, v6
	v_mul_f32_e32 v5, v35, v5
	ds_bpermute_b32 v1, v2, v122 offset:36
	ds_bpermute_b32 v33, v2, v123 offset:36
	s_waitcnt lgkmcnt(14)
	v_dual_fmac_f32 v119, v3, v7 :: v_dual_add_f32 v6, v36, v6
	ds_bpermute_b32 v3, v2, v122 offset:40
	ds_bpermute_b32 v4, v2, v123 offset:40
	v_add_f32_e32 v6, v37, v6
	s_waitcnt lgkmcnt(11)
	v_dual_fmac_f32 v119, v5, v8 :: v_dual_sub_f32 v8, v22, v14
	ds_bpermute_b32 v5, v2, v123 offset:44
	v_add_f32_e32 v6, v38, v6
	v_dual_fmac_f32 v119, v10, v9 :: v_dual_sub_f32 v10, v23, v16
	v_sub_f32_e32 v7, v21, v12
	v_mul_f32_e32 v8, v38, v8
	s_delay_alu instid0(VALU_DEP_4) | instskip(SKIP_4) | instid1(VALU_DEP_2)
	v_add_f32_e32 v6, v39, v6
	ds_bpermute_b32 v9, v2, v122 offset:44
	v_dual_mul_f32 v10, v39, v10 :: v_dual_mul_f32 v7, v37, v7
	s_waitcnt lgkmcnt(7)
	v_sub_f32_e32 v12, v25, v18
	v_dual_add_f32 v6, v40, v6 :: v_dual_fmac_f32 v119, v7, v11
	s_delay_alu instid0(VALU_DEP_2)
	v_dual_sub_f32 v11, v24, v113 :: v_dual_mul_f32 v12, v41, v12
	ds_bpermute_b32 v7, v2, v123 offset:48
	v_dual_add_f32 v6, v41, v6 :: v_dual_fmac_f32 v119, v8, v13
	v_mul_f32_e32 v11, v40, v11
	ds_bpermute_b32 v8, v2, v122 offset:48
	v_add_f32_e32 v6, v42, v6
	v_fmac_f32_e32 v119, v10, v15
	ds_bpermute_b32 v10, v2, v122 offset:52
	s_waitcnt lgkmcnt(8)
	v_dual_sub_f32 v1, v26, v1 :: v_dual_add_f32 v6, v43, v6
	v_fmac_f32_e32 v119, v11, v17
	ds_bpermute_b32 v11, v2, v123 offset:52
	v_dual_mul_f32 v1, v42, v1 :: v_dual_add_f32 v6, v44, v6
	v_fmac_f32_e32 v119, v12, v120
	ds_bpermute_b32 v12, v2, v122 offset:56
	s_waitcnt lgkmcnt(5)
	v_dual_sub_f32 v9, v28, v9 :: v_dual_add_f32 v6, v45, v6
	s_waitcnt lgkmcnt(2)
	v_dual_sub_f32 v3, v27, v3 :: v_dual_sub_f32 v10, v30, v10
	v_fmac_f32_e32 v119, v1, v33
	s_delay_alu instid0(VALU_DEP_3) | instskip(SKIP_3) | instid1(VALU_DEP_2)
	v_dual_sub_f32 v1, v29, v8 :: v_dual_mul_f32 v8, v44, v9
	ds_bpermute_b32 v9, v2, v123 offset:56
	v_mul_f32_e32 v3, v43, v3
	v_mul_f32_e32 v1, v45, v1
	v_fmac_f32_e32 v119, v3, v4
	ds_bpermute_b32 v3, v2, v123 offset:60
	ds_bpermute_b32 v4, v2, v122 offset:60
	v_fmac_f32_e32 v119, v8, v5
	v_mul_f32_e32 v5, v46, v10
	s_delay_alu instid0(VALU_DEP_2) | instskip(SKIP_2) | instid1(VALU_DEP_2)
	v_fmac_f32_e32 v119, v1, v7
	s_waitcnt lgkmcnt(3)
	v_sub_f32_e32 v1, v31, v12
	v_fmac_f32_e32 v119, v5, v11
	s_delay_alu instid0(VALU_DEP_2) | instskip(SKIP_2) | instid1(VALU_DEP_2)
	v_mul_f32_e32 v1, v47, v1
	v_add_f32_e32 v5, v46, v6
	s_waitcnt lgkmcnt(2)
	v_fmac_f32_e32 v119, v1, v9
	s_delay_alu instid0(VALU_DEP_2) | instskip(NEXT) | instid1(VALU_DEP_2)
	v_add_f32_e32 v5, v47, v5
	v_mov_b32_e32 v1, v119
.LBB105_64:                             ;   in Loop: Header=BB105_3 Depth=1
	v_add_co_u32 v54, vcc_lo, v54, s42
	v_add_co_ci_u32_e32 v55, vcc_lo, s43, v55, vcc_lo
	v_add_co_u32 v56, vcc_lo, v56, s42
	v_add_co_ci_u32_e32 v57, vcc_lo, s43, v57, vcc_lo
	;; [unrolled: 2-line block ×28, first 2 shown]
	v_add_co_u32 v110, vcc_lo, v110, s42
	s_waitcnt lgkmcnt(0)
	v_sub_f32_e32 v4, v32, v4
	v_add_co_ci_u32_e32 v111, vcc_lo, s43, v111, vcc_lo
	v_add_co_u32 v112, vcc_lo, v112, s42
	s_add_u32 s46, s46, s34
	v_add_co_ci_u32_e32 v114, vcc_lo, s43, v114, vcc_lo
	v_mul_f32_e32 v4, v48, v4
	s_addc_u32 s47, s47, 0
	v_add_co_u32 v115, vcc_lo, v115, s42
	v_cmp_lt_i64_e64 s3, s[46:47], s[4:5]
	v_add_co_ci_u32_e32 v116, vcc_lo, s43, v116, vcc_lo
	v_add_co_u32 v117, vcc_lo, v117, s42
	v_add_f32_e32 v113, v5, v48
	v_fmac_f32_e32 v1, v4, v3
	v_add_co_ci_u32_e32 v118, vcc_lo, s43, v118, vcc_lo
	s_add_u32 s44, s44, s34
	s_addc_u32 s45, s45, 0
	s_and_b32 vcc_lo, exec_lo, s3
	s_cbranch_vccz .LBB105_82
; %bb.65:                               ;   in Loop: Header=BB105_3 Depth=1
	v_mov_b32_e32 v119, v1
	s_branch .LBB105_3
.LBB105_66:                             ;   in Loop: Header=BB105_3 Depth=1
	v_add_co_u32 v3, vcc_lo, v115, v49
	v_add_co_ci_u32_e32 v4, vcc_lo, v116, v50, vcc_lo
	v_add_co_u32 v5, vcc_lo, v117, v49
	v_add_co_ci_u32_e32 v6, vcc_lo, v118, v50, vcc_lo
	v_mov_b32_e32 v16, v2
	global_load_u16 v1, v[3:4], off
	global_load_u16 v17, v[5:6], off
	v_mov_b32_e32 v3, v2
	v_mov_b32_e32 v4, v2
	v_mov_b32_e32 v5, v2
	v_mov_b32_e32 v6, v2
	v_mov_b32_e32 v7, v2
	v_mov_b32_e32 v8, v2
	v_mov_b32_e32 v9, v2
	v_mov_b32_e32 v10, v2
	v_mov_b32_e32 v11, v2
	v_mov_b32_e32 v12, v2
	v_mov_b32_e32 v13, v2
	v_mov_b32_e32 v14, v2
	v_mov_b32_e32 v15, v2
	v_mov_b32_e32 v27, v2
	v_mov_b32_e32 v29, v2
	v_mov_b32_e32 v31, v2
	s_waitcnt vmcnt(1)
	v_dual_mov_b32 v32, v2 :: v_dual_lshlrev_b32 v1, 16, v1
	s_waitcnt vmcnt(0)
	v_lshlrev_b32_e32 v17, 16, v17
	v_dual_mov_b32 v19, v2 :: v_dual_mov_b32 v48, v16
	v_dual_mov_b32 v18, v2 :: v_dual_mov_b32 v47, v15
	;; [unrolled: 1-line block ×12, first 2 shown]
	v_mov_b32_e32 v42, v10
	v_mov_b32_e32 v38, v6
	;; [unrolled: 1-line block ×3, first 2 shown]
	s_or_b32 exec_lo, exec_lo, s3
	s_and_saveexec_b32 s3, s2
	s_cbranch_execz .LBB105_48
.LBB105_67:                             ;   in Loop: Header=BB105_3 Depth=1
	v_add_co_u32 v3, vcc_lo, v110, v49
	v_add_co_ci_u32_e32 v4, vcc_lo, v111, v50, vcc_lo
	v_add_co_u32 v5, vcc_lo, v112, v49
	v_add_co_ci_u32_e32 v6, vcc_lo, v114, v50, vcc_lo
	global_load_u16 v1, v[3:4], off
	global_load_u16 v3, v[5:6], off
	s_waitcnt vmcnt(1)
	v_lshlrev_b32_e32 v34, 16, v1
	s_waitcnt vmcnt(0)
	v_lshlrev_b32_e32 v18, 16, v3
	s_or_b32 exec_lo, exec_lo, s3
	s_and_saveexec_b32 s3, s2
	s_cbranch_execz .LBB105_49
.LBB105_68:                             ;   in Loop: Header=BB105_3 Depth=1
	v_add_co_u32 v3, vcc_lo, v106, v49
	v_add_co_ci_u32_e32 v4, vcc_lo, v107, v50, vcc_lo
	v_add_co_u32 v5, vcc_lo, v108, v49
	v_add_co_ci_u32_e32 v6, vcc_lo, v109, v50, vcc_lo
	global_load_u16 v1, v[3:4], off
	global_load_u16 v3, v[5:6], off
	s_waitcnt vmcnt(1)
	v_lshlrev_b32_e32 v35, 16, v1
	s_waitcnt vmcnt(0)
	v_lshlrev_b32_e32 v19, 16, v3
	s_or_b32 exec_lo, exec_lo, s3
	s_and_saveexec_b32 s3, s2
	s_cbranch_execz .LBB105_50
.LBB105_69:                             ;   in Loop: Header=BB105_3 Depth=1
	v_add_co_u32 v3, vcc_lo, v102, v49
	v_add_co_ci_u32_e32 v4, vcc_lo, v103, v50, vcc_lo
	v_add_co_u32 v5, vcc_lo, v104, v49
	v_add_co_ci_u32_e32 v6, vcc_lo, v105, v50, vcc_lo
	global_load_u16 v1, v[3:4], off
	global_load_u16 v3, v[5:6], off
	s_waitcnt vmcnt(1)
	v_lshlrev_b32_e32 v36, 16, v1
	s_waitcnt vmcnt(0)
	v_lshlrev_b32_e32 v20, 16, v3
	s_or_b32 exec_lo, exec_lo, s3
	s_and_saveexec_b32 s3, s2
	s_cbranch_execz .LBB105_51
.LBB105_70:                             ;   in Loop: Header=BB105_3 Depth=1
	v_add_co_u32 v3, vcc_lo, v98, v49
	v_add_co_ci_u32_e32 v4, vcc_lo, v99, v50, vcc_lo
	v_add_co_u32 v5, vcc_lo, v100, v49
	v_add_co_ci_u32_e32 v6, vcc_lo, v101, v50, vcc_lo
	global_load_u16 v1, v[3:4], off
	global_load_u16 v3, v[5:6], off
	s_waitcnt vmcnt(1)
	v_lshlrev_b32_e32 v37, 16, v1
	s_waitcnt vmcnt(0)
	v_lshlrev_b32_e32 v21, 16, v3
	s_or_b32 exec_lo, exec_lo, s3
	s_and_saveexec_b32 s3, s2
	s_cbranch_execz .LBB105_52
.LBB105_71:                             ;   in Loop: Header=BB105_3 Depth=1
	v_add_co_u32 v3, vcc_lo, v94, v49
	v_add_co_ci_u32_e32 v4, vcc_lo, v95, v50, vcc_lo
	v_add_co_u32 v5, vcc_lo, v96, v49
	v_add_co_ci_u32_e32 v6, vcc_lo, v97, v50, vcc_lo
	global_load_u16 v1, v[3:4], off
	global_load_u16 v3, v[5:6], off
	s_waitcnt vmcnt(1)
	v_lshlrev_b32_e32 v38, 16, v1
	s_waitcnt vmcnt(0)
	v_lshlrev_b32_e32 v22, 16, v3
	s_or_b32 exec_lo, exec_lo, s3
	s_and_saveexec_b32 s3, s2
	s_cbranch_execz .LBB105_53
.LBB105_72:                             ;   in Loop: Header=BB105_3 Depth=1
	v_add_co_u32 v3, vcc_lo, v90, v49
	v_add_co_ci_u32_e32 v4, vcc_lo, v91, v50, vcc_lo
	v_add_co_u32 v5, vcc_lo, v92, v49
	v_add_co_ci_u32_e32 v6, vcc_lo, v93, v50, vcc_lo
	global_load_u16 v1, v[3:4], off
	global_load_u16 v3, v[5:6], off
	s_waitcnt vmcnt(1)
	v_lshlrev_b32_e32 v39, 16, v1
	s_waitcnt vmcnt(0)
	v_lshlrev_b32_e32 v23, 16, v3
	s_or_b32 exec_lo, exec_lo, s3
	s_and_saveexec_b32 s3, s2
	s_cbranch_execz .LBB105_54
.LBB105_73:                             ;   in Loop: Header=BB105_3 Depth=1
	v_add_co_u32 v3, vcc_lo, v86, v49
	v_add_co_ci_u32_e32 v4, vcc_lo, v87, v50, vcc_lo
	v_add_co_u32 v5, vcc_lo, v88, v49
	v_add_co_ci_u32_e32 v6, vcc_lo, v89, v50, vcc_lo
	global_load_u16 v1, v[3:4], off
	global_load_u16 v3, v[5:6], off
	s_waitcnt vmcnt(1)
	v_lshlrev_b32_e32 v40, 16, v1
	s_waitcnt vmcnt(0)
	v_lshlrev_b32_e32 v24, 16, v3
	s_or_b32 exec_lo, exec_lo, s3
	s_and_saveexec_b32 s3, s2
	s_cbranch_execz .LBB105_55
.LBB105_74:                             ;   in Loop: Header=BB105_3 Depth=1
	v_add_co_u32 v3, vcc_lo, v82, v49
	v_add_co_ci_u32_e32 v4, vcc_lo, v83, v50, vcc_lo
	v_add_co_u32 v5, vcc_lo, v84, v49
	v_add_co_ci_u32_e32 v6, vcc_lo, v85, v50, vcc_lo
	global_load_u16 v1, v[3:4], off
	global_load_u16 v3, v[5:6], off
	s_waitcnt vmcnt(1)
	v_lshlrev_b32_e32 v41, 16, v1
	s_waitcnt vmcnt(0)
	v_lshlrev_b32_e32 v25, 16, v3
	s_or_b32 exec_lo, exec_lo, s3
	s_and_saveexec_b32 s3, s2
	s_cbranch_execz .LBB105_56
.LBB105_75:                             ;   in Loop: Header=BB105_3 Depth=1
	v_add_co_u32 v3, vcc_lo, v78, v49
	v_add_co_ci_u32_e32 v4, vcc_lo, v79, v50, vcc_lo
	v_add_co_u32 v5, vcc_lo, v80, v49
	v_add_co_ci_u32_e32 v6, vcc_lo, v81, v50, vcc_lo
	global_load_u16 v1, v[3:4], off
	global_load_u16 v3, v[5:6], off
	s_waitcnt vmcnt(1)
	v_lshlrev_b32_e32 v42, 16, v1
	s_waitcnt vmcnt(0)
	v_lshlrev_b32_e32 v26, 16, v3
	s_or_b32 exec_lo, exec_lo, s3
	s_and_saveexec_b32 s3, s2
	s_cbranch_execz .LBB105_57
.LBB105_76:                             ;   in Loop: Header=BB105_3 Depth=1
	v_add_co_u32 v3, vcc_lo, v74, v49
	v_add_co_ci_u32_e32 v4, vcc_lo, v75, v50, vcc_lo
	v_add_co_u32 v5, vcc_lo, v76, v49
	v_add_co_ci_u32_e32 v6, vcc_lo, v77, v50, vcc_lo
	global_load_u16 v1, v[3:4], off
	global_load_u16 v3, v[5:6], off
	s_waitcnt vmcnt(1)
	v_lshlrev_b32_e32 v43, 16, v1
	s_waitcnt vmcnt(0)
	v_lshlrev_b32_e32 v27, 16, v3
	s_or_b32 exec_lo, exec_lo, s3
	s_and_saveexec_b32 s3, s2
	s_cbranch_execz .LBB105_58
.LBB105_77:                             ;   in Loop: Header=BB105_3 Depth=1
	v_add_co_u32 v3, vcc_lo, v70, v49
	v_add_co_ci_u32_e32 v4, vcc_lo, v71, v50, vcc_lo
	v_add_co_u32 v5, vcc_lo, v72, v49
	v_add_co_ci_u32_e32 v6, vcc_lo, v73, v50, vcc_lo
	global_load_u16 v1, v[3:4], off
	global_load_u16 v3, v[5:6], off
	s_waitcnt vmcnt(1)
	v_lshlrev_b32_e32 v44, 16, v1
	s_waitcnt vmcnt(0)
	v_lshlrev_b32_e32 v28, 16, v3
	s_or_b32 exec_lo, exec_lo, s3
	s_and_saveexec_b32 s3, s2
	s_cbranch_execz .LBB105_59
.LBB105_78:                             ;   in Loop: Header=BB105_3 Depth=1
	v_add_co_u32 v3, vcc_lo, v66, v49
	v_add_co_ci_u32_e32 v4, vcc_lo, v67, v50, vcc_lo
	v_add_co_u32 v5, vcc_lo, v68, v49
	v_add_co_ci_u32_e32 v6, vcc_lo, v69, v50, vcc_lo
	global_load_u16 v1, v[3:4], off
	global_load_u16 v3, v[5:6], off
	s_waitcnt vmcnt(1)
	v_lshlrev_b32_e32 v45, 16, v1
	s_waitcnt vmcnt(0)
	v_lshlrev_b32_e32 v29, 16, v3
	s_or_b32 exec_lo, exec_lo, s3
	s_and_saveexec_b32 s3, s2
	s_cbranch_execz .LBB105_60
.LBB105_79:                             ;   in Loop: Header=BB105_3 Depth=1
	v_add_co_u32 v3, vcc_lo, v62, v49
	v_add_co_ci_u32_e32 v4, vcc_lo, v63, v50, vcc_lo
	v_add_co_u32 v5, vcc_lo, v64, v49
	v_add_co_ci_u32_e32 v6, vcc_lo, v65, v50, vcc_lo
	global_load_u16 v1, v[3:4], off
	global_load_u16 v3, v[5:6], off
	s_waitcnt vmcnt(1)
	v_lshlrev_b32_e32 v46, 16, v1
	s_waitcnt vmcnt(0)
	v_lshlrev_b32_e32 v30, 16, v3
	s_or_b32 exec_lo, exec_lo, s3
	s_and_saveexec_b32 s3, s2
	s_cbranch_execz .LBB105_61
.LBB105_80:                             ;   in Loop: Header=BB105_3 Depth=1
	v_add_co_u32 v3, vcc_lo, v58, v49
	v_add_co_ci_u32_e32 v4, vcc_lo, v59, v50, vcc_lo
	v_add_co_u32 v5, vcc_lo, v60, v49
	v_add_co_ci_u32_e32 v6, vcc_lo, v61, v50, vcc_lo
	global_load_u16 v1, v[3:4], off
	global_load_u16 v3, v[5:6], off
	s_waitcnt vmcnt(1)
	v_lshlrev_b32_e32 v47, 16, v1
	s_waitcnt vmcnt(0)
	v_lshlrev_b32_e32 v31, 16, v3
	s_or_b32 exec_lo, exec_lo, s3
	s_and_saveexec_b32 s3, s2
	s_cbranch_execnz .LBB105_62
	s_branch .LBB105_63
.LBB105_81:
	s_mov_b32 s35, -1
                                        ; implicit-def: $vgpr1
                                        ; implicit-def: $vgpr113
.LBB105_82:
	s_delay_alu instid0(SALU_CYCLE_1)
	s_and_not1_b32 vcc_lo, exec_lo, s35
	s_cbranch_vccnz .LBB105_131
; %bb.83:
	v_mov_b32_e32 v1, 0
	v_mov_b32_e32 v113, 0
	s_and_not1_b32 vcc_lo, exec_lo, s15
	s_mov_b32 s16, 0
	s_cbranch_vccnz .LBB105_131
; %bb.84:
	s_load_b32 s15, s[0:1], 0x44
	v_bfe_u32 v111, v0, 10, 10
	s_add_u32 s2, s0, 64
	s_addc_u32 s3, s1, 0
	v_dual_mov_b32 v179, 0 :: v_dual_and_b32 v174, 0x3ff, v0
	s_delay_alu instid0(VALU_DEP_2)
	v_lshlrev_b32_e32 v1, 5, v111
	v_lshlrev_b32_e32 v112, 4, v111
	v_mov_b32_e32 v180, 0
	s_waitcnt lgkmcnt(0)
	s_lshl_b32 s15, s15, 8
	s_add_u32 s34, s12, 0xff
	s_addc_u32 s35, 0, 0
	s_lshl_b64 s[18:19], s[12:13], 1
	s_delay_alu instid0(SALU_CYCLE_1) | instskip(NEXT) | instid1(VALU_DEP_1)
	v_add_co_u32 v1, s17, v1, s18
	v_add_co_ci_u32_e64 v2, null, 0, s19, s17
	v_add_co_u32 v46, s17, v112, s12
	s_delay_alu instid0(VALU_DEP_3) | instskip(NEXT) | instid1(VALU_DEP_3)
	v_add_co_u32 v3, vcc_lo, v1, 2
	v_add_co_ci_u32_e32 v4, vcc_lo, 0, v2, vcc_lo
	v_add_co_u32 v5, vcc_lo, v1, 4
	v_add_co_ci_u32_e32 v6, vcc_lo, 0, v2, vcc_lo
	;; [unrolled: 2-line block ×13, first 2 shown]
	v_add_co_u32 v42, vcc_lo, v1, 28
	v_mad_u64_u32 v[53:54], null, s6, v7, s[8:9]
	v_mul_lo_u32 v8, s6, v8
	v_mul_lo_u32 v11, s7, v7
	v_mad_u64_u32 v[83:84], null, s6, v7, s[10:11]
	v_add_co_ci_u32_e32 v43, vcc_lo, 0, v2, vcc_lo
	v_mad_u64_u32 v[51:52], null, s6, v5, s[8:9]
	v_mul_lo_u32 v6, s6, v6
	v_mul_lo_u32 v10, s7, v5
	v_add_co_u32 v45, vcc_lo, v1, 30
	v_add_co_ci_u32_e64 v47, null, 0, 0, s17
	v_mad_u64_u32 v[81:82], null, s6, v5, s[10:11]
	v_add_co_ci_u32_e32 v1, vcc_lo, 0, v2, vcc_lo
	v_add_co_u32 v5, vcc_lo, v46, 15
	v_mad_u64_u32 v[49:50], null, s6, v3, s[8:9]
	v_mul_lo_u32 v4, s6, v4
	v_mul_lo_u32 v9, s7, v3
	v_mad_u64_u32 v[79:80], null, s6, v3, s[10:11]
	v_add_co_ci_u32_e32 v3, vcc_lo, 0, v47, vcc_lo
	v_add3_u32 v54, v11, v54, v8
	v_add3_u32 v84, v11, v84, v8
	v_add_co_u32 v8, vcc_lo, v46, 14
	v_add3_u32 v52, v10, v52, v6
	v_add3_u32 v82, v10, v82, v6
	v_add_co_ci_u32_e32 v6, vcc_lo, 0, v47, vcc_lo
	v_add3_u32 v50, v9, v50, v4
	v_add3_u32 v80, v9, v80, v4
	v_mul_lo_u32 v7, s7, v5
	v_mul_lo_u32 v9, s6, v3
	v_mad_u64_u32 v[3:4], null, s6, v5, 0
	v_mul_lo_u32 v10, s7, v8
	v_mul_lo_u32 v11, s6, v6
	v_mad_u64_u32 v[5:6], null, s6, v8, 0
	v_mul_lo_u32 v48, s6, v1
	v_mul_lo_u32 v89, s7, v46
	;; [unrolled: 1-line block ×3, first 2 shown]
	v_mad_u64_u32 v[1:2], null, s6, v46, 0
	v_mad_u64_u32 v[55:56], null, s6, v12, s[8:9]
	v_mul_lo_u32 v13, s6, v13
	v_mul_lo_u32 v16, s7, v12
	v_mad_u64_u32 v[85:86], null, s6, v12, s[10:11]
	v_mad_u64_u32 v[57:58], null, s6, v14, s[8:9]
	v_mul_lo_u32 v15, s6, v15
	v_mul_lo_u32 v18, s7, v14
	v_mad_u64_u32 v[87:88], null, s6, v14, s[10:11]
	v_add_co_u32 v12, vcc_lo, v46, 13
	v_add_co_ci_u32_e32 v8, vcc_lo, 0, v47, vcc_lo
	v_add3_u32 v6, v6, v11, v10
	v_add_co_u32 v11, vcc_lo, v46, 12
	v_mad_u64_u32 v[59:60], null, s6, v17, s[8:9]
	v_mul_lo_u32 v19, s6, v19
	v_mul_lo_u32 v22, s7, v17
	v_add3_u32 v2, v2, v90, v89
	v_mad_u64_u32 v[89:90], null, s6, v17, s[10:11]
	v_mad_u64_u32 v[61:62], null, s6, v20, s[8:9]
	v_mul_lo_u32 v21, s6, v21
	v_mul_lo_u32 v24, s7, v20
	v_mad_u64_u32 v[91:92], null, s6, v20, s[10:11]
	v_add3_u32 v4, v4, v9, v7
	v_add_co_ci_u32_e32 v9, vcc_lo, 0, v47, vcc_lo
	v_add3_u32 v56, v16, v56, v13
	v_add3_u32 v86, v16, v86, v13
	v_add_co_u32 v13, vcc_lo, v46, 11
	v_add3_u32 v58, v18, v58, v15
	v_add3_u32 v88, v18, v88, v15
	v_mul_lo_u32 v17, s7, v12
	v_mul_lo_u32 v18, s6, v8
	v_mad_u64_u32 v[7:8], null, s6, v12, 0
	v_add_co_ci_u32_e32 v12, vcc_lo, 0, v47, vcc_lo
	v_mad_u64_u32 v[63:64], null, s6, v23, s[8:9]
	v_mul_lo_u32 v25, s6, v25
	v_mul_lo_u32 v28, s7, v23
	v_mad_u64_u32 v[93:94], null, s6, v23, s[10:11]
	v_add_co_u32 v15, vcc_lo, v46, 10
	v_add3_u32 v60, v22, v60, v19
	v_add3_u32 v90, v22, v90, v19
	v_mul_lo_u32 v19, s7, v11
	v_mul_lo_u32 v20, s6, v9
	v_mad_u64_u32 v[9:10], null, s6, v11, 0
	v_add3_u32 v62, v24, v62, v21
	v_add3_u32 v92, v24, v92, v21
	v_mul_lo_u32 v21, s7, v13
	v_mul_lo_u32 v22, s6, v12
	v_mad_u64_u32 v[11:12], null, s6, v13, 0
	v_add_co_ci_u32_e32 v13, vcc_lo, 0, v47, vcc_lo
	v_add_co_u32 v24, vcc_lo, v46, 9
	v_add3_u32 v64, v28, v64, v25
	v_add3_u32 v94, v28, v94, v25
	v_mul_lo_u32 v23, s7, v15
	v_mul_lo_u32 v25, s6, v13
	v_mad_u64_u32 v[13:14], null, s6, v15, 0
	v_add_co_ci_u32_e32 v16, vcc_lo, 0, v47, vcc_lo
	v_add3_u32 v10, v10, v20, v19
	v_add_co_u32 v19, vcc_lo, v46, 8
	v_add3_u32 v8, v8, v18, v17
	v_add_co_ci_u32_e32 v17, vcc_lo, 0, v47, vcc_lo
	v_add3_u32 v12, v12, v22, v21
	v_add_co_u32 v21, vcc_lo, v46, 7
	v_mad_u64_u32 v[67:68], null, s6, v30, s[8:9]
	v_mul_lo_u32 v31, s6, v31
	v_mul_lo_u32 v34, s7, v30
	v_mad_u64_u32 v[69:70], null, s6, v32, s[8:9]
	v_mul_lo_u32 v33, s6, v33
	v_mul_lo_u32 v36, s7, v32
	;; [unrolled: 3-line block ×3, first 2 shown]
	v_mad_u64_u32 v[97:98], null, s6, v30, s[10:11]
	v_mad_u64_u32 v[99:100], null, s6, v32, s[10:11]
	;; [unrolled: 1-line block ×3, first 2 shown]
	v_add_co_ci_u32_e32 v20, vcc_lo, 0, v47, vcc_lo
	v_mad_u64_u32 v[65:66], null, s6, v26, s[8:9]
	v_mul_lo_u32 v27, s6, v27
	v_mul_lo_u32 v29, s7, v26
	v_mad_u64_u32 v[95:96], null, s6, v26, s[10:11]
	v_add3_u32 v14, v14, v25, v23
	v_add_co_u32 v23, vcc_lo, v46, 6
	v_add_co_ci_u32_e32 v22, vcc_lo, 0, v47, vcc_lo
	v_add_co_u32 v25, vcc_lo, v46, 5
	v_mad_u64_u32 v[73:74], null, s6, v38, s[8:9]
	v_mul_lo_u32 v39, s6, v39
	v_mul_lo_u32 v41, s7, v38
	v_add3_u32 v68, v34, v68, v31
	v_add3_u32 v70, v36, v70, v33
	;; [unrolled: 1-line block ×3, first 2 shown]
	v_mad_u64_u32 v[103:104], null, s6, v38, s[10:11]
	v_add3_u32 v98, v34, v98, v31
	v_add3_u32 v100, v36, v100, v33
	;; [unrolled: 1-line block ×3, first 2 shown]
	v_mul_lo_u32 v33, s7, v19
	v_mul_lo_u32 v34, s6, v17
	v_mad_u64_u32 v[17:18], null, s6, v19, 0
	v_mul_lo_u32 v35, s7, v21
	v_mul_lo_u32 v36, s6, v20
	v_mad_u64_u32 v[19:20], null, s6, v21, 0
	;; [unrolled: 3-line block ×3, first 2 shown]
	v_add_co_ci_u32_e32 v23, vcc_lo, 0, v47, vcc_lo
	v_add3_u32 v66, v29, v66, v27
	v_mad_u64_u32 v[75:76], null, s6, v42, s[8:9]
	v_mul_lo_u32 v43, s6, v43
	v_mul_lo_u32 v44, s7, v42
	v_add3_u32 v96, v29, v96, v27
	v_mad_u64_u32 v[105:106], null, s6, v42, s[10:11]
	v_mul_lo_u32 v31, s7, v24
	v_mul_lo_u32 v32, s6, v16
	v_mad_u64_u32 v[15:16], null, s6, v24, 0
	v_add_co_u32 v27, vcc_lo, v46, 4
	v_add_co_ci_u32_e32 v26, vcc_lo, 0, v47, vcc_lo
	v_add_co_u32 v29, vcc_lo, v46, 3
	v_add3_u32 v74, v41, v74, v39
	v_add3_u32 v104, v41, v104, v39
	v_mul_lo_u32 v39, s7, v25
	v_mul_lo_u32 v40, s6, v23
	v_mad_u64_u32 v[23:24], null, s6, v25, 0
	v_mul_lo_u32 v41, s7, v27
	v_mul_lo_u32 v42, s6, v26
	v_mad_u64_u32 v[25:26], null, s6, v27, 0
	v_add_co_ci_u32_e32 v27, vcc_lo, 0, v47, vcc_lo
	v_add3_u32 v76, v44, v76, v43
	v_add3_u32 v106, v44, v106, v43
	v_add_co_u32 v43, vcc_lo, v46, 2
	v_add3_u32 v16, v16, v32, v31
	v_lshlrev_b64 v[31:32], 1, v[1:2]
	v_add_co_ci_u32_e32 v30, vcc_lo, 0, v47, vcc_lo
	v_add_co_u32 v1, vcc_lo, v1, s6
	v_add_co_ci_u32_e32 v2, vcc_lo, s7, v2, vcc_lo
	s_delay_alu instid0(VALU_DEP_4) | instskip(SKIP_4) | instid1(VALU_DEP_4)
	v_add_co_u32 v114, vcc_lo, s8, v31
	v_lshlrev_b64 v[3:4], 1, v[3:4]
	v_add_co_ci_u32_e32 v115, vcc_lo, s9, v32, vcc_lo
	v_add_co_u32 v116, vcc_lo, s10, v31
	v_add_co_ci_u32_e32 v117, vcc_lo, s11, v32, vcc_lo
	v_add_co_u32 v118, vcc_lo, s8, v3
	v_lshlrev_b64 v[5:6], 1, v[5:6]
	v_add_co_ci_u32_e32 v119, vcc_lo, s9, v4, vcc_lo
	v_add_co_u32 v120, vcc_lo, s10, v3
	v_add_co_ci_u32_e32 v121, vcc_lo, s11, v4, vcc_lo
	s_delay_alu instid0(VALU_DEP_4) | instskip(SKIP_4) | instid1(VALU_DEP_4)
	v_add_co_u32 v122, vcc_lo, s8, v5
	v_lshlrev_b64 v[3:4], 1, v[7:8]
	v_add_co_ci_u32_e32 v123, vcc_lo, s9, v6, vcc_lo
	v_add_co_u32 v124, vcc_lo, s10, v5
	v_add_co_ci_u32_e32 v125, vcc_lo, s11, v6, vcc_lo
	v_add_co_u32 v126, vcc_lo, s8, v3
	;; [unrolled: 11-line block ×3, first 2 shown]
	v_lshlrev_b64 v[5:6], 1, v[13:14]
	v_add_co_ci_u32_e32 v135, vcc_lo, s9, v4, vcc_lo
	v_add_co_u32 v136, vcc_lo, s10, v3
	v_add_co_ci_u32_e32 v137, vcc_lo, s11, v4, vcc_lo
	s_delay_alu instid0(VALU_DEP_4)
	v_add_co_u32 v138, vcc_lo, s8, v5
	v_lshlrev_b64 v[3:4], 1, v[15:16]
	v_add3_u32 v18, v18, v34, v33
	v_add_co_ci_u32_e32 v139, vcc_lo, s9, v6, vcc_lo
	v_add_co_u32 v140, vcc_lo, s10, v5
	v_add_co_ci_u32_e32 v141, vcc_lo, s11, v6, vcc_lo
	v_add_co_u32 v142, vcc_lo, s8, v3
	v_lshlrev_b64 v[5:6], 1, v[17:18]
	v_add3_u32 v20, v20, v36, v35
	v_add_co_ci_u32_e32 v143, vcc_lo, s9, v4, vcc_lo
	v_add_co_u32 v144, vcc_lo, s10, v3
	v_add_co_ci_u32_e32 v145, vcc_lo, s11, v4, vcc_lo
	;; [unrolled: 6-line block ×3, first 2 shown]
	v_add_co_u32 v150, vcc_lo, s8, v3
	v_lshlrev_b64 v[5:6], 1, v[21:22]
	v_add3_u32 v24, v24, v40, v39
	v_add_co_ci_u32_e32 v151, vcc_lo, s9, v4, vcc_lo
	v_add_co_u32 v152, vcc_lo, s10, v3
	v_mad_u64_u32 v[77:78], null, s6, v45, s[8:9]
	v_mul_lo_u32 v109, s7, v45
	v_mad_u64_u32 v[107:108], null, s6, v45, s[10:11]
	v_mul_lo_u32 v44, s6, v27
	v_mul_lo_u32 v45, s7, v29
	v_mad_u64_u32 v[27:28], null, s6, v29, 0
	v_add_co_ci_u32_e32 v153, vcc_lo, s11, v4, vcc_lo
	v_add_co_u32 v154, vcc_lo, s8, v5
	v_lshlrev_b64 v[3:4], 1, v[23:24]
	v_add3_u32 v26, v26, v42, v41
	v_add_co_ci_u32_e32 v155, vcc_lo, s9, v6, vcc_lo
	v_add_co_u32 v156, vcc_lo, s10, v5
	v_mul_lo_u32 v46, s6, v30
	v_mul_lo_u32 v47, s7, v43
	v_mad_u64_u32 v[29:30], null, s6, v43, 0
	v_add_co_ci_u32_e32 v157, vcc_lo, s11, v6, vcc_lo
	v_add_co_u32 v158, vcc_lo, s8, v3
	v_lshlrev_b64 v[5:6], 1, v[25:26]
	v_add3_u32 v28, v28, v44, v45
	v_add_co_ci_u32_e32 v159, vcc_lo, s9, v4, vcc_lo
	v_add_co_u32 v160, vcc_lo, s10, v3
	v_add_co_ci_u32_e32 v161, vcc_lo, s11, v4, vcc_lo
	v_add_co_u32 v162, vcc_lo, s8, v5
	v_lshlrev_b64 v[3:4], 1, v[27:28]
	v_add3_u32 v30, v30, v46, v47
	v_add_co_ci_u32_e32 v163, vcc_lo, s9, v6, vcc_lo
	v_add_co_u32 v164, vcc_lo, s10, v5
	v_add_co_ci_u32_e32 v165, vcc_lo, s11, v6, vcc_lo
	v_add_co_u32 v166, vcc_lo, s8, v3
	v_lshlrev_b64 v[5:6], 1, v[29:30]
	v_add_co_ci_u32_e32 v167, vcc_lo, s9, v4, vcc_lo
	v_add_co_u32 v168, vcc_lo, s10, v3
	v_add_co_ci_u32_e32 v169, vcc_lo, s11, v4, vcc_lo
	s_delay_alu instid0(VALU_DEP_4)
	v_add_co_u32 v170, vcc_lo, s8, v5
	v_lshlrev_b64 v[3:4], 1, v[1:2]
	v_add_co_ci_u32_e32 v171, vcc_lo, s9, v6, vcc_lo
	v_add_co_u32 v172, vcc_lo, s10, v5
	v_add_co_ci_u32_e32 v173, vcc_lo, s11, v6, vcc_lo
	v_dual_mov_b32 v2, 0 :: v_dual_add_nc_u32 v1, s33, v174
	v_add_co_u32 v175, vcc_lo, s8, v3
	v_add_co_ci_u32_e32 v176, vcc_lo, s9, v4, vcc_lo
	v_add_co_u32 v177, vcc_lo, s10, v3
	v_add3_u32 v78, v109, v78, v48
	v_add3_u32 v108, v109, v108, v48
	s_mul_i32 s8, s7, s15
	s_mul_hi_u32 s9, s6, s15
	v_lshlrev_b64 v[109:110], 1, v[1:2]
	v_add_co_ci_u32_e32 v178, vcc_lo, s11, v4, vcc_lo
	s_add_i32 s9, s9, s8
	s_mul_i32 s8, s6, s15
	s_delay_alu instid0(SALU_CYCLE_1)
	s_lshl_b64 s[8:9], s[8:9], 1
.LBB105_85:                             ; =>This Inner Loop Header: Depth=1
	v_cmp_ge_i64_e64 s10, s[34:35], s[4:5]
	v_add_co_u32 v181, s11, v112, s34
	s_delay_alu instid0(VALU_DEP_1) | instskip(NEXT) | instid1(VALU_DEP_3)
	v_add_co_ci_u32_e64 v182, null, 0, s35, s11
	s_and_b32 vcc_lo, exec_lo, s10
	s_cbranch_vccz .LBB105_123
; %bb.86:                               ;   in Loop: Header=BB105_85 Depth=1
	s_load_b32 s10, s[2:3], 0xc
	v_mov_b32_e32 v113, 0
	v_mov_b32_e32 v183, 0
	s_waitcnt lgkmcnt(0)
	s_and_b32 s10, s10, 0xffff
	s_delay_alu instid0(SALU_CYCLE_1) | instskip(SKIP_1) | instid1(VALU_DEP_1)
	v_mad_u32_u24 v1, v111, s10, v174
	s_mov_b32 s10, exec_lo
	v_and_b32_e32 v1, 31, v1
	s_delay_alu instid0(VALU_DEP_1)
	v_cmpx_gt_u32_e32 16, v1
	s_cbranch_execz .LBB105_90
; %bb.87:                               ;   in Loop: Header=BB105_85 Depth=1
	v_add_co_u32 v1, vcc_lo, v181, v1
	v_add_co_ci_u32_e32 v4, vcc_lo, 0, v182, vcc_lo
	v_mov_b32_e32 v183, 0
	s_delay_alu instid0(VALU_DEP_3) | instskip(NEXT) | instid1(VALU_DEP_3)
	v_add_co_u32 v3, vcc_lo, 0xffffff01, v1
	v_add_co_ci_u32_e32 v4, vcc_lo, -1, v4, vcc_lo
	v_mov_b32_e32 v113, 0
	s_mov_b32 s11, exec_lo
	s_delay_alu instid0(VALU_DEP_2)
	v_cmpx_gt_i64_e64 s[4:5], v[3:4]
	s_cbranch_execz .LBB105_89
; %bb.88:                               ;   in Loop: Header=BB105_85 Depth=1
	v_lshlrev_b64 v[3:4], 2, v[3:4]
	s_delay_alu instid0(VALU_DEP_1) | instskip(NEXT) | instid1(VALU_DEP_2)
	v_add_co_u32 v5, vcc_lo, s36, v3
	v_add_co_ci_u32_e32 v6, vcc_lo, s37, v4, vcc_lo
	v_add_co_u32 v3, vcc_lo, s38, v3
	v_add_co_ci_u32_e32 v4, vcc_lo, s39, v4, vcc_lo
	global_load_b32 v183, v[5:6], off
	global_load_b32 v113, v[3:4], off
.LBB105_89:                             ;   in Loop: Header=BB105_85 Depth=1
	s_or_b32 exec_lo, exec_lo, s11
.LBB105_90:                             ;   in Loop: Header=BB105_85 Depth=1
	s_delay_alu instid0(SALU_CYCLE_1)
	s_or_b32 exec_lo, exec_lo, s10
	s_mov_b32 s31, s16
	s_mov_b32 s17, s16
	;; [unrolled: 1-line block ×15, first 2 shown]
	s_delay_alu instid0(SALU_CYCLE_1)
	v_dual_mov_b32 v32, s31 :: v_dual_mov_b32 v31, s30
	v_dual_mov_b32 v30, s29 :: v_dual_mov_b32 v29, s28
	;; [unrolled: 1-line block ×8, first 2 shown]
	v_add_co_u32 v3, vcc_lo, 0xffffff01, v181
	v_dual_mov_b32 v48, v32 :: v_dual_mov_b32 v47, v31
	v_add_co_ci_u32_e32 v4, vcc_lo, -1, v182, vcc_lo
	v_dual_mov_b32 v46, v30 :: v_dual_mov_b32 v45, v29
	v_dual_mov_b32 v44, v28 :: v_dual_mov_b32 v43, v27
	;; [unrolled: 1-line block ×7, first 2 shown]
	s_mov_b32 s10, exec_lo
	v_cmpx_gt_i64_e64 s[4:5], v[3:4]
	s_cbranch_execz .LBB105_92
; %bb.91:                               ;   in Loop: Header=BB105_85 Depth=1
	v_add_co_u32 v3, vcc_lo, v114, v109
	v_add_co_ci_u32_e32 v4, vcc_lo, v115, v110, vcc_lo
	v_add_co_u32 v5, vcc_lo, v116, v109
	v_add_co_ci_u32_e32 v6, vcc_lo, v117, v110, vcc_lo
	v_mov_b32_e32 v16, v2
	global_load_u16 v1, v[3:4], off
	global_load_u16 v17, v[5:6], off
	v_mov_b32_e32 v3, v2
	v_mov_b32_e32 v4, v2
	;; [unrolled: 1-line block ×16, first 2 shown]
	s_waitcnt vmcnt(1)
	v_dual_mov_b32 v32, v2 :: v_dual_lshlrev_b32 v1, 16, v1
	s_waitcnt vmcnt(0)
	v_lshlrev_b32_e32 v17, 16, v17
	v_dual_mov_b32 v19, v2 :: v_dual_mov_b32 v48, v16
	v_dual_mov_b32 v18, v2 :: v_dual_mov_b32 v47, v15
	;; [unrolled: 1-line block ×12, first 2 shown]
	v_mov_b32_e32 v42, v10
	v_mov_b32_e32 v38, v6
	;; [unrolled: 1-line block ×3, first 2 shown]
.LBB105_92:                             ;   in Loop: Header=BB105_85 Depth=1
	s_or_b32 exec_lo, exec_lo, s10
	v_add_co_u32 v3, vcc_lo, 0xffffff02, v181
	v_add_co_ci_u32_e32 v4, vcc_lo, -1, v182, vcc_lo
	s_mov_b32 s10, exec_lo
	s_delay_alu instid0(VALU_DEP_1)
	v_cmpx_gt_i64_e64 s[4:5], v[3:4]
	s_cbranch_execz .LBB105_94
; %bb.93:                               ;   in Loop: Header=BB105_85 Depth=1
	v_add_co_u32 v3, vcc_lo, v175, v109
	v_add_co_ci_u32_e32 v4, vcc_lo, v176, v110, vcc_lo
	v_add_co_u32 v5, vcc_lo, v177, v109
	v_add_co_ci_u32_e32 v6, vcc_lo, v178, v110, vcc_lo
	global_load_u16 v1, v[3:4], off
	global_load_u16 v3, v[5:6], off
	s_waitcnt vmcnt(1)
	v_lshlrev_b32_e32 v34, 16, v1
	s_waitcnt vmcnt(0)
	v_lshlrev_b32_e32 v18, 16, v3
.LBB105_94:                             ;   in Loop: Header=BB105_85 Depth=1
	s_or_b32 exec_lo, exec_lo, s10
	v_add_co_u32 v3, vcc_lo, 0xffffff03, v181
	v_add_co_ci_u32_e32 v4, vcc_lo, -1, v182, vcc_lo
	s_mov_b32 s10, exec_lo
	s_delay_alu instid0(VALU_DEP_1)
	v_cmpx_gt_i64_e64 s[4:5], v[3:4]
	s_cbranch_execz .LBB105_96
; %bb.95:                               ;   in Loop: Header=BB105_85 Depth=1
	v_add_co_u32 v3, vcc_lo, v170, v109
	v_add_co_ci_u32_e32 v4, vcc_lo, v171, v110, vcc_lo
	v_add_co_u32 v5, vcc_lo, v172, v109
	v_add_co_ci_u32_e32 v6, vcc_lo, v173, v110, vcc_lo
	global_load_u16 v1, v[3:4], off
	global_load_u16 v3, v[5:6], off
	s_waitcnt vmcnt(1)
	v_lshlrev_b32_e32 v35, 16, v1
	s_waitcnt vmcnt(0)
	v_lshlrev_b32_e32 v19, 16, v3
.LBB105_96:                             ;   in Loop: Header=BB105_85 Depth=1
	;; [unrolled: 19-line block ×3, first 2 shown]
	s_or_b32 exec_lo, exec_lo, s10
	v_add_co_u32 v3, vcc_lo, 0xffffff05, v181
	v_add_co_ci_u32_e32 v4, vcc_lo, -1, v182, vcc_lo
	s_mov_b32 s10, exec_lo
	s_delay_alu instid0(VALU_DEP_1)
	v_cmpx_gt_i64_e64 s[4:5], v[3:4]
	s_cbranch_execz .LBB105_100
; %bb.99:                               ;   in Loop: Header=BB105_85 Depth=1
	v_add_co_u32 v3, vcc_lo, v162, v109
	v_add_co_ci_u32_e32 v4, vcc_lo, v163, v110, vcc_lo
	v_add_co_u32 v5, vcc_lo, v164, v109
	v_add_co_ci_u32_e32 v6, vcc_lo, v165, v110, vcc_lo
	global_load_u16 v1, v[3:4], off
	global_load_u16 v3, v[5:6], off
	s_waitcnt vmcnt(1)
	v_lshlrev_b32_e32 v37, 16, v1
	s_waitcnt vmcnt(0)
	v_lshlrev_b32_e32 v21, 16, v3
.LBB105_100:                            ;   in Loop: Header=BB105_85 Depth=1
	s_or_b32 exec_lo, exec_lo, s10
	v_add_co_u32 v3, vcc_lo, 0xffffff06, v181
	v_add_co_ci_u32_e32 v4, vcc_lo, -1, v182, vcc_lo
	s_mov_b32 s10, exec_lo
	s_delay_alu instid0(VALU_DEP_1)
	v_cmpx_gt_i64_e64 s[4:5], v[3:4]
	s_cbranch_execz .LBB105_102
; %bb.101:                              ;   in Loop: Header=BB105_85 Depth=1
	v_add_co_u32 v3, vcc_lo, v158, v109
	v_add_co_ci_u32_e32 v4, vcc_lo, v159, v110, vcc_lo
	v_add_co_u32 v5, vcc_lo, v160, v109
	v_add_co_ci_u32_e32 v6, vcc_lo, v161, v110, vcc_lo
	global_load_u16 v1, v[3:4], off
	global_load_u16 v3, v[5:6], off
	s_waitcnt vmcnt(1)
	v_lshlrev_b32_e32 v38, 16, v1
	s_waitcnt vmcnt(0)
	v_lshlrev_b32_e32 v22, 16, v3
.LBB105_102:                            ;   in Loop: Header=BB105_85 Depth=1
	s_or_b32 exec_lo, exec_lo, s10
	v_add_co_u32 v3, vcc_lo, 0xffffff07, v181
	v_add_co_ci_u32_e32 v4, vcc_lo, -1, v182, vcc_lo
	s_mov_b32 s10, exec_lo
	s_delay_alu instid0(VALU_DEP_1)
	v_cmpx_gt_i64_e64 s[4:5], v[3:4]
	s_cbranch_execz .LBB105_104
; %bb.103:                              ;   in Loop: Header=BB105_85 Depth=1
	v_add_co_u32 v3, vcc_lo, v154, v109
	v_add_co_ci_u32_e32 v4, vcc_lo, v155, v110, vcc_lo
	v_add_co_u32 v5, vcc_lo, v156, v109
	v_add_co_ci_u32_e32 v6, vcc_lo, v157, v110, vcc_lo
	global_load_u16 v1, v[3:4], off
	global_load_u16 v3, v[5:6], off
	s_waitcnt vmcnt(1)
	v_lshlrev_b32_e32 v39, 16, v1
	s_waitcnt vmcnt(0)
	v_lshlrev_b32_e32 v23, 16, v3
.LBB105_104:                            ;   in Loop: Header=BB105_85 Depth=1
	;; [unrolled: 19-line block ×11, first 2 shown]
	s_or_b32 exec_lo, exec_lo, s10
	s_waitcnt vmcnt(1)
	ds_bpermute_b32 v1, v2, v183
	ds_bpermute_b32 v3, v2, v183 offset:4
	ds_bpermute_b32 v6, v2, v183 offset:8
	;; [unrolled: 1-line block ×3, first 2 shown]
	s_waitcnt vmcnt(0)
	ds_bpermute_b32 v4, v2, v113
	ds_bpermute_b32 v7, v2, v113 offset:4
	ds_bpermute_b32 v8, v2, v113 offset:8
	v_add_f32_e32 v5, v180, v33
	ds_bpermute_b32 v12, v2, v183 offset:16
	ds_bpermute_b32 v16, v2, v183 offset:24
	;; [unrolled: 1-line block ×10, first 2 shown]
	s_waitcnt lgkmcnt(16)
	v_sub_f32_e32 v1, v17, v1
	ds_bpermute_b32 v17, v2, v183 offset:28
	s_waitcnt lgkmcnt(15)
	v_sub_f32_e32 v6, v19, v6
	s_waitcnt lgkmcnt(14)
	v_dual_sub_f32 v10, v20, v10 :: v_dual_sub_f32 v3, v18, v3
	v_mul_f32_e32 v1, v33, v1
	ds_bpermute_b32 v19, v2, v183 offset:40
	v_mul_f32_e32 v6, v35, v6
	v_dual_mul_f32 v10, v36, v10 :: v_dual_mul_f32 v3, v34, v3
	s_waitcnt lgkmcnt(14)
	v_fma_f32 v1, v1, v4, v179
	ds_bpermute_b32 v33, v2, v183 offset:36
	ds_bpermute_b32 v18, v2, v113 offset:36
	;; [unrolled: 1-line block ×3, first 2 shown]
	s_waitcnt lgkmcnt(16)
	v_fmac_f32_e32 v1, v3, v7
	s_waitcnt lgkmcnt(14)
	v_sub_f32_e32 v7, v21, v12
	s_waitcnt lgkmcnt(10)
	s_delay_alu instid0(VALU_DEP_2)
	v_dual_sub_f32 v12, v25, v186 :: v_dual_fmac_f32 v1, v6, v8
	ds_bpermute_b32 v6, v2, v183 offset:44
	v_sub_f32_e32 v8, v22, v14
	v_dual_mul_f32 v12, v41, v12 :: v_dual_fmac_f32 v1, v10, v9
	v_dual_sub_f32 v10, v23, v16 :: v_dual_add_f32 v3, v34, v5
	s_waitcnt lgkmcnt(4)
	v_sub_f32_e32 v14, v27, v19
	v_dual_mul_f32 v7, v37, v7 :: v_dual_mul_f32 v8, v38, v8
	s_delay_alu instid0(VALU_DEP_3)
	v_mul_f32_e32 v10, v39, v10
	v_add_f32_e32 v3, v35, v3
	ds_bpermute_b32 v5, v2, v113 offset:44
	ds_bpermute_b32 v9, v2, v113 offset:48
	v_dual_mul_f32 v14, v43, v14 :: v_dual_add_f32 v3, v36, v3
	s_waitcnt lgkmcnt(2)
	v_dual_sub_f32 v6, v28, v6 :: v_dual_fmac_f32 v1, v7, v11
	ds_bpermute_b32 v7, v2, v183 offset:48
	v_mul_f32_e32 v6, v44, v6
	v_fmac_f32_e32 v1, v8, v13
	v_sub_f32_e32 v13, v26, v33
	ds_bpermute_b32 v8, v2, v113 offset:52
	v_fmac_f32_e32 v1, v10, v15
	ds_bpermute_b32 v10, v2, v183 offset:52
	v_add_f32_e32 v3, v37, v3
	v_mul_f32_e32 v13, v42, v13
	s_waitcnt lgkmcnt(2)
	v_sub_f32_e32 v7, v29, v7
	s_waitcnt lgkmcnt(0)
	s_delay_alu instid0(VALU_DEP_1) | instskip(SKIP_2) | instid1(VALU_DEP_2)
	v_dual_mul_f32 v7, v45, v7 :: v_dual_sub_f32 v10, v30, v10
	v_sub_f32_e32 v11, v24, v17
	v_add_f32_e32 v3, v38, v3
	v_mul_f32_e32 v11, v40, v11
	s_delay_alu instid0(VALU_DEP_2) | instskip(NEXT) | instid1(VALU_DEP_2)
	v_add_f32_e32 v3, v39, v3
	v_fmac_f32_e32 v1, v11, v184
	s_delay_alu instid0(VALU_DEP_2)
	v_add_f32_e32 v3, v40, v3
	ds_bpermute_b32 v11, v2, v183 offset:56
	v_fmac_f32_e32 v1, v12, v185
	v_add_f32_e32 v3, v41, v3
	ds_bpermute_b32 v12, v2, v183 offset:60
	v_fmac_f32_e32 v1, v13, v18
	;; [unrolled: 3-line block ×4, first 2 shown]
	v_dual_mul_f32 v6, v46, v10 :: v_dual_add_f32 v3, v44, v3
	s_waitcnt lgkmcnt(3)
	v_sub_f32_e32 v5, v31, v11
	s_delay_alu instid0(VALU_DEP_3) | instskip(NEXT) | instid1(VALU_DEP_3)
	v_fmac_f32_e32 v1, v7, v9
	v_add_f32_e32 v3, v45, v3
	s_waitcnt lgkmcnt(2)
	v_sub_f32_e32 v7, v32, v12
	v_mul_f32_e32 v5, v47, v5
	v_fmac_f32_e32 v1, v6, v8
	v_add_f32_e32 v3, v46, v3
	s_waitcnt lgkmcnt(1)
	s_delay_alu instid0(VALU_DEP_2) | instskip(NEXT) | instid1(VALU_DEP_2)
	v_dual_mul_f32 v6, v48, v7 :: v_dual_fmac_f32 v1, v5, v13
	v_add_f32_e32 v3, v47, v3
	s_waitcnt lgkmcnt(0)
	s_delay_alu instid0(VALU_DEP_2) | instskip(NEXT) | instid1(VALU_DEP_2)
	v_fmac_f32_e32 v1, v6, v4
	v_add_f32_e32 v113, v48, v3
	s_branch .LBB105_129
.LBB105_123:                            ;   in Loop: Header=BB105_85 Depth=1
                                        ; implicit-def: $vgpr113
                                        ; implicit-def: $vgpr1
	s_cbranch_execz .LBB105_129
; %bb.124:                              ;   in Loop: Header=BB105_85 Depth=1
	s_load_b32 s10, s[2:3], 0x0
	v_mov_b32_e32 v5, 0
	s_waitcnt lgkmcnt(0)
	s_cmp_lt_u32 s14, s10
	s_cselect_b32 s10, 12, 18
	s_delay_alu instid0(SALU_CYCLE_1)
	s_add_u32 s10, s2, s10
	s_addc_u32 s11, s3, 0
	global_load_u16 v1, v2, s[10:11]
	s_mov_b32 s10, exec_lo
	s_waitcnt vmcnt(0)
	v_mad_u32_u24 v1, v111, v1, v174
	s_delay_alu instid0(VALU_DEP_1) | instskip(SKIP_1) | instid1(VALU_DEP_2)
	v_and_b32_e32 v3, 31, v1
	v_mov_b32_e32 v1, 0
	v_cmpx_gt_u32_e32 16, v3
	s_cbranch_execz .LBB105_128
; %bb.125:                              ;   in Loop: Header=BB105_85 Depth=1
	v_add_co_u32 v1, vcc_lo, v181, v3
	v_add_co_ci_u32_e32 v4, vcc_lo, 0, v182, vcc_lo
	v_mov_b32_e32 v5, 0
	s_delay_alu instid0(VALU_DEP_3) | instskip(NEXT) | instid1(VALU_DEP_3)
	v_add_co_u32 v3, vcc_lo, 0xffffff01, v1
	v_add_co_ci_u32_e32 v4, vcc_lo, -1, v4, vcc_lo
	v_mov_b32_e32 v1, 0
	s_mov_b32 s11, exec_lo
	s_delay_alu instid0(VALU_DEP_2)
	v_cmpx_gt_i64_e64 s[4:5], v[3:4]
	s_cbranch_execz .LBB105_127
; %bb.126:                              ;   in Loop: Header=BB105_85 Depth=1
	v_lshlrev_b64 v[3:4], 2, v[3:4]
	s_delay_alu instid0(VALU_DEP_1) | instskip(NEXT) | instid1(VALU_DEP_2)
	v_add_co_u32 v5, vcc_lo, s36, v3
	v_add_co_ci_u32_e32 v6, vcc_lo, s37, v4, vcc_lo
	v_add_co_u32 v3, vcc_lo, s38, v3
	v_add_co_ci_u32_e32 v4, vcc_lo, s39, v4, vcc_lo
	global_load_b32 v5, v[5:6], off
	global_load_b32 v1, v[3:4], off
.LBB105_127:                            ;   in Loop: Header=BB105_85 Depth=1
	s_or_b32 exec_lo, exec_lo, s11
.LBB105_128:                            ;   in Loop: Header=BB105_85 Depth=1
	s_delay_alu instid0(SALU_CYCLE_1)
	s_or_b32 exec_lo, exec_lo, s10
	v_add_co_u32 v3, vcc_lo, v116, v109
	v_add_co_ci_u32_e32 v4, vcc_lo, v117, v110, vcc_lo
	global_load_u16 v6, v[3:4], off
	v_add_co_u32 v3, vcc_lo, v114, v109
	v_add_co_ci_u32_e32 v4, vcc_lo, v115, v110, vcc_lo
	global_load_u16 v3, v[3:4], off
	s_waitcnt vmcnt(1)
	v_lshlrev_b32_e32 v4, 16, v6
	ds_bpermute_b32 v6, v2, v5
	s_waitcnt lgkmcnt(0)
	v_sub_f32_e32 v4, v4, v6
	s_waitcnt vmcnt(0)
	v_lshlrev_b32_e32 v6, 16, v3
	s_delay_alu instid0(VALU_DEP_1)
	v_mul_f32_e32 v3, v4, v6
	ds_bpermute_b32 v4, v2, v1
	s_waitcnt lgkmcnt(0)
	v_fmac_f32_e32 v179, v3, v4
	v_add_co_u32 v3, vcc_lo, v79, v109
	v_add_co_ci_u32_e32 v4, vcc_lo, v80, v110, vcc_lo
	global_load_u16 v7, v[3:4], off
	v_add_co_u32 v3, vcc_lo, v49, v109
	v_add_co_ci_u32_e32 v4, vcc_lo, v50, v110, vcc_lo
	global_load_u16 v3, v[3:4], off
	s_waitcnt vmcnt(1)
	v_lshlrev_b32_e32 v4, 16, v7
	ds_bpermute_b32 v7, v2, v5 offset:4
	s_waitcnt lgkmcnt(0)
	v_sub_f32_e32 v4, v4, v7
	s_waitcnt vmcnt(0)
	v_lshlrev_b32_e32 v7, 16, v3
	s_delay_alu instid0(VALU_DEP_1)
	v_mul_f32_e32 v3, v4, v7
	ds_bpermute_b32 v4, v2, v1 offset:4
	s_waitcnt lgkmcnt(0)
	v_fmac_f32_e32 v179, v3, v4
	v_add_co_u32 v3, vcc_lo, v81, v109
	v_add_co_ci_u32_e32 v4, vcc_lo, v82, v110, vcc_lo
	global_load_u16 v8, v[3:4], off
	v_add_co_u32 v3, vcc_lo, v51, v109
	v_add_co_ci_u32_e32 v4, vcc_lo, v52, v110, vcc_lo
	global_load_u16 v3, v[3:4], off
	s_waitcnt vmcnt(1)
	v_lshlrev_b32_e32 v4, 16, v8
	ds_bpermute_b32 v8, v2, v5 offset:8
	s_waitcnt lgkmcnt(0)
	v_sub_f32_e32 v4, v4, v8
	s_waitcnt vmcnt(0)
	v_lshlrev_b32_e32 v8, 16, v3
	s_delay_alu instid0(VALU_DEP_1)
	v_mul_f32_e32 v3, v4, v8
	ds_bpermute_b32 v4, v2, v1 offset:8
	s_waitcnt lgkmcnt(0)
	v_fmac_f32_e32 v179, v3, v4
	v_add_co_u32 v3, vcc_lo, v83, v109
	v_add_co_ci_u32_e32 v4, vcc_lo, v84, v110, vcc_lo
	global_load_u16 v9, v[3:4], off
	v_add_co_u32 v3, vcc_lo, v53, v109
	v_add_co_ci_u32_e32 v4, vcc_lo, v54, v110, vcc_lo
	global_load_u16 v3, v[3:4], off
	s_waitcnt vmcnt(1)
	v_lshlrev_b32_e32 v4, 16, v9
	ds_bpermute_b32 v9, v2, v5 offset:12
	s_waitcnt vmcnt(0) lgkmcnt(0)
	v_dual_sub_f32 v4, v4, v9 :: v_dual_lshlrev_b32 v9, 16, v3
	s_delay_alu instid0(VALU_DEP_1)
	v_mul_f32_e32 v3, v4, v9
	ds_bpermute_b32 v4, v2, v1 offset:12
	s_waitcnt lgkmcnt(0)
	v_fmac_f32_e32 v179, v3, v4
	v_add_co_u32 v3, vcc_lo, v85, v109
	v_add_co_ci_u32_e32 v4, vcc_lo, v86, v110, vcc_lo
	global_load_u16 v10, v[3:4], off
	v_add_co_u32 v3, vcc_lo, v55, v109
	v_add_co_ci_u32_e32 v4, vcc_lo, v56, v110, vcc_lo
	global_load_u16 v3, v[3:4], off
	s_waitcnt vmcnt(1)
	v_lshlrev_b32_e32 v4, 16, v10
	ds_bpermute_b32 v10, v2, v5 offset:16
	s_waitcnt lgkmcnt(0)
	v_sub_f32_e32 v4, v4, v10
	s_waitcnt vmcnt(0)
	v_lshlrev_b32_e32 v10, 16, v3
	s_delay_alu instid0(VALU_DEP_1)
	v_mul_f32_e32 v3, v4, v10
	ds_bpermute_b32 v4, v2, v1 offset:16
	s_waitcnt lgkmcnt(0)
	v_fmac_f32_e32 v179, v3, v4
	v_add_co_u32 v3, vcc_lo, v87, v109
	v_add_co_ci_u32_e32 v4, vcc_lo, v88, v110, vcc_lo
	global_load_u16 v11, v[3:4], off
	v_add_co_u32 v3, vcc_lo, v57, v109
	v_add_co_ci_u32_e32 v4, vcc_lo, v58, v110, vcc_lo
	global_load_u16 v3, v[3:4], off
	s_waitcnt vmcnt(1)
	v_lshlrev_b32_e32 v4, 16, v11
	ds_bpermute_b32 v11, v2, v5 offset:20
	s_waitcnt lgkmcnt(0)
	v_sub_f32_e32 v4, v4, v11
	s_waitcnt vmcnt(0)
	v_lshlrev_b32_e32 v11, 16, v3
	;; [unrolled: 18-line block ×3, first 2 shown]
	s_delay_alu instid0(VALU_DEP_1)
	v_mul_f32_e32 v3, v4, v12
	ds_bpermute_b32 v4, v2, v1 offset:24
	s_waitcnt lgkmcnt(0)
	v_fmac_f32_e32 v179, v3, v4
	v_add_co_u32 v3, vcc_lo, v91, v109
	v_add_co_ci_u32_e32 v4, vcc_lo, v92, v110, vcc_lo
	global_load_u16 v13, v[3:4], off
	v_add_co_u32 v3, vcc_lo, v61, v109
	v_add_co_ci_u32_e32 v4, vcc_lo, v62, v110, vcc_lo
	global_load_u16 v3, v[3:4], off
	s_waitcnt vmcnt(1)
	v_lshlrev_b32_e32 v4, 16, v13
	ds_bpermute_b32 v13, v2, v5 offset:28
	s_waitcnt vmcnt(0) lgkmcnt(0)
	v_dual_sub_f32 v4, v4, v13 :: v_dual_lshlrev_b32 v13, 16, v3
	s_delay_alu instid0(VALU_DEP_1)
	v_mul_f32_e32 v3, v4, v13
	ds_bpermute_b32 v4, v2, v1 offset:28
	s_waitcnt lgkmcnt(0)
	v_fmac_f32_e32 v179, v3, v4
	v_add_co_u32 v3, vcc_lo, v93, v109
	v_add_co_ci_u32_e32 v4, vcc_lo, v94, v110, vcc_lo
	global_load_u16 v14, v[3:4], off
	v_add_co_u32 v3, vcc_lo, v63, v109
	v_add_co_ci_u32_e32 v4, vcc_lo, v64, v110, vcc_lo
	global_load_u16 v3, v[3:4], off
	s_waitcnt vmcnt(1)
	v_lshlrev_b32_e32 v4, 16, v14
	ds_bpermute_b32 v14, v2, v5 offset:32
	s_waitcnt lgkmcnt(0)
	v_sub_f32_e32 v4, v4, v14
	s_waitcnt vmcnt(0)
	v_lshlrev_b32_e32 v14, 16, v3
	s_delay_alu instid0(VALU_DEP_1)
	v_mul_f32_e32 v3, v4, v14
	ds_bpermute_b32 v4, v2, v1 offset:32
	s_waitcnt lgkmcnt(0)
	v_fmac_f32_e32 v179, v3, v4
	v_add_co_u32 v3, vcc_lo, v95, v109
	v_add_co_ci_u32_e32 v4, vcc_lo, v96, v110, vcc_lo
	global_load_u16 v15, v[3:4], off
	v_add_co_u32 v3, vcc_lo, v65, v109
	v_add_co_ci_u32_e32 v4, vcc_lo, v66, v110, vcc_lo
	global_load_u16 v3, v[3:4], off
	s_waitcnt vmcnt(1)
	v_lshlrev_b32_e32 v4, 16, v15
	ds_bpermute_b32 v15, v2, v5 offset:36
	s_waitcnt lgkmcnt(0)
	v_sub_f32_e32 v4, v4, v15
	s_waitcnt vmcnt(0)
	v_lshlrev_b32_e32 v15, 16, v3
	;; [unrolled: 18-line block ×3, first 2 shown]
	s_delay_alu instid0(VALU_DEP_1)
	v_mul_f32_e32 v3, v4, v16
	ds_bpermute_b32 v4, v2, v1 offset:40
	s_waitcnt lgkmcnt(0)
	v_fmac_f32_e32 v179, v3, v4
	v_add_co_u32 v3, vcc_lo, v99, v109
	v_add_co_ci_u32_e32 v4, vcc_lo, v100, v110, vcc_lo
	global_load_u16 v17, v[3:4], off
	v_add_co_u32 v3, vcc_lo, v69, v109
	v_add_co_ci_u32_e32 v4, vcc_lo, v70, v110, vcc_lo
	global_load_u16 v3, v[3:4], off
	s_waitcnt vmcnt(1)
	v_lshlrev_b32_e32 v4, 16, v17
	ds_bpermute_b32 v17, v2, v5 offset:44
	s_waitcnt vmcnt(0) lgkmcnt(0)
	v_dual_sub_f32 v4, v4, v17 :: v_dual_lshlrev_b32 v17, 16, v3
	s_delay_alu instid0(VALU_DEP_1)
	v_mul_f32_e32 v3, v4, v17
	ds_bpermute_b32 v4, v2, v1 offset:44
	s_waitcnt lgkmcnt(0)
	v_fmac_f32_e32 v179, v3, v4
	v_add_co_u32 v3, vcc_lo, v101, v109
	v_add_co_ci_u32_e32 v4, vcc_lo, v102, v110, vcc_lo
	global_load_u16 v18, v[3:4], off
	v_add_co_u32 v3, vcc_lo, v71, v109
	v_add_co_ci_u32_e32 v4, vcc_lo, v72, v110, vcc_lo
	global_load_u16 v3, v[3:4], off
	s_waitcnt vmcnt(1)
	v_lshlrev_b32_e32 v4, 16, v18
	ds_bpermute_b32 v18, v2, v5 offset:48
	s_waitcnt lgkmcnt(0)
	v_sub_f32_e32 v4, v4, v18
	s_waitcnt vmcnt(0)
	v_lshlrev_b32_e32 v18, 16, v3
	s_delay_alu instid0(VALU_DEP_1)
	v_mul_f32_e32 v3, v4, v18
	ds_bpermute_b32 v4, v2, v1 offset:48
	s_waitcnt lgkmcnt(0)
	v_fmac_f32_e32 v179, v3, v4
	v_add_co_u32 v3, vcc_lo, v103, v109
	v_add_co_ci_u32_e32 v4, vcc_lo, v104, v110, vcc_lo
	global_load_u16 v19, v[3:4], off
	v_add_co_u32 v3, vcc_lo, v73, v109
	v_add_co_ci_u32_e32 v4, vcc_lo, v74, v110, vcc_lo
	global_load_u16 v3, v[3:4], off
	s_waitcnt vmcnt(1)
	v_lshlrev_b32_e32 v4, 16, v19
	ds_bpermute_b32 v19, v2, v5 offset:52
	s_waitcnt lgkmcnt(0)
	v_sub_f32_e32 v4, v4, v19
	s_waitcnt vmcnt(0)
	v_lshlrev_b32_e32 v19, 16, v3
	;; [unrolled: 18-line block ×3, first 2 shown]
	s_delay_alu instid0(VALU_DEP_1)
	v_mul_f32_e32 v3, v4, v20
	ds_bpermute_b32 v4, v2, v1 offset:56
	ds_bpermute_b32 v1, v2, v1 offset:60
	s_waitcnt lgkmcnt(1)
	v_fmac_f32_e32 v179, v3, v4
	v_add_co_u32 v3, vcc_lo, v107, v109
	v_add_co_ci_u32_e32 v4, vcc_lo, v108, v110, vcc_lo
	global_load_u16 v21, v[3:4], off
	v_add_co_u32 v3, vcc_lo, v77, v109
	v_add_co_ci_u32_e32 v4, vcc_lo, v78, v110, vcc_lo
	global_load_u16 v3, v[3:4], off
	ds_bpermute_b32 v4, v2, v5 offset:60
	s_waitcnt vmcnt(1)
	v_lshlrev_b32_e32 v5, 16, v21
	s_waitcnt vmcnt(0) lgkmcnt(0)
	s_delay_alu instid0(VALU_DEP_1) | instskip(NEXT) | instid1(VALU_DEP_1)
	v_dual_sub_f32 v4, v5, v4 :: v_dual_lshlrev_b32 v3, 16, v3
	v_mul_f32_e32 v4, v4, v3
	s_delay_alu instid0(VALU_DEP_1) | instskip(SKIP_1) | instid1(VALU_DEP_1)
	v_fmac_f32_e32 v179, v4, v1
	v_add_f32_e32 v1, v180, v6
	v_add_f32_e32 v1, v1, v7
	s_delay_alu instid0(VALU_DEP_1) | instskip(NEXT) | instid1(VALU_DEP_1)
	v_add_f32_e32 v1, v1, v8
	v_add_f32_e32 v1, v1, v9
	s_delay_alu instid0(VALU_DEP_1) | instskip(NEXT) | instid1(VALU_DEP_1)
	;; [unrolled: 3-line block ×7, first 2 shown]
	v_add_f32_e32 v1, v1, v20
	v_add_f32_e32 v113, v1, v3
	v_mov_b32_e32 v1, v179
.LBB105_129:                            ;   in Loop: Header=BB105_85 Depth=1
	v_add_co_u32 v49, vcc_lo, v49, s8
	v_add_co_ci_u32_e32 v50, vcc_lo, s9, v50, vcc_lo
	v_add_co_u32 v51, vcc_lo, v51, s8
	v_add_co_ci_u32_e32 v52, vcc_lo, s9, v52, vcc_lo
	;; [unrolled: 2-line block ×59, first 2 shown]
	v_add_co_u32 v172, vcc_lo, v172, s8
	s_add_u32 s12, s12, s15
	v_add_co_ci_u32_e32 v173, vcc_lo, s9, v173, vcc_lo
	s_addc_u32 s13, s13, 0
	v_add_co_u32 v175, vcc_lo, v175, s8
	v_cmp_ge_i64_e64 s10, s[12:13], s[4:5]
	v_add_co_ci_u32_e32 v176, vcc_lo, s9, v176, vcc_lo
	v_add_co_u32 v177, vcc_lo, v177, s8
	v_add_co_ci_u32_e32 v178, vcc_lo, s9, v178, vcc_lo
	s_add_u32 s34, s34, s15
	s_addc_u32 s35, s35, 0
	s_and_b32 vcc_lo, exec_lo, s10
	s_cbranch_vccnz .LBB105_131
; %bb.130:                              ;   in Loop: Header=BB105_85 Depth=1
	v_mov_b32_e32 v180, v113
	v_mov_b32_e32 v179, v1
	s_branch .LBB105_85
.LBB105_131:
	v_and_b32_e32 v2, 0x3ff, v0
	v_bfe_u32 v0, v0, 10, 10
	s_mov_b32 s15, 0
	s_mov_b32 s2, exec_lo
	s_delay_alu instid0(VALU_DEP_1) | instskip(NEXT) | instid1(VALU_DEP_1)
	v_mad_u32_u24 v3, 0x41, v0, v2
	v_sub_nc_u32_e32 v0, v3, v0
	v_lshl_add_u32 v3, v3, 2, 0
	ds_store_b32 v3, v1
	ds_store_b32 v3, v113 offset:4160
	s_waitcnt lgkmcnt(0)
	s_barrier
	buffer_gl0_inv
	v_cmpx_gt_u32_e32 0x800, v0
	s_cbranch_execz .LBB105_141
; %bb.132:
	v_mbcnt_lo_u32_b32 v1, -1, 0
	v_lshrrev_b32_e32 v4, 5, v0
	s_load_b128 s[8:11], s[0:1], 0x30
	v_cmp_eq_u32_e64 s0, 0, v2
	s_lshl_b64 s[4:5], s[14:15], 6
	v_xor_b32_e32 v0, 8, v1
	v_xor_b32_e32 v5, 2, v1
	;; [unrolled: 1-line block ×3, first 2 shown]
                                        ; implicit-def: $vgpr12
	v_mov_b32_e32 v9, 0
	s_delay_alu instid0(VALU_DEP_4) | instskip(SKIP_3) | instid1(VALU_DEP_3)
	v_cmp_gt_i32_e32 vcc_lo, 32, v0
	v_and_b32_e32 v3, 31, v2
	v_xor_b32_e32 v2, 4, v1
	v_cndmask_b32_e32 v0, v1, v0, vcc_lo
	v_mad_u32_u24 v11, 0x41, v3, v4
	s_delay_alu instid0(VALU_DEP_3)
	v_cmp_gt_i32_e32 vcc_lo, 32, v2
	v_cmp_gt_u32_e64 s1, 16, v3
	v_cndmask_b32_e32 v2, v1, v2, vcc_lo
	v_cmp_gt_i32_e32 vcc_lo, 32, v5
	s_waitcnt lgkmcnt(0)
	s_cmp_lg_u64 s[8:9], 0
	s_cselect_b32 s3, -1, 0
	s_cmp_lg_u64 s[10:11], 0
	v_cndmask_b32_e32 v7, v1, v5, vcc_lo
	v_cmp_gt_i32_e32 vcc_lo, 32, v6
	v_lshlrev_b32_e32 v5, 2, v0
	v_lshlrev_b32_e32 v0, 1, v4
	s_cselect_b32 s12, -1, 0
	s_lshl_b64 s[16:17], s[14:15], 7
	v_cndmask_b32_e32 v1, v1, v6, vcc_lo
	v_lshlrev_b32_e32 v6, 2, v2
	v_add_co_u32 v2, s2, s16, v0
	s_delay_alu instid0(VALU_DEP_1) | instskip(NEXT) | instid1(VALU_DEP_4)
	v_add_co_ci_u32_e64 v10, null, s17, 0, s2
	v_lshlrev_b32_e32 v8, 2, v1
	s_delay_alu instid0(VALU_DEP_3) | instskip(NEXT) | instid1(VALU_DEP_3)
	v_add_co_u32 v0, vcc_lo, s10, v2
	v_add_co_ci_u32_e32 v1, vcc_lo, s11, v10, vcc_lo
	v_add_co_u32 v2, vcc_lo, s8, v2
	v_lshlrev_b32_e32 v7, 2, v7
	v_add_co_ci_u32_e32 v3, vcc_lo, s9, v10, vcc_lo
	v_lshl_add_u32 v10, v11, 2, 0
                                        ; implicit-def: $vgpr11
	s_branch .LBB105_134
.LBB105_133:                            ;   in Loop: Header=BB105_134 Depth=1
	s_or_b32 exec_lo, exec_lo, s2
	v_add_co_u32 v4, vcc_lo, v4, 32
	v_add_co_ci_u32_e32 v9, vcc_lo, 0, v9, vcc_lo
	v_add_co_u32 v0, vcc_lo, v0, 64
	s_delay_alu instid0(VALU_DEP_3) | instskip(SKIP_2) | instid1(VALU_DEP_3)
	v_subrev_nc_u32_e32 v13, 32, v4
	v_add_co_ci_u32_e32 v1, vcc_lo, 0, v1, vcc_lo
	v_add_co_u32 v2, s2, v2, 64
	v_cmp_lt_u32_e32 vcc_lo, 31, v13
	v_add_co_ci_u32_e64 v3, s2, 0, v3, s2
	v_add_nc_u32_e32 v10, 0x80, v10
	s_or_b32 s15, vcc_lo, s15
	s_delay_alu instid0(SALU_CYCLE_1)
	s_and_not1_b32 exec_lo, exec_lo, s15
	s_cbranch_execz .LBB105_141
.LBB105_134:                            ; =>This Inner Loop Header: Depth=1
	s_and_saveexec_b32 s2, s1
	s_cbranch_execz .LBB105_136
; %bb.135:                              ;   in Loop: Header=BB105_134 Depth=1
	ds_load_b32 v11, v10
	ds_load_b32 v12, v10 offset:4160
.LBB105_136:                            ;   in Loop: Header=BB105_134 Depth=1
	s_or_b32 exec_lo, exec_lo, s2
	s_waitcnt lgkmcnt(1)
	ds_bpermute_b32 v13, v5, v11
	s_waitcnt lgkmcnt(1)
	ds_bpermute_b32 v14, v5, v12
	s_waitcnt lgkmcnt(0)
	v_dual_add_f32 v11, v11, v13 :: v_dual_add_f32 v12, v12, v14
	ds_bpermute_b32 v13, v6, v11
	ds_bpermute_b32 v14, v6, v12
	s_waitcnt lgkmcnt(0)
	v_dual_add_f32 v11, v11, v13 :: v_dual_add_f32 v12, v12, v14
	ds_bpermute_b32 v13, v7, v11
	ds_bpermute_b32 v14, v7, v12
	s_waitcnt lgkmcnt(0)
	v_dual_add_f32 v13, v11, v13 :: v_dual_add_f32 v14, v12, v14
	v_add_co_u32 v11, vcc_lo, s4, v4
	v_add_co_ci_u32_e32 v12, vcc_lo, s5, v9, vcc_lo
	ds_bpermute_b32 v15, v8, v13
	ds_bpermute_b32 v16, v8, v14
	v_cmp_gt_i64_e32 vcc_lo, s[6:7], v[11:12]
	s_and_b32 s8, s0, vcc_lo
	s_waitcnt lgkmcnt(0)
	v_dual_add_f32 v11, v13, v15 :: v_dual_add_f32 v12, v14, v16
	s_and_saveexec_b32 s2, s8
	s_cbranch_execz .LBB105_133
; %bb.137:                              ;   in Loop: Header=BB105_134 Depth=1
	s_and_not1_b32 vcc_lo, exec_lo, s3
	s_cbranch_vccnz .LBB105_139
; %bb.138:                              ;   in Loop: Header=BB105_134 Depth=1
	v_bfe_u32 v13, v11, 16, 1
	v_cmp_o_f32_e32 vcc_lo, v11, v11
	s_delay_alu instid0(VALU_DEP_2) | instskip(NEXT) | instid1(VALU_DEP_1)
	v_add3_u32 v13, v11, v13, 0x7fff
	v_lshrrev_b32_e32 v13, 16, v13
	s_delay_alu instid0(VALU_DEP_1)
	v_cndmask_b32_e32 v13, 0x7fc0, v13, vcc_lo
	global_store_b16 v[2:3], v13, off
.LBB105_139:                            ;   in Loop: Header=BB105_134 Depth=1
	s_and_not1_b32 vcc_lo, exec_lo, s12
	s_cbranch_vccnz .LBB105_133
; %bb.140:                              ;   in Loop: Header=BB105_134 Depth=1
	v_bfe_u32 v13, v12, 16, 1
	v_cmp_o_f32_e32 vcc_lo, v12, v12
	s_delay_alu instid0(VALU_DEP_2) | instskip(NEXT) | instid1(VALU_DEP_1)
	v_add3_u32 v13, v12, v13, 0x7fff
	v_lshrrev_b32_e32 v13, 16, v13
	s_delay_alu instid0(VALU_DEP_1)
	v_cndmask_b32_e32 v13, 0x7fc0, v13, vcc_lo
	global_store_b16 v[0:1], v13, off
	s_branch .LBB105_133
.LBB105_141:
	s_nop 0
	s_sendmsg sendmsg(MSG_DEALLOC_VGPRS)
	s_endpgm
	.section	.rodata,"a",@progbits
	.p2align	6, 0x0
	.amdhsa_kernel _ZN2at6native12_GLOBAL__N_135GammaBetaBackwardCUDAKernelTemplateIN3c108BFloat16EfLj64ELj16ELj256ELb0ELb0ELb0EEEvllPKT_S7_PKT0_SA_PS5_SB_
		.amdhsa_group_segment_fixed_size 0
		.amdhsa_private_segment_fixed_size 0
		.amdhsa_kernarg_size 320
		.amdhsa_user_sgpr_count 14
		.amdhsa_user_sgpr_dispatch_ptr 0
		.amdhsa_user_sgpr_queue_ptr 0
		.amdhsa_user_sgpr_kernarg_segment_ptr 1
		.amdhsa_user_sgpr_dispatch_id 0
		.amdhsa_user_sgpr_private_segment_size 0
		.amdhsa_wavefront_size32 1
		.amdhsa_uses_dynamic_stack 0
		.amdhsa_enable_private_segment 0
		.amdhsa_system_sgpr_workgroup_id_x 1
		.amdhsa_system_sgpr_workgroup_id_y 1
		.amdhsa_system_sgpr_workgroup_id_z 0
		.amdhsa_system_sgpr_workgroup_info 0
		.amdhsa_system_vgpr_workitem_id 1
		.amdhsa_next_free_vgpr 187
		.amdhsa_next_free_sgpr 48
		.amdhsa_reserve_vcc 1
		.amdhsa_float_round_mode_32 0
		.amdhsa_float_round_mode_16_64 0
		.amdhsa_float_denorm_mode_32 3
		.amdhsa_float_denorm_mode_16_64 3
		.amdhsa_dx10_clamp 1
		.amdhsa_ieee_mode 1
		.amdhsa_fp16_overflow 0
		.amdhsa_workgroup_processor_mode 1
		.amdhsa_memory_ordered 1
		.amdhsa_forward_progress 0
		.amdhsa_shared_vgpr_count 0
		.amdhsa_exception_fp_ieee_invalid_op 0
		.amdhsa_exception_fp_denorm_src 0
		.amdhsa_exception_fp_ieee_div_zero 0
		.amdhsa_exception_fp_ieee_overflow 0
		.amdhsa_exception_fp_ieee_underflow 0
		.amdhsa_exception_fp_ieee_inexact 0
		.amdhsa_exception_int_div_zero 0
	.end_amdhsa_kernel
	.section	.text._ZN2at6native12_GLOBAL__N_135GammaBetaBackwardCUDAKernelTemplateIN3c108BFloat16EfLj64ELj16ELj256ELb0ELb0ELb0EEEvllPKT_S7_PKT0_SA_PS5_SB_,"axG",@progbits,_ZN2at6native12_GLOBAL__N_135GammaBetaBackwardCUDAKernelTemplateIN3c108BFloat16EfLj64ELj16ELj256ELb0ELb0ELb0EEEvllPKT_S7_PKT0_SA_PS5_SB_,comdat
.Lfunc_end105:
	.size	_ZN2at6native12_GLOBAL__N_135GammaBetaBackwardCUDAKernelTemplateIN3c108BFloat16EfLj64ELj16ELj256ELb0ELb0ELb0EEEvllPKT_S7_PKT0_SA_PS5_SB_, .Lfunc_end105-_ZN2at6native12_GLOBAL__N_135GammaBetaBackwardCUDAKernelTemplateIN3c108BFloat16EfLj64ELj16ELj256ELb0ELb0ELb0EEEvllPKT_S7_PKT0_SA_PS5_SB_
                                        ; -- End function
	.section	.AMDGPU.csdata,"",@progbits
; Kernel info:
; codeLenInByte = 15468
; NumSgprs: 50
; NumVgprs: 187
; ScratchSize: 0
; MemoryBound: 0
; FloatMode: 240
; IeeeMode: 1
; LDSByteSize: 0 bytes/workgroup (compile time only)
; SGPRBlocks: 6
; VGPRBlocks: 23
; NumSGPRsForWavesPerEU: 50
; NumVGPRsForWavesPerEU: 187
; Occupancy: 8
; WaveLimiterHint : 0
; COMPUTE_PGM_RSRC2:SCRATCH_EN: 0
; COMPUTE_PGM_RSRC2:USER_SGPR: 14
; COMPUTE_PGM_RSRC2:TRAP_HANDLER: 0
; COMPUTE_PGM_RSRC2:TGID_X_EN: 1
; COMPUTE_PGM_RSRC2:TGID_Y_EN: 1
; COMPUTE_PGM_RSRC2:TGID_Z_EN: 0
; COMPUTE_PGM_RSRC2:TIDIG_COMP_CNT: 1
	.section	.text._ZN2at6native12_GLOBAL__N_135GammaBetaBackwardCUDAKernelTemplateIN3c108BFloat16EfLj32ELj1ELj32ELb1ELb1ELb0EEEvllPKT_S7_PKT0_SA_PS5_SB_,"axG",@progbits,_ZN2at6native12_GLOBAL__N_135GammaBetaBackwardCUDAKernelTemplateIN3c108BFloat16EfLj32ELj1ELj32ELb1ELb1ELb0EEEvllPKT_S7_PKT0_SA_PS5_SB_,comdat
	.globl	_ZN2at6native12_GLOBAL__N_135GammaBetaBackwardCUDAKernelTemplateIN3c108BFloat16EfLj32ELj1ELj32ELb1ELb1ELb0EEEvllPKT_S7_PKT0_SA_PS5_SB_ ; -- Begin function _ZN2at6native12_GLOBAL__N_135GammaBetaBackwardCUDAKernelTemplateIN3c108BFloat16EfLj32ELj1ELj32ELb1ELb1ELb0EEEvllPKT_S7_PKT0_SA_PS5_SB_
	.p2align	8
	.type	_ZN2at6native12_GLOBAL__N_135GammaBetaBackwardCUDAKernelTemplateIN3c108BFloat16EfLj32ELj1ELj32ELb1ELb1ELb0EEEvllPKT_S7_PKT0_SA_PS5_SB_,@function
_ZN2at6native12_GLOBAL__N_135GammaBetaBackwardCUDAKernelTemplateIN3c108BFloat16EfLj32ELj1ELj32ELb1ELb1ELb0EEEvllPKT_S7_PKT0_SA_PS5_SB_: ; @_ZN2at6native12_GLOBAL__N_135GammaBetaBackwardCUDAKernelTemplateIN3c108BFloat16EfLj32ELj1ELj32ELb1ELb1ELb0EEEvllPKT_S7_PKT0_SA_PS5_SB_
; %bb.0:
	s_load_b128 s[16:19], s[0:1], 0x0
	s_mov_b32 s13, 0
	s_lshl_b32 s12, s15, 5
	v_bfe_u32 v6, v0, 10, 10
	s_mov_b32 s2, s15
	s_waitcnt lgkmcnt(0)
	v_cmp_lt_i64_e64 s3, s[12:13], s[16:17]
	s_delay_alu instid0(VALU_DEP_1)
	s_and_b32 vcc_lo, exec_lo, s3
	s_cbranch_vccnz .LBB106_2
; %bb.1:
	v_bfe_u32 v1, v0, 10, 10
	s_add_u32 s24, s0, 64
	s_addc_u32 s25, s1, 0
	s_mov_b32 s4, 0
	s_mov_b32 s3, s13
	s_branch .LBB106_3
.LBB106_2:
	s_mov_b32 s3, -1
                                        ; implicit-def: $sgpr4
                                        ; implicit-def: $sgpr24_sgpr25
                                        ; implicit-def: $vgpr1
.LBB106_3:
	s_load_b128 s[20:23], s[0:1], 0x30
	v_dual_mov_b32 v26, s4 :: v_dual_and_b32 v7, 0x3ff, v0
	v_mov_b32_e32 v43, s4
	s_and_not1_b32 vcc_lo, exec_lo, s3
	s_cbranch_vccnz .LBB106_9
; %bb.4:
	s_clause 0x2
	s_load_b32 s3, s[0:1], 0x4c
	s_load_b32 s15, s[0:1], 0x44
	s_load_b256 s[4:11], s[0:1], 0x10
	v_dual_mov_b32 v1, 0 :: v_dual_lshlrev_b32 v2, 5, v6
	s_add_u32 s24, s0, 64
	s_addc_u32 s25, s1, 0
	v_lshl_add_u32 v0, s14, 5, v7
	v_dual_mov_b32 v8, 4 :: v_dual_mov_b32 v9, 8
	v_dual_mov_b32 v10, 12 :: v_dual_mov_b32 v11, 16
	s_delay_alu instid0(VALU_DEP_3)
	v_lshlrev_b64 v[40:41], 1, v[0:1]
	v_dual_mov_b32 v12, 20 :: v_dual_mov_b32 v13, 24
	v_dual_mov_b32 v14, 28 :: v_dual_mov_b32 v15, 32
	;; [unrolled: 1-line block ×4, first 2 shown]
	s_waitcnt lgkmcnt(0)
	s_and_b32 s0, s3, 0xffff
	s_lshl_b32 s26, s15, 5
	v_mad_u32_u24 v3, v6, s0, v7
	v_add_co_u32 v42, s0, v2, s12
	s_delay_alu instid0(VALU_DEP_1) | instskip(NEXT) | instid1(VALU_DEP_3)
	v_add_co_ci_u32_e64 v43, null, 0, 0, s0
	v_dual_mov_b32 v25, 0x48 :: v_dual_and_b32 v26, 31, v3
	s_delay_alu instid0(VALU_DEP_3) | instskip(NEXT) | instid1(VALU_DEP_3)
	v_mul_lo_u32 v4, s19, v42
	v_mul_lo_u32 v5, s18, v43
	v_mad_u64_u32 v[2:3], null, s18, v42, 0
	s_mul_i32 s0, s19, s26
	s_mul_hi_u32 s1, s18, s26
	v_dual_mov_b32 v20, 52 :: v_dual_mov_b32 v21, 56
	v_dual_mov_b32 v22, 60 :: v_dual_mov_b32 v23, 64
	s_delay_alu instid0(VALU_DEP_3)
	v_add3_u32 v3, v3, v5, v4
	v_mov_b32_e32 v24, 0x44
	v_mov_b32_e32 v27, 0x4c
	;; [unrolled: 1-line block ×4, first 2 shown]
	v_lshlrev_b64 v[4:5], 1, v[2:3]
	v_add_co_u32 v2, vcc_lo, v42, v26
	v_mov_b32_e32 v26, 0
	v_add_co_ci_u32_e32 v3, vcc_lo, 0, v43, vcc_lo
	s_delay_alu instid0(VALU_DEP_4) | instskip(SKIP_1) | instid1(VALU_DEP_3)
	v_add_co_u32 v0, vcc_lo, v4, v40
	v_add_co_ci_u32_e32 v40, vcc_lo, v5, v41, vcc_lo
	v_lshlrev_b64 v[4:5], 2, v[2:3]
	v_mov_b32_e32 v30, 0x58
	v_mov_b32_e32 v31, 0x5c
	;; [unrolled: 1-line block ×11, first 2 shown]
	s_mov_b32 s27, 0
	s_add_i32 s1, s1, s0
	s_mul_i32 s0, s18, s26
	s_lshl_b64 s[28:29], s[26:27], 2
	s_lshl_b64 s[0:1], s[0:1], 1
	;; [unrolled: 1-line block ×3, first 2 shown]
	s_branch .LBB106_6
.LBB106_5:                              ;   in Loop: Header=BB106_6 Depth=1
	s_or_b32 exec_lo, exec_lo, s3
	v_add_co_u32 v45, vcc_lo, s6, v0
	v_add_co_ci_u32_e32 v46, vcc_lo, s7, v40, vcc_lo
	v_add_co_u32 v47, vcc_lo, s4, v0
	v_add_co_ci_u32_e32 v48, vcc_lo, s5, v40, vcc_lo
	global_load_u16 v44, v[45:46], off
	v_add_co_u32 v45, vcc_lo, v45, s30
	v_add_co_ci_u32_e32 v46, vcc_lo, s31, v46, vcc_lo
	v_add_co_u32 v50, vcc_lo, v47, s30
	v_add_co_ci_u32_e32 v51, vcc_lo, s31, v48, vcc_lo
	s_delay_alu instid0(VALU_DEP_4) | instskip(NEXT) | instid1(VALU_DEP_4)
	v_add_co_u32 v52, vcc_lo, v45, s30
	v_add_co_ci_u32_e32 v53, vcc_lo, s31, v46, vcc_lo
	s_delay_alu instid0(VALU_DEP_4) | instskip(NEXT) | instid1(VALU_DEP_4)
	v_add_co_u32 v54, vcc_lo, v50, s30
	v_add_co_ci_u32_e32 v55, vcc_lo, s31, v51, vcc_lo
	global_load_u16 v49, v[47:48], off
	global_load_u16 v48, v[45:46], off
	;; [unrolled: 1-line block ×5, first 2 shown]
	v_add_co_u32 v51, vcc_lo, v52, s30
	v_add_co_ci_u32_e32 v52, vcc_lo, s31, v53, vcc_lo
	v_add_co_u32 v53, vcc_lo, v54, s30
	v_add_co_ci_u32_e32 v54, vcc_lo, s31, v55, vcc_lo
	global_load_u16 v50, v[51:52], off
	v_add_co_u32 v55, vcc_lo, v53, s30
	v_add_co_ci_u32_e32 v56, vcc_lo, s31, v54, vcc_lo
	v_add_co_u32 v57, vcc_lo, v51, s30
	v_add_co_ci_u32_e32 v58, vcc_lo, s31, v52, vcc_lo
	s_delay_alu instid0(VALU_DEP_4) | instskip(NEXT) | instid1(VALU_DEP_4)
	v_add_co_u32 v59, vcc_lo, v55, s30
	v_add_co_ci_u32_e32 v60, vcc_lo, s31, v56, vcc_lo
	s_delay_alu instid0(VALU_DEP_4) | instskip(NEXT) | instid1(VALU_DEP_4)
	v_add_co_u32 v61, vcc_lo, v57, s30
	v_add_co_ci_u32_e32 v62, vcc_lo, s31, v58, vcc_lo
	s_clause 0x1
	global_load_u16 v52, v[53:54], off
	global_load_u16 v51, v[55:56], off
	global_load_u16 v53, v[57:58], off
	global_load_u16 v54, v[59:60], off
	global_load_u16 v55, v[61:62], off
	v_add_co_u32 v57, vcc_lo, v59, s30
	v_add_co_ci_u32_e32 v58, vcc_lo, s31, v60, vcc_lo
	v_add_co_u32 v59, vcc_lo, v61, s30
	v_add_co_ci_u32_e32 v60, vcc_lo, s31, v62, vcc_lo
	global_load_u16 v56, v[57:58], off
	v_add_co_u32 v57, vcc_lo, v57, s30
	v_add_co_ci_u32_e32 v58, vcc_lo, s31, v58, vcc_lo
	v_add_co_u32 v61, vcc_lo, v59, s30
	v_add_co_ci_u32_e32 v62, vcc_lo, s31, v60, vcc_lo
	s_delay_alu instid0(VALU_DEP_4) | instskip(NEXT) | instid1(VALU_DEP_4)
	v_add_co_u32 v63, vcc_lo, v57, s30
	v_add_co_ci_u32_e32 v64, vcc_lo, s31, v58, vcc_lo
	s_delay_alu instid0(VALU_DEP_4) | instskip(NEXT) | instid1(VALU_DEP_4)
	v_add_co_u32 v65, vcc_lo, v61, s30
	v_add_co_ci_u32_e32 v66, vcc_lo, s31, v62, vcc_lo
	global_load_u16 v60, v[59:60], off
	global_load_u16 v57, v[57:58], off
	global_load_u16 v58, v[61:62], off
	global_load_u16 v59, v[63:64], off
	global_load_u16 v61, v[65:66], off
	v_add_co_u32 v63, vcc_lo, v63, s30
	v_add_co_ci_u32_e32 v64, vcc_lo, s31, v64, vcc_lo
	v_add_co_u32 v65, vcc_lo, v65, s30
	v_add_co_ci_u32_e32 v66, vcc_lo, s31, v66, vcc_lo
	global_load_u16 v62, v[63:64], off
	v_add_co_u32 v63, vcc_lo, v63, s30
	v_add_co_ci_u32_e32 v64, vcc_lo, s31, v64, vcc_lo
	v_add_co_u32 v67, vcc_lo, v65, s30
	v_add_co_ci_u32_e32 v68, vcc_lo, s31, v66, vcc_lo
	s_delay_alu instid0(VALU_DEP_4) | instskip(NEXT) | instid1(VALU_DEP_4)
	v_add_co_u32 v69, vcc_lo, v63, s30
	v_add_co_ci_u32_e32 v70, vcc_lo, s31, v64, vcc_lo
	s_delay_alu instid0(VALU_DEP_4) | instskip(NEXT) | instid1(VALU_DEP_4)
	v_add_co_u32 v71, vcc_lo, v67, s30
	v_add_co_ci_u32_e32 v72, vcc_lo, s31, v68, vcc_lo
	;; [unrolled: 20-line block ×3, first 2 shown]
	global_load_u16 v73, v[71:72], off
	global_load_u16 v69, v[69:70], off
	;; [unrolled: 1-line block ×5, first 2 shown]
	v_add_co_u32 v75, vcc_lo, v76, s30
	v_add_co_ci_u32_e32 v76, vcc_lo, s31, v77, vcc_lo
	v_add_co_u32 v77, vcc_lo, v78, s30
	v_add_co_ci_u32_e32 v78, vcc_lo, s31, v79, vcc_lo
	s_delay_alu instid0(VALU_DEP_4) | instskip(NEXT) | instid1(VALU_DEP_4)
	v_add_co_u32 v79, vcc_lo, v75, s30
	v_add_co_ci_u32_e32 v80, vcc_lo, s31, v76, vcc_lo
	s_delay_alu instid0(VALU_DEP_4) | instskip(NEXT) | instid1(VALU_DEP_4)
	;; [unrolled: 3-line block ×4, first 2 shown]
	v_add_co_u32 v85, vcc_lo, v81, s30
	v_add_co_ci_u32_e32 v86, vcc_lo, s31, v82, vcc_lo
	global_load_u16 v74, v[75:76], off
	global_load_u16 v75, v[77:78], off
	;; [unrolled: 1-line block ×4, first 2 shown]
	v_add_co_u32 v80, vcc_lo, v83, s30
	v_add_co_ci_u32_e32 v81, vcc_lo, s31, v84, vcc_lo
	v_add_co_u32 v82, vcc_lo, v85, s30
	global_load_u16 v79, v[83:84], off
	global_load_u16 v78, v[85:86], off
	v_add_co_ci_u32_e32 v83, vcc_lo, s31, v86, vcc_lo
	v_add_co_u32 v84, vcc_lo, v80, s30
	v_add_co_ci_u32_e32 v85, vcc_lo, s31, v81, vcc_lo
	v_add_co_u32 v86, vcc_lo, v82, s30
	s_delay_alu instid0(VALU_DEP_4)
	v_add_co_ci_u32_e32 v87, vcc_lo, s31, v83, vcc_lo
	global_load_u16 v80, v[80:81], off
	v_add_co_u32 v81, vcc_lo, v84, s30
	global_load_u16 v88, v[82:83], off
	v_add_co_ci_u32_e32 v82, vcc_lo, s31, v85, vcc_lo
	v_add_co_u32 v83, vcc_lo, v86, s30
	global_load_u16 v89, v[84:85], off
	v_add_co_ci_u32_e32 v84, vcc_lo, s31, v87, vcc_lo
	;; [unrolled: 3-line block ×3, first 2 shown]
	global_load_u16 v90, v[81:82], off
	v_add_co_u32 v81, vcc_lo, v83, s30
	v_add_co_ci_u32_e32 v82, vcc_lo, s31, v84, vcc_lo
	global_load_u16 v91, v[83:84], off
	v_add_co_u32 v83, vcc_lo, v85, s30
	global_load_u16 v93, v[81:82], off
	v_add_co_ci_u32_e32 v84, vcc_lo, s31, v86, vcc_lo
	global_load_u16 v92, v[85:86], off
	v_add_co_u32 v85, vcc_lo, v81, s30
	v_add_co_ci_u32_e32 v86, vcc_lo, s31, v82, vcc_lo
	global_load_u16 v94, v[83:84], off
	global_load_u16 v95, v[85:86], off
	v_add_co_u32 v81, vcc_lo, v83, s30
	v_add_co_ci_u32_e32 v82, vcc_lo, s31, v84, vcc_lo
	v_add_co_u32 v83, vcc_lo, v85, s30
	v_add_co_ci_u32_e32 v84, vcc_lo, s31, v86, vcc_lo
	s_delay_alu instid0(VALU_DEP_4) | instskip(NEXT) | instid1(VALU_DEP_4)
	v_add_co_u32 v85, vcc_lo, v81, s30
	v_add_co_ci_u32_e32 v86, vcc_lo, s31, v82, vcc_lo
	global_load_u16 v96, v[81:82], off
	global_load_u16 v97, v[83:84], off
	;; [unrolled: 1-line block ×3, first 2 shown]
	v_add_co_u32 v81, vcc_lo, v83, s30
	v_add_co_ci_u32_e32 v82, vcc_lo, s31, v84, vcc_lo
	v_add_co_u32 v83, vcc_lo, v85, s30
	v_add_co_ci_u32_e32 v84, vcc_lo, s31, v86, vcc_lo
	global_load_u16 v99, v[81:82], off
	global_load_u16 v100, v[83:84], off
	v_add_co_u32 v81, vcc_lo, v81, s30
	v_add_co_ci_u32_e32 v82, vcc_lo, s31, v82, vcc_lo
	v_add_co_u32 v83, vcc_lo, v83, s30
	v_add_co_ci_u32_e32 v84, vcc_lo, s31, v84, vcc_lo
	global_load_u16 v101, v[81:82], off
	global_load_u16 v102, v[83:84], off
	;; [unrolled: 6-line block ×4, first 2 shown]
	v_add_co_u32 v81, vcc_lo, v81, s30
	v_add_co_ci_u32_e32 v82, vcc_lo, s31, v82, vcc_lo
	v_add_co_u32 v83, vcc_lo, v83, s30
	v_add_co_ci_u32_e32 v84, vcc_lo, s31, v84, vcc_lo
	global_load_u16 v107, v[81:82], off
	v_add_co_u32 v81, vcc_lo, v81, s30
	v_add_co_ci_u32_e32 v82, vcc_lo, s31, v82, vcc_lo
	global_load_u16 v108, v[83:84], off
	global_load_u16 v109, v[81:82], off
	v_add_co_u32 v83, vcc_lo, v83, s30
	v_add_co_ci_u32_e32 v84, vcc_lo, s31, v84, vcc_lo
	v_add_co_u32 v81, vcc_lo, v81, s30
	v_add_co_ci_u32_e32 v82, vcc_lo, s31, v82, vcc_lo
	global_load_u16 v110, v[83:84], off
	v_add_co_u32 v85, vcc_lo, v81, s30
	v_add_co_ci_u32_e32 v86, vcc_lo, s31, v82, vcc_lo
	global_load_u16 v111, v[81:82], off
	;; [unrolled: 3-line block ×3, first 2 shown]
	global_load_u16 v81, v[81:82], off
	s_waitcnt vmcnt(62)
	ds_bpermute_b32 v82, v1, v42
	ds_bpermute_b32 v84, v8, v42
	;; [unrolled: 1-line block ×7, first 2 shown]
	v_add_co_u32 v0, vcc_lo, v0, s0
	s_add_u32 s12, s12, s26
	v_add_co_ci_u32_e32 v40, vcc_lo, s1, v40, vcc_lo
	s_addc_u32 s13, s13, 0
	v_add_co_u32 v4, vcc_lo, v4, s28
	v_cmp_lt_i64_e64 s3, s[12:13], s[16:17]
	v_add_co_ci_u32_e32 v5, vcc_lo, s29, v5, vcc_lo
	v_add_co_u32 v2, vcc_lo, v2, s26
	v_add_co_ci_u32_e32 v3, vcc_lo, 0, v3, vcc_lo
	s_delay_alu instid0(VALU_DEP_4) | instskip(SKIP_2) | instid1(VALU_DEP_1)
	s_and_b32 vcc_lo, exec_lo, s3
	v_lshlrev_b32_e32 v44, 16, v44
	s_waitcnt lgkmcnt(6)
	v_sub_f32_e32 v44, v44, v82
	ds_bpermute_b32 v82, v9, v41
	v_lshlrev_b32_e32 v49, 16, v49
	s_waitcnt vmcnt(61)
	v_lshlrev_b32_e32 v48, 16, v48
	s_waitcnt vmcnt(60)
	;; [unrolled: 2-line block ×3, first 2 shown]
	v_lshlrev_b32_e32 v45, 16, v45
	v_mul_f32_e32 v44, v44, v49
	s_waitcnt lgkmcnt(6)
	v_dual_add_f32 v43, v43, v49 :: v_dual_sub_f32 v48, v48, v84
	v_lshlrev_b32_e32 v46, 16, v46
	ds_bpermute_b32 v84, v10, v41
	s_waitcnt lgkmcnt(6)
	v_dual_fmac_f32 v26, v44, v85 :: v_dual_add_f32 v43, v43, v47
	v_mul_f32_e32 v44, v48, v47
	s_waitcnt lgkmcnt(5)
	v_sub_f32_e32 v46, v46, v86
	ds_bpermute_b32 v85, v13, v42
	v_add_f32_e32 v43, v43, v45
	s_waitcnt vmcnt(55)
	v_lshlrev_b32_e32 v51, 16, v51
	s_waitcnt vmcnt(54) lgkmcnt(5)
	v_dual_fmac_f32 v26, v44, v112 :: v_dual_lshlrev_b32 v53, 16, v53
	s_waitcnt vmcnt(52)
	v_dual_mul_f32 v44, v46, v45 :: v_dual_lshlrev_b32 v55, 16, v55
	ds_bpermute_b32 v45, v19, v41
	s_waitcnt lgkmcnt(3)
	v_fmac_f32_e32 v26, v44, v82
	ds_bpermute_b32 v82, v14, v42
	s_waitcnt vmcnt(43)
	v_lshlrev_b32_e32 v49, 16, v63
	v_lshlrev_b32_e32 v48, 16, v50
	ds_bpermute_b32 v50, v12, v42
	v_sub_f32_e32 v46, v48, v113
	v_lshlrev_b32_e32 v48, 16, v52
	ds_bpermute_b32 v52, v11, v41
	v_mul_f32_e32 v44, v46, v48
	v_sub_f32_e32 v46, v53, v114
	ds_bpermute_b32 v53, v12, v41
	v_add_f32_e32 v43, v43, v48
	ds_bpermute_b32 v48, v20, v41
	s_waitcnt lgkmcnt(7)
	v_fmac_f32_e32 v26, v44, v84
	v_mul_f32_e32 v44, v46, v51
	v_add_f32_e32 v43, v43, v51
	s_waitcnt lgkmcnt(3)
	v_sub_f32_e32 v46, v55, v50
	v_lshlrev_b32_e32 v50, 16, v54
	ds_bpermute_b32 v54, v13, v41
	v_lshlrev_b32_e32 v55, 16, v60
	ds_bpermute_b32 v60, v15, v42
	s_waitcnt vmcnt(36) lgkmcnt(4)
	v_dual_fmac_f32 v26, v44, v52 :: v_dual_lshlrev_b32 v51, 16, v70
	v_mul_f32_e32 v44, v46, v50
	v_sub_f32_e32 v46, v55, v85
	ds_bpermute_b32 v55, v14, v41
	v_dual_add_f32 v43, v43, v50 :: v_dual_lshlrev_b32 v52, 16, v56
	v_lshlrev_b32_e32 v56, 16, v58
	ds_bpermute_b32 v58, v16, v42
	s_waitcnt lgkmcnt(5)
	v_dual_add_f32 v43, v43, v52 :: v_dual_fmac_f32 v26, v44, v53
	v_mul_f32_e32 v44, v46, v52
	v_sub_f32_e32 v46, v56, v82
	v_lshlrev_b32_e32 v56, 16, v57
	v_lshlrev_b32_e32 v57, 16, v61
	ds_bpermute_b32 v53, v15, v41
	ds_bpermute_b32 v61, v17, v42
	s_waitcnt lgkmcnt(5)
	v_dual_add_f32 v43, v43, v56 :: v_dual_fmac_f32 v26, v44, v54
	v_mul_f32_e32 v44, v46, v56
	s_waitcnt lgkmcnt(4)
	v_dual_sub_f32 v46, v57, v60 :: v_dual_lshlrev_b32 v57, 16, v59
	ds_bpermute_b32 v54, v16, v41
	s_waitcnt lgkmcnt(4)
	v_dual_fmac_f32 v26, v44, v55 :: v_dual_lshlrev_b32 v59, 16, v66
	v_lshlrev_b32_e32 v55, 16, v62
	v_add_f32_e32 v43, v43, v57
	ds_bpermute_b32 v60, v18, v42
	v_add_f32_e32 v43, v43, v55
	s_delay_alu instid0(VALU_DEP_1)
	v_add_f32_e32 v43, v43, v49
	v_mul_f32_e32 v44, v46, v57
	s_waitcnt lgkmcnt(4)
	v_sub_f32_e32 v46, v59, v58
	v_lshlrev_b32_e32 v58, 16, v65
	ds_bpermute_b32 v59, v17, v41
	s_waitcnt vmcnt(28) lgkmcnt(4)
	v_dual_fmac_f32 v26, v44, v53 :: v_dual_lshlrev_b32 v57, 16, v78
	s_waitcnt lgkmcnt(3)
	v_sub_f32_e32 v53, v58, v61
	ds_bpermute_b32 v61, v18, v41
	v_mul_f32_e32 v47, v53, v49
	s_waitcnt vmcnt(25)
	v_dual_mul_f32 v44, v46, v55 :: v_dual_lshlrev_b32 v49, 16, v89
	ds_bpermute_b32 v46, v19, v42
	ds_bpermute_b32 v55, v22, v42
	s_waitcnt vmcnt(22)
	v_lshlrev_b32_e32 v63, 16, v91
	s_waitcnt vmcnt(21) lgkmcnt(5)
	v_dual_fmac_f32 v26, v44, v54 :: v_dual_lshlrev_b32 v65, 16, v93
	ds_bpermute_b32 v44, v20, v42
	v_lshlrev_b32_e32 v54, 16, v64
	s_waitcnt vmcnt(20)
	v_lshlrev_b32_e32 v64, 16, v92
	v_lshlrev_b32_e32 v62, 16, v90
	s_delay_alu instid0(VALU_DEP_3)
	v_dual_add_f32 v43, v43, v54 :: v_dual_lshlrev_b32 v56, 16, v79
	v_lshlrev_b32_e32 v58, 16, v67
	s_waitcnt vmcnt(18)
	v_lshlrev_b32_e32 v67, 16, v95
	s_waitcnt lgkmcnt(4)
	v_dual_fmac_f32 v26, v47, v59 :: v_dual_lshlrev_b32 v59, 16, v88
	v_dual_sub_f32 v53, v58, v60 :: v_dual_lshlrev_b32 v58, 16, v73
	s_delay_alu instid0(VALU_DEP_1)
	v_mul_f32_e32 v47, v53, v54
	v_lshlrev_b32_e32 v53, 16, v68
	ds_bpermute_b32 v54, v23, v42
	s_waitcnt lgkmcnt(1)
	v_sub_f32_e32 v44, v51, v44
	v_dual_fmac_f32 v26, v47, v61 :: v_dual_lshlrev_b32 v51, 16, v76
	v_lshlrev_b32_e32 v47, 16, v69
	v_add_f32_e32 v43, v43, v53
	ds_bpermute_b32 v61, v21, v41
	s_waitcnt vmcnt(16)
	v_dual_mul_f32 v44, v44, v47 :: v_dual_lshlrev_b32 v69, 16, v97
	v_add_f32_e32 v43, v43, v47
	ds_bpermute_b32 v47, v25, v42
	v_sub_f32_e32 v46, v58, v46
	v_lshlrev_b32_e32 v58, 16, v80
	s_delay_alu instid0(VALU_DEP_2)
	v_mul_f32_e32 v46, v46, v53
	ds_bpermute_b32 v53, v24, v42
	v_fmac_f32_e32 v26, v46, v45
	ds_bpermute_b32 v46, v21, v42
	v_lshlrev_b32_e32 v45, 16, v72
	v_fmac_f32_e32 v26, v44, v48
	s_waitcnt lgkmcnt(2)
	v_dual_sub_f32 v47, v59, v47 :: v_dual_lshlrev_b32 v48, 16, v74
	s_delay_alu instid0(VALU_DEP_1) | instskip(NEXT) | instid1(VALU_DEP_1)
	v_dual_mul_f32 v47, v47, v58 :: v_dual_lshlrev_b32 v44, 16, v71
	v_add_f32_e32 v43, v43, v44
	s_delay_alu instid0(VALU_DEP_1)
	v_add_f32_e32 v43, v43, v48
	s_waitcnt lgkmcnt(0)
	v_sub_f32_e32 v45, v45, v46
	ds_bpermute_b32 v46, v22, v41
	v_add_f32_e32 v43, v43, v51
	v_dual_mul_f32 v45, v45, v44 :: v_dual_lshlrev_b32 v50, 16, v75
	ds_bpermute_b32 v44, v25, v41
	v_dual_add_f32 v43, v43, v56 :: v_dual_lshlrev_b32 v52, 16, v77
	v_sub_f32_e32 v50, v50, v55
	ds_bpermute_b32 v55, v23, v41
	v_dual_fmac_f32 v26, v45, v61 :: v_dual_add_f32 v43, v43, v58
	ds_bpermute_b32 v45, v24, v41
	v_sub_f32_e32 v52, v52, v54
	ds_bpermute_b32 v54, v27, v42
	s_waitcnt vmcnt(15)
	v_lshlrev_b32_e32 v61, 16, v98
	v_add_f32_e32 v43, v43, v49
	s_waitcnt vmcnt(8)
	v_lshlrev_b32_e32 v58, 16, v105
	s_waitcnt vmcnt(4)
	v_lshlrev_b32_e32 v59, 16, v109
	v_dual_add_f32 v43, v43, v62 :: v_dual_lshlrev_b32 v60, 16, v87
	s_delay_alu instid0(VALU_DEP_1) | instskip(SKIP_2) | instid1(VALU_DEP_1)
	v_add_f32_e32 v43, v43, v64
	v_mul_f32_e32 v50, v50, v48
	s_waitcnt lgkmcnt(4)
	v_fmac_f32_e32 v26, v50, v46
	v_mul_f32_e32 v46, v52, v51
	ds_bpermute_b32 v52, v28, v42
	v_sub_f32_e32 v50, v57, v53
	ds_bpermute_b32 v51, v30, v42
	v_lshlrev_b32_e32 v53, 16, v99
	s_waitcnt lgkmcnt(4)
	v_fmac_f32_e32 v26, v46, v55
	ds_bpermute_b32 v46, v27, v41
	v_mul_f32_e32 v48, v50, v56
	ds_bpermute_b32 v50, v29, v42
	v_lshlrev_b32_e32 v55, 16, v100
	s_waitcnt lgkmcnt(5)
	v_dual_fmac_f32 v26, v48, v45 :: v_dual_lshlrev_b32 v57, 16, v103
	ds_bpermute_b32 v45, v28, v41
	s_waitcnt lgkmcnt(5)
	v_sub_f32_e32 v48, v60, v54
	v_fmac_f32_e32 v26, v47, v44
	ds_bpermute_b32 v44, v29, v41
	v_mul_f32_e32 v47, v48, v49
	ds_bpermute_b32 v49, v33, v42
	s_waitcnt lgkmcnt(6)
	v_sub_f32_e32 v48, v63, v52
	ds_bpermute_b32 v52, v31, v42
	s_waitcnt lgkmcnt(5)
	v_fmac_f32_e32 v26, v47, v46
	ds_bpermute_b32 v46, v30, v41
	v_mul_f32_e32 v47, v48, v62
	s_waitcnt lgkmcnt(5)
	v_sub_f32_e32 v48, v65, v50
	ds_bpermute_b32 v50, v32, v42
	s_waitcnt lgkmcnt(5)
	v_dual_fmac_f32 v26, v47, v45 :: v_dual_mul_f32 v47, v48, v64
	v_sub_f32_e32 v48, v67, v51
	v_lshlrev_b32_e32 v68, 16, v96
	v_lshlrev_b32_e32 v66, 16, v94
	ds_bpermute_b32 v45, v31, v41
	s_waitcnt lgkmcnt(5)
	v_fmac_f32_e32 v26, v47, v44
	v_lshlrev_b32_e32 v51, 16, v104
	v_lshlrev_b32_e32 v56, 16, v102
	s_waitcnt lgkmcnt(3)
	v_dual_mul_f32 v47, v48, v66 :: v_dual_sub_f32 v48, v69, v52
	ds_bpermute_b32 v44, v32, v41
	ds_bpermute_b32 v52, v34, v42
	s_waitcnt lgkmcnt(4)
	v_dual_fmac_f32 v26, v47, v46 :: v_dual_mul_f32 v47, v48, v68
	v_add_f32_e32 v43, v43, v66
	ds_bpermute_b32 v46, v33, v41
	s_waitcnt lgkmcnt(4)
	v_sub_f32_e32 v48, v53, v50
	ds_bpermute_b32 v53, v35, v42
	v_add_f32_e32 v43, v43, v68
	s_waitcnt lgkmcnt(4)
	v_fmac_f32_e32 v26, v47, v45
	s_delay_alu instid0(VALU_DEP_2)
	v_add_f32_e32 v43, v43, v61
	v_mul_f32_e32 v45, v48, v61
	ds_bpermute_b32 v47, v34, v41
	v_dual_add_f32 v43, v43, v55 :: v_dual_lshlrev_b32 v54, 16, v101
	s_waitcnt lgkmcnt(4)
	v_fmac_f32_e32 v26, v45, v44
	ds_bpermute_b32 v45, v35, v41
	v_add_f32_e32 v43, v43, v56
	s_waitcnt lgkmcnt(2)
	v_sub_f32_e32 v53, v58, v53
	s_delay_alu instid0(VALU_DEP_2)
	v_dual_add_f32 v43, v43, v51 :: v_dual_sub_f32 v48, v54, v49
	ds_bpermute_b32 v54, v36, v42
	v_lshlrev_b32_e32 v49, 16, v107
	v_mul_f32_e32 v44, v48, v55
	v_sub_f32_e32 v48, v57, v52
	ds_bpermute_b32 v52, v37, v42
	v_lshlrev_b32_e32 v57, 16, v108
	ds_bpermute_b32 v55, v37, v41
	v_fmac_f32_e32 v26, v44, v46
	v_mul_f32_e32 v46, v48, v56
	ds_bpermute_b32 v44, v36, v41
	ds_bpermute_b32 v48, v38, v42
	;; [unrolled: 1-line block ×3, first 2 shown]
	s_waitcnt lgkmcnt(7)
	v_fmac_f32_e32 v26, v46, v47
	v_mul_f32_e32 v46, v53, v51
	ds_bpermute_b32 v53, v38, v41
	ds_bpermute_b32 v41, v39, v41
	s_waitcnt lgkmcnt(7)
	v_sub_f32_e32 v47, v49, v54
	s_waitcnt vmcnt(3)
	v_lshlrev_b32_e32 v49, 16, v110
	v_lshlrev_b32_e32 v50, 16, v106
	v_fmac_f32_e32 v26, v46, v45
	s_waitcnt lgkmcnt(6)
	v_sub_f32_e32 v46, v59, v52
	s_delay_alu instid0(VALU_DEP_3) | instskip(NEXT) | instid1(VALU_DEP_1)
	v_add_f32_e32 v43, v43, v50
	v_add_f32_e32 v43, v43, v57
	s_delay_alu instid0(VALU_DEP_1) | instskip(SKIP_2) | instid1(VALU_DEP_1)
	v_add_f32_e32 v43, v43, v49
	v_mul_f32_e32 v45, v47, v50
	s_waitcnt vmcnt(2) lgkmcnt(4)
	v_dual_fmac_f32 v26, v45, v44 :: v_dual_lshlrev_b32 v47, 16, v111
	s_waitcnt lgkmcnt(3)
	s_delay_alu instid0(VALU_DEP_1) | instskip(SKIP_3) | instid1(VALU_DEP_2)
	v_dual_mul_f32 v44, v46, v57 :: v_dual_sub_f32 v45, v47, v48
	s_waitcnt vmcnt(1)
	v_lshlrev_b32_e32 v46, 16, v83
	s_waitcnt vmcnt(0)
	v_dual_fmac_f32 v26, v44, v55 :: v_dual_lshlrev_b32 v47, 16, v81
	v_mul_f32_e32 v44, v45, v49
	s_waitcnt lgkmcnt(2)
	s_delay_alu instid0(VALU_DEP_2) | instskip(SKIP_1) | instid1(VALU_DEP_2)
	v_dual_sub_f32 v42, v46, v42 :: v_dual_add_f32 v43, v43, v47
	s_waitcnt lgkmcnt(1)
	v_fmac_f32_e32 v26, v44, v53
	s_delay_alu instid0(VALU_DEP_2) | instskip(SKIP_1) | instid1(VALU_DEP_1)
	v_mul_f32_e32 v42, v42, v47
	s_waitcnt lgkmcnt(0)
	v_fmac_f32_e32 v26, v42, v41
	s_cbranch_vccz .LBB106_8
.LBB106_6:                              ; =>This Inner Loop Header: Depth=1
	v_dual_mov_b32 v41, 0 :: v_dual_mov_b32 v42, 0
	s_mov_b32 s3, exec_lo
	v_cmpx_gt_i64_e64 s[16:17], v[2:3]
	s_cbranch_execz .LBB106_5
; %bb.7:                                ;   in Loop: Header=BB106_6 Depth=1
	v_add_co_u32 v41, vcc_lo, s8, v4
	v_add_co_ci_u32_e32 v42, vcc_lo, s9, v5, vcc_lo
	v_add_co_u32 v44, vcc_lo, s10, v4
	v_add_co_ci_u32_e32 v45, vcc_lo, s11, v5, vcc_lo
	global_load_b32 v42, v[41:42], off
	global_load_b32 v41, v[44:45], off
	s_branch .LBB106_5
.LBB106_8:
	v_mov_b32_e32 v1, v6
.LBB106_9:
	s_load_b32 s0, s[24:25], 0xc
	v_mov_b32_e32 v2, 0
	s_mov_b32 s15, 0
	s_waitcnt lgkmcnt(0)
	s_lshr_b32 s0, s0, 16
	s_delay_alu instid0(VALU_DEP_1) | instid1(SALU_CYCLE_1)
	v_mad_u64_u32 v[3:4], null, s0, s2, v[1:2]
	s_lshl_b64 s[0:1], s[14:15], 5
	s_cmp_eq_u64 s[20:21], 0
	v_add_co_u32 v0, s0, s0, v7
	s_delay_alu instid0(VALU_DEP_1) | instskip(NEXT) | instid1(VALU_DEP_3)
	v_add_co_ci_u32_e64 v1, null, s1, 0, s0
	v_mul_lo_u32 v2, v4, s18
	s_delay_alu instid0(VALU_DEP_4) | instskip(NEXT) | instid1(VALU_DEP_3)
	v_mul_lo_u32 v4, v3, s19
	v_lshlrev_b64 v[0:1], 1, v[0:1]
	s_cbranch_scc1 .LBB106_11
; %bb.10:
	v_mad_u64_u32 v[5:6], null, v3, s18, 0
	v_bfe_u32 v7, v26, 16, 1
	s_delay_alu instid0(VALU_DEP_1) | instskip(NEXT) | instid1(VALU_DEP_3)
	v_add3_u32 v7, v26, v7, 0x7fff
	v_add3_u32 v6, v6, v4, v2
	s_delay_alu instid0(VALU_DEP_2) | instskip(NEXT) | instid1(VALU_DEP_2)
	v_lshrrev_b32_e32 v7, 16, v7
	v_lshlrev_b64 v[5:6], 1, v[5:6]
	s_delay_alu instid0(VALU_DEP_1) | instskip(NEXT) | instid1(VALU_DEP_2)
	v_add_co_u32 v5, vcc_lo, s20, v5
	v_add_co_ci_u32_e32 v6, vcc_lo, s21, v6, vcc_lo
	v_cmp_o_f32_e32 vcc_lo, v26, v26
	v_cndmask_b32_e32 v7, 0x7fc0, v7, vcc_lo
	s_delay_alu instid0(VALU_DEP_4) | instskip(NEXT) | instid1(VALU_DEP_4)
	v_add_co_u32 v5, vcc_lo, v5, v0
	v_add_co_ci_u32_e32 v6, vcc_lo, v6, v1, vcc_lo
	global_store_b16 v[5:6], v7, off
.LBB106_11:
	s_cmp_eq_u64 s[22:23], 0
	s_cbranch_scc1 .LBB106_13
; %bb.12:
	v_mad_u64_u32 v[5:6], null, v3, s18, 0
	v_bfe_u32 v3, v43, 16, 1
	s_delay_alu instid0(VALU_DEP_2) | instskip(NEXT) | instid1(VALU_DEP_2)
	v_add3_u32 v6, v6, v4, v2
	v_add3_u32 v4, v43, v3, 0x7fff
	s_delay_alu instid0(VALU_DEP_2) | instskip(NEXT) | instid1(VALU_DEP_2)
	v_lshlrev_b64 v[2:3], 1, v[5:6]
	v_lshrrev_b32_e32 v4, 16, v4
	s_delay_alu instid0(VALU_DEP_2) | instskip(NEXT) | instid1(VALU_DEP_3)
	v_add_co_u32 v2, vcc_lo, s22, v2
	v_add_co_ci_u32_e32 v3, vcc_lo, s23, v3, vcc_lo
	v_cmp_o_f32_e32 vcc_lo, v43, v43
	s_delay_alu instid0(VALU_DEP_4) | instskip(NEXT) | instid1(VALU_DEP_4)
	v_cndmask_b32_e32 v4, 0x7fc0, v4, vcc_lo
	v_add_co_u32 v0, vcc_lo, v2, v0
	s_delay_alu instid0(VALU_DEP_4)
	v_add_co_ci_u32_e32 v1, vcc_lo, v3, v1, vcc_lo
	global_store_b16 v[0:1], v4, off
.LBB106_13:
	s_nop 0
	s_sendmsg sendmsg(MSG_DEALLOC_VGPRS)
	s_endpgm
	.section	.rodata,"a",@progbits
	.p2align	6, 0x0
	.amdhsa_kernel _ZN2at6native12_GLOBAL__N_135GammaBetaBackwardCUDAKernelTemplateIN3c108BFloat16EfLj32ELj1ELj32ELb1ELb1ELb0EEEvllPKT_S7_PKT0_SA_PS5_SB_
		.amdhsa_group_segment_fixed_size 0
		.amdhsa_private_segment_fixed_size 0
		.amdhsa_kernarg_size 320
		.amdhsa_user_sgpr_count 14
		.amdhsa_user_sgpr_dispatch_ptr 0
		.amdhsa_user_sgpr_queue_ptr 0
		.amdhsa_user_sgpr_kernarg_segment_ptr 1
		.amdhsa_user_sgpr_dispatch_id 0
		.amdhsa_user_sgpr_private_segment_size 0
		.amdhsa_wavefront_size32 1
		.amdhsa_uses_dynamic_stack 0
		.amdhsa_enable_private_segment 0
		.amdhsa_system_sgpr_workgroup_id_x 1
		.amdhsa_system_sgpr_workgroup_id_y 1
		.amdhsa_system_sgpr_workgroup_id_z 0
		.amdhsa_system_sgpr_workgroup_info 0
		.amdhsa_system_vgpr_workitem_id 1
		.amdhsa_next_free_vgpr 115
		.amdhsa_next_free_sgpr 32
		.amdhsa_reserve_vcc 1
		.amdhsa_float_round_mode_32 0
		.amdhsa_float_round_mode_16_64 0
		.amdhsa_float_denorm_mode_32 3
		.amdhsa_float_denorm_mode_16_64 3
		.amdhsa_dx10_clamp 1
		.amdhsa_ieee_mode 1
		.amdhsa_fp16_overflow 0
		.amdhsa_workgroup_processor_mode 1
		.amdhsa_memory_ordered 1
		.amdhsa_forward_progress 0
		.amdhsa_shared_vgpr_count 0
		.amdhsa_exception_fp_ieee_invalid_op 0
		.amdhsa_exception_fp_denorm_src 0
		.amdhsa_exception_fp_ieee_div_zero 0
		.amdhsa_exception_fp_ieee_overflow 0
		.amdhsa_exception_fp_ieee_underflow 0
		.amdhsa_exception_fp_ieee_inexact 0
		.amdhsa_exception_int_div_zero 0
	.end_amdhsa_kernel
	.section	.text._ZN2at6native12_GLOBAL__N_135GammaBetaBackwardCUDAKernelTemplateIN3c108BFloat16EfLj32ELj1ELj32ELb1ELb1ELb0EEEvllPKT_S7_PKT0_SA_PS5_SB_,"axG",@progbits,_ZN2at6native12_GLOBAL__N_135GammaBetaBackwardCUDAKernelTemplateIN3c108BFloat16EfLj32ELj1ELj32ELb1ELb1ELb0EEEvllPKT_S7_PKT0_SA_PS5_SB_,comdat
.Lfunc_end106:
	.size	_ZN2at6native12_GLOBAL__N_135GammaBetaBackwardCUDAKernelTemplateIN3c108BFloat16EfLj32ELj1ELj32ELb1ELb1ELb0EEEvllPKT_S7_PKT0_SA_PS5_SB_, .Lfunc_end106-_ZN2at6native12_GLOBAL__N_135GammaBetaBackwardCUDAKernelTemplateIN3c108BFloat16EfLj32ELj1ELj32ELb1ELb1ELb0EEEvllPKT_S7_PKT0_SA_PS5_SB_
                                        ; -- End function
	.section	.AMDGPU.csdata,"",@progbits
; Kernel info:
; codeLenInByte = 3948
; NumSgprs: 34
; NumVgprs: 115
; ScratchSize: 0
; MemoryBound: 0
; FloatMode: 240
; IeeeMode: 1
; LDSByteSize: 0 bytes/workgroup (compile time only)
; SGPRBlocks: 4
; VGPRBlocks: 14
; NumSGPRsForWavesPerEU: 34
; NumVGPRsForWavesPerEU: 115
; Occupancy: 12
; WaveLimiterHint : 0
; COMPUTE_PGM_RSRC2:SCRATCH_EN: 0
; COMPUTE_PGM_RSRC2:USER_SGPR: 14
; COMPUTE_PGM_RSRC2:TRAP_HANDLER: 0
; COMPUTE_PGM_RSRC2:TGID_X_EN: 1
; COMPUTE_PGM_RSRC2:TGID_Y_EN: 1
; COMPUTE_PGM_RSRC2:TGID_Z_EN: 0
; COMPUTE_PGM_RSRC2:TIDIG_COMP_CNT: 1
	.section	.text._ZN2at6native12_GLOBAL__N_135GammaBetaBackwardCUDAKernelTemplateIN3c108BFloat16EfLj32ELj1ELj32ELb1ELb0ELb0EEEvllPKT_S7_PKT0_SA_PS5_SB_,"axG",@progbits,_ZN2at6native12_GLOBAL__N_135GammaBetaBackwardCUDAKernelTemplateIN3c108BFloat16EfLj32ELj1ELj32ELb1ELb0ELb0EEEvllPKT_S7_PKT0_SA_PS5_SB_,comdat
	.globl	_ZN2at6native12_GLOBAL__N_135GammaBetaBackwardCUDAKernelTemplateIN3c108BFloat16EfLj32ELj1ELj32ELb1ELb0ELb0EEEvllPKT_S7_PKT0_SA_PS5_SB_ ; -- Begin function _ZN2at6native12_GLOBAL__N_135GammaBetaBackwardCUDAKernelTemplateIN3c108BFloat16EfLj32ELj1ELj32ELb1ELb0ELb0EEEvllPKT_S7_PKT0_SA_PS5_SB_
	.p2align	8
	.type	_ZN2at6native12_GLOBAL__N_135GammaBetaBackwardCUDAKernelTemplateIN3c108BFloat16EfLj32ELj1ELj32ELb1ELb0ELb0EEEvllPKT_S7_PKT0_SA_PS5_SB_,@function
_ZN2at6native12_GLOBAL__N_135GammaBetaBackwardCUDAKernelTemplateIN3c108BFloat16EfLj32ELj1ELj32ELb1ELb0ELb0EEEvllPKT_S7_PKT0_SA_PS5_SB_: ; @_ZN2at6native12_GLOBAL__N_135GammaBetaBackwardCUDAKernelTemplateIN3c108BFloat16EfLj32ELj1ELj32ELb1ELb0ELb0EEEvllPKT_S7_PKT0_SA_PS5_SB_
; %bb.0:
	s_clause 0x1
	s_load_b256 s[16:23], s[0:1], 0x0
	s_load_b128 s[8:11], s[0:1], 0x20
	s_mov_b32 s2, s15
	s_mov_b32 s5, 0
	s_lshl_b32 s6, s2, 5
	s_mov_b32 s7, s5
	s_lshl_b32 s15, s14, 5
	v_mov_b32_e32 v227, v0
	s_or_b32 s4, s15, 31
	s_waitcnt lgkmcnt(0)
	v_cmp_lt_i64_e64 s30, s[6:7], s[16:17]
	v_cmp_ge_i64_e64 s3, s[4:5], s[18:19]
	s_delay_alu instid0(VALU_DEP_2) | instskip(NEXT) | instid1(VALU_DEP_2)
	v_cndmask_b32_e64 v0, 0, 1, s30
	s_and_b32 vcc_lo, exec_lo, s3
	s_delay_alu instid0(VALU_DEP_1)
	v_cmp_ne_u32_e64 s3, 1, v0
	s_cbranch_vccz .LBB107_141
; %bb.1:
	v_dual_mov_b32 v144, 0 :: v_dual_mov_b32 v125, 0
	s_delay_alu instid0(VALU_DEP_2)
	s_and_b32 vcc_lo, exec_lo, s3
	s_cbranch_vccnz .LBB107_142
; %bb.2:
	v_bfe_u32 v9, v227, 10, 10
	s_load_b32 s4, s[0:1], 0x44
	v_dual_mov_b32 v2, 0 :: v_dual_and_b32 v11, 0x3ff, v227
	s_add_u32 s12, s0, 64
	s_delay_alu instid0(VALU_DEP_2) | instskip(SKIP_1) | instid1(VALU_DEP_2)
	v_lshlrev_b32_e32 v10, 5, v9
	s_addc_u32 s13, s1, 0
	v_dual_mov_b32 v12, v2 :: v_dual_add_nc_u32 v1, s15, v11
	v_mov_b32_e32 v140, 0
	s_delay_alu instid0(VALU_DEP_3) | instskip(NEXT) | instid1(VALU_DEP_1)
	v_add_co_u32 v5, s3, v10, s6
	v_add_co_ci_u32_e64 v6, null, 0, 0, s3
	s_delay_alu instid0(VALU_DEP_4) | instskip(NEXT) | instid1(VALU_DEP_3)
	v_cmp_gt_i64_e64 s3, s[18:19], v[1:2]
	v_add_co_u32 v0, vcc_lo, v5, 31
	s_delay_alu instid0(VALU_DEP_3) | instskip(SKIP_1) | instid1(VALU_DEP_3)
	v_add_co_ci_u32_e32 v3, vcc_lo, 0, v6, vcc_lo
	v_mad_u64_u32 v[134:135], null, s18, v5, 0
	v_mul_lo_u32 v4, s19, v0
	s_delay_alu instid0(VALU_DEP_3)
	v_mul_lo_u32 v3, s18, v3
	v_mad_u64_u32 v[7:8], null, s18, v0, 0
	v_add_co_u32 v0, vcc_lo, v5, 30
	v_add_co_ci_u32_e32 v13, vcc_lo, 0, v6, vcc_lo
	s_waitcnt lgkmcnt(0)
	s_lshl_b32 s31, s4, 5
	s_delay_alu instid0(VALU_DEP_2) | instskip(NEXT) | instid1(VALU_DEP_4)
	v_mul_lo_u32 v14, s19, v0
	v_add3_u32 v8, v8, v3, v4
	v_mul_lo_u32 v15, s18, v13
	v_mad_u64_u32 v[16:17], null, s18, v0, 0
	v_lshlrev_b64 v[3:4], 1, v[1:2]
	s_delay_alu instid0(VALU_DEP_4) | instskip(SKIP_4) | instid1(VALU_DEP_3)
	v_lshlrev_b64 v[7:8], 1, v[7:8]
	s_mul_i32 s4, s19, s31
	s_mul_hi_u32 s24, s18, s31
	s_mul_i32 s26, s18, s31
	s_add_i32 s27, s24, s4
	v_add3_u32 v17, v17, v15, v14
	v_add_co_u32 v1, vcc_lo, s20, v7
	v_add_co_ci_u32_e32 v13, vcc_lo, s21, v8, vcc_lo
	v_add_co_u32 v0, vcc_lo, v5, 29
	v_add_co_u32 v14, s4, s22, v7
	s_delay_alu instid0(VALU_DEP_1)
	v_add_co_ci_u32_e64 v15, s4, s23, v8, s4
	v_lshlrev_b64 v[7:8], 1, v[16:17]
	v_add_co_ci_u32_e32 v16, vcc_lo, 0, v6, vcc_lo
	v_add_co_u32 v17, vcc_lo, v5, 28
	v_add_co_ci_u32_e32 v19, vcc_lo, 0, v6, vcc_lo
	v_mul_lo_u32 v18, s19, v0
	s_delay_alu instid0(VALU_DEP_4)
	v_mul_lo_u32 v24, s18, v16
	v_mad_u64_u32 v[20:21], null, s18, v0, 0
	v_mul_lo_u32 v0, s19, v17
	v_mul_lo_u32 v25, s18, v19
	v_mad_u64_u32 v[22:23], null, s18, v17, 0
	v_add_co_u32 v16, vcc_lo, s20, v7
	v_add_co_ci_u32_e32 v17, vcc_lo, s21, v8, vcc_lo
	v_add3_u32 v21, v21, v24, v18
	v_add_co_u32 v18, vcc_lo, s22, v7
	v_add_co_ci_u32_e32 v19, vcc_lo, s23, v8, vcc_lo
	v_add3_u32 v23, v23, v25, v0
	v_add_co_u32 v0, vcc_lo, v5, 27
	v_add_co_ci_u32_e32 v24, vcc_lo, 0, v6, vcc_lo
	v_lshlrev_b64 v[7:8], 1, v[20:21]
	s_delay_alu instid0(VALU_DEP_3) | instskip(SKIP_1) | instid1(VALU_DEP_4)
	v_mul_lo_u32 v30, s19, v0
	v_mad_u64_u32 v[28:29], null, s18, v0, 0
	v_mul_lo_u32 v31, s18, v24
	v_lshlrev_b64 v[26:27], 1, v[22:23]
	v_add_co_u32 v20, vcc_lo, s20, v7
	v_add_co_ci_u32_e32 v21, vcc_lo, s21, v8, vcc_lo
	v_add_co_u32 v22, vcc_lo, s22, v7
	v_add_co_ci_u32_e32 v23, vcc_lo, s23, v8, vcc_lo
	v_add_co_u32 v24, vcc_lo, s20, v26
	v_add3_u32 v29, v29, v31, v30
	v_add_co_ci_u32_e32 v25, vcc_lo, s21, v27, vcc_lo
	v_add_co_u32 v0, vcc_lo, v5, 26
	s_delay_alu instid0(VALU_DEP_3) | instskip(SKIP_4) | instid1(VALU_DEP_4)
	v_lshlrev_b64 v[7:8], 1, v[28:29]
	v_add_co_ci_u32_e32 v28, vcc_lo, 0, v6, vcc_lo
	v_add_co_u32 v29, vcc_lo, v5, 25
	v_add_co_ci_u32_e32 v31, vcc_lo, 0, v6, vcc_lo
	v_mul_lo_u32 v30, s19, v0
	v_mul_lo_u32 v36, s18, v28
	v_mad_u64_u32 v[32:33], null, s18, v0, 0
	v_mul_lo_u32 v0, s19, v29
	v_mul_lo_u32 v37, s18, v31
	v_mad_u64_u32 v[34:35], null, s18, v29, 0
	v_add_co_u32 v28, vcc_lo, s20, v7
	v_add_co_ci_u32_e32 v29, vcc_lo, s21, v8, vcc_lo
	v_add3_u32 v33, v33, v36, v30
	v_add_co_u32 v30, vcc_lo, s22, v7
	v_add_co_ci_u32_e32 v31, vcc_lo, s23, v8, vcc_lo
	v_add3_u32 v35, v35, v37, v0
	v_add_co_u32 v0, vcc_lo, v5, 24
	v_add_co_ci_u32_e32 v36, vcc_lo, 0, v6, vcc_lo
	v_lshlrev_b64 v[7:8], 1, v[32:33]
	s_delay_alu instid0(VALU_DEP_3) | instskip(SKIP_1) | instid1(VALU_DEP_4)
	v_mul_lo_u32 v42, s19, v0
	v_mad_u64_u32 v[40:41], null, s18, v0, 0
	v_mul_lo_u32 v43, s18, v36
	v_lshlrev_b64 v[38:39], 1, v[34:35]
	v_add_co_u32 v32, vcc_lo, s20, v7
	v_add_co_ci_u32_e32 v33, vcc_lo, s21, v8, vcc_lo
	v_add_co_u32 v34, vcc_lo, s22, v7
	v_add_co_ci_u32_e32 v35, vcc_lo, s23, v8, vcc_lo
	v_add_co_u32 v36, vcc_lo, s20, v38
	v_add3_u32 v41, v41, v43, v42
	v_add_co_ci_u32_e32 v37, vcc_lo, s21, v39, vcc_lo
	v_add_co_u32 v0, vcc_lo, v5, 23
	s_delay_alu instid0(VALU_DEP_3) | instskip(SKIP_4) | instid1(VALU_DEP_4)
	v_lshlrev_b64 v[7:8], 1, v[40:41]
	v_add_co_ci_u32_e32 v40, vcc_lo, 0, v6, vcc_lo
	v_add_co_u32 v41, vcc_lo, v5, 22
	v_add_co_ci_u32_e32 v43, vcc_lo, 0, v6, vcc_lo
	v_mul_lo_u32 v42, s19, v0
	v_mul_lo_u32 v48, s18, v40
	v_mad_u64_u32 v[44:45], null, s18, v0, 0
	v_mul_lo_u32 v0, s19, v41
	v_mul_lo_u32 v49, s18, v43
	v_mad_u64_u32 v[46:47], null, s18, v41, 0
	v_add_co_u32 v40, vcc_lo, s20, v7
	v_add_co_ci_u32_e32 v41, vcc_lo, s21, v8, vcc_lo
	v_add3_u32 v45, v45, v48, v42
	v_add_co_u32 v42, vcc_lo, s22, v7
	v_add_co_ci_u32_e32 v43, vcc_lo, s23, v8, vcc_lo
	v_add3_u32 v47, v47, v49, v0
	v_add_co_u32 v0, vcc_lo, v5, 21
	v_add_co_ci_u32_e32 v48, vcc_lo, 0, v6, vcc_lo
	v_lshlrev_b64 v[7:8], 1, v[44:45]
	s_delay_alu instid0(VALU_DEP_3) | instskip(SKIP_1) | instid1(VALU_DEP_4)
	v_mul_lo_u32 v54, s19, v0
	v_mad_u64_u32 v[52:53], null, s18, v0, 0
	v_mul_lo_u32 v55, s18, v48
	v_lshlrev_b64 v[50:51], 1, v[46:47]
	v_add_co_u32 v44, vcc_lo, s20, v7
	v_add_co_ci_u32_e32 v45, vcc_lo, s21, v8, vcc_lo
	v_add_co_u32 v46, vcc_lo, s22, v7
	v_add_co_ci_u32_e32 v47, vcc_lo, s23, v8, vcc_lo
	v_add_co_u32 v48, vcc_lo, s20, v50
	v_add3_u32 v53, v53, v55, v54
	v_add_co_ci_u32_e32 v49, vcc_lo, s21, v51, vcc_lo
	v_add_co_u32 v0, vcc_lo, v5, 20
	s_delay_alu instid0(VALU_DEP_3) | instskip(SKIP_2) | instid1(VALU_DEP_4)
	v_lshlrev_b64 v[7:8], 1, v[52:53]
	v_add_co_ci_u32_e32 v52, vcc_lo, 0, v6, vcc_lo
	v_add_co_u32 v54, vcc_lo, v5, 19
	v_mul_lo_u32 v53, s19, v0
	v_add_co_ci_u32_e32 v57, vcc_lo, 0, v6, vcc_lo
	s_delay_alu instid0(VALU_DEP_4) | instskip(SKIP_2) | instid1(VALU_DEP_4)
	v_mul_lo_u32 v59, s18, v52
	v_mad_u64_u32 v[55:56], null, s18, v0, 0
	v_mul_lo_u32 v60, s19, v54
	v_mul_lo_u32 v61, s18, v57
	v_mad_u64_u32 v[57:58], null, s18, v54, 0
	v_add_co_u32 v0, vcc_lo, s20, v7
	v_add_co_ci_u32_e32 v52, vcc_lo, s21, v8, vcc_lo
	v_add3_u32 v56, v56, v59, v53
	v_add_co_u32 v53, vcc_lo, s22, v7
	v_add_co_ci_u32_e32 v54, vcc_lo, s23, v8, vcc_lo
	v_add_co_u32 v59, vcc_lo, v5, 18
	v_add3_u32 v58, v58, v61, v60
	v_add_co_ci_u32_e32 v60, vcc_lo, 0, v6, vcc_lo
	v_lshlrev_b64 v[7:8], 1, v[55:56]
	s_delay_alu instid0(VALU_DEP_4) | instskip(SKIP_1) | instid1(VALU_DEP_4)
	v_mul_lo_u32 v65, s19, v59
	v_mad_u64_u32 v[63:64], null, s18, v59, 0
	v_mul_lo_u32 v66, s18, v60
	v_lshlrev_b64 v[61:62], 1, v[57:58]
	v_add_co_u32 v55, vcc_lo, s20, v7
	v_add_co_ci_u32_e32 v56, vcc_lo, s21, v8, vcc_lo
	v_add_co_u32 v57, vcc_lo, s22, v7
	v_add_co_ci_u32_e32 v58, vcc_lo, s23, v8, vcc_lo
	v_add_co_u32 v59, vcc_lo, s20, v61
	v_add3_u32 v64, v64, v66, v65
	v_add_co_ci_u32_e32 v60, vcc_lo, s21, v62, vcc_lo
	v_add_co_u32 v65, vcc_lo, v5, 17
	s_delay_alu instid0(VALU_DEP_3) | instskip(SKIP_4) | instid1(VALU_DEP_4)
	v_lshlrev_b64 v[7:8], 1, v[63:64]
	v_add_co_ci_u32_e32 v63, vcc_lo, 0, v6, vcc_lo
	v_add_co_u32 v64, vcc_lo, v5, 16
	v_add_co_ci_u32_e32 v69, vcc_lo, 0, v6, vcc_lo
	v_mul_lo_u32 v66, s19, v65
	v_mul_lo_u32 v71, s18, v63
	v_mad_u64_u32 v[67:68], null, s18, v65, 0
	v_mul_lo_u32 v72, s19, v64
	v_mul_lo_u32 v73, s18, v69
	v_mad_u64_u32 v[69:70], null, s18, v64, 0
	v_add_co_u32 v63, vcc_lo, s20, v7
	v_add_co_ci_u32_e32 v64, vcc_lo, s21, v8, vcc_lo
	v_add_co_u32 v65, vcc_lo, s22, v7
	v_add3_u32 v68, v68, v71, v66
	v_add_co_ci_u32_e32 v66, vcc_lo, s23, v8, vcc_lo
	v_add_co_u32 v71, vcc_lo, v5, 15
	v_add3_u32 v70, v70, v73, v72
	v_add_co_ci_u32_e32 v72, vcc_lo, 0, v6, vcc_lo
	v_lshlrev_b64 v[7:8], 1, v[67:68]
	s_delay_alu instid0(VALU_DEP_4) | instskip(SKIP_1) | instid1(VALU_DEP_4)
	v_mul_lo_u32 v77, s19, v71
	v_mad_u64_u32 v[75:76], null, s18, v71, 0
	v_mul_lo_u32 v78, s18, v72
	v_lshlrev_b64 v[73:74], 1, v[69:70]
	v_add_co_u32 v67, vcc_lo, s20, v7
	v_add_co_ci_u32_e32 v68, vcc_lo, s21, v8, vcc_lo
	v_add_co_u32 v69, vcc_lo, s22, v7
	v_add_co_ci_u32_e32 v70, vcc_lo, s23, v8, vcc_lo
	v_add_co_u32 v71, vcc_lo, s20, v73
	v_add3_u32 v76, v76, v78, v77
	v_add_co_ci_u32_e32 v72, vcc_lo, s21, v74, vcc_lo
	v_add_co_u32 v77, vcc_lo, v5, 14
	s_delay_alu instid0(VALU_DEP_3) | instskip(SKIP_4) | instid1(VALU_DEP_4)
	v_lshlrev_b64 v[7:8], 1, v[75:76]
	v_add_co_ci_u32_e32 v75, vcc_lo, 0, v6, vcc_lo
	v_add_co_u32 v76, vcc_lo, v5, 13
	v_add_co_ci_u32_e32 v81, vcc_lo, 0, v6, vcc_lo
	v_mul_lo_u32 v78, s19, v77
	v_mul_lo_u32 v83, s18, v75
	v_mad_u64_u32 v[79:80], null, s18, v77, 0
	v_mul_lo_u32 v84, s19, v76
	v_mul_lo_u32 v85, s18, v81
	v_mad_u64_u32 v[81:82], null, s18, v76, 0
	v_add_co_u32 v75, vcc_lo, s20, v7
	v_add_co_ci_u32_e32 v76, vcc_lo, s21, v8, vcc_lo
	v_add_co_u32 v77, vcc_lo, s22, v7
	v_add3_u32 v80, v80, v83, v78
	;; [unrolled: 33-line block ×4, first 2 shown]
	v_add_co_ci_u32_e32 v102, vcc_lo, s23, v8, vcc_lo
	v_add_co_u32 v107, vcc_lo, v5, 6
	v_add3_u32 v106, v106, v109, v108
	v_add_co_ci_u32_e32 v108, vcc_lo, 0, v6, vcc_lo
	v_lshlrev_b64 v[7:8], 1, v[103:104]
	s_delay_alu instid0(VALU_DEP_4) | instskip(SKIP_1) | instid1(VALU_DEP_4)
	v_mul_lo_u32 v113, s19, v107
	v_mad_u64_u32 v[111:112], null, s18, v107, 0
	v_mul_lo_u32 v114, s18, v108
	v_lshlrev_b64 v[109:110], 1, v[105:106]
	v_add_co_u32 v103, vcc_lo, s20, v7
	v_add_co_ci_u32_e32 v104, vcc_lo, s21, v8, vcc_lo
	v_add_co_u32 v105, vcc_lo, s22, v7
	v_add_co_ci_u32_e32 v106, vcc_lo, s23, v8, vcc_lo
	v_add_co_u32 v107, vcc_lo, s20, v109
	v_add3_u32 v112, v112, v114, v113
	v_add_co_ci_u32_e32 v108, vcc_lo, s21, v110, vcc_lo
	v_add_co_u32 v113, vcc_lo, v5, 5
	s_delay_alu instid0(VALU_DEP_3) | instskip(SKIP_2) | instid1(VALU_DEP_4)
	v_lshlrev_b64 v[7:8], 1, v[111:112]
	v_add_co_ci_u32_e32 v111, vcc_lo, 0, v6, vcc_lo
	v_add_co_u32 v112, vcc_lo, v5, 4
	v_mul_lo_u32 v114, s19, v113
	s_delay_alu instid0(VALU_DEP_3) | instskip(SKIP_4) | instid1(VALU_DEP_3)
	v_mul_lo_u32 v119, s18, v111
	v_mad_u64_u32 v[115:116], null, s18, v113, 0
	v_add_co_ci_u32_e32 v117, vcc_lo, 0, v6, vcc_lo
	v_mul_lo_u32 v120, s19, v112
	v_add_co_u32 v111, vcc_lo, s20, v7
	v_mul_lo_u32 v121, s18, v117
	v_mad_u64_u32 v[117:118], null, s18, v112, 0
	v_add3_u32 v116, v116, v119, v114
	v_add_co_ci_u32_e32 v112, vcc_lo, s21, v8, vcc_lo
	v_add_co_u32 v113, vcc_lo, s22, v7
	v_add_co_ci_u32_e32 v114, vcc_lo, s23, v8, vcc_lo
	s_delay_alu instid0(VALU_DEP_4) | instskip(SKIP_3) | instid1(VALU_DEP_4)
	v_lshlrev_b64 v[7:8], 1, v[115:116]
	v_add_co_u32 v119, vcc_lo, v5, 3
	v_add3_u32 v118, v118, v121, v120
	v_add_co_ci_u32_e32 v120, vcc_lo, 0, v6, vcc_lo
	v_add_co_u32 v115, vcc_lo, s20, v7
	s_delay_alu instid0(VALU_DEP_3) | instskip(SKIP_1) | instid1(VALU_DEP_4)
	v_lshlrev_b64 v[121:122], 1, v[117:118]
	v_mul_lo_u32 v125, s19, v119
	v_mul_lo_u32 v126, s18, v120
	v_mad_u64_u32 v[123:124], null, s18, v119, 0
	v_add_co_ci_u32_e32 v116, vcc_lo, s21, v8, vcc_lo
	v_add_co_u32 v117, vcc_lo, s22, v7
	v_add_co_ci_u32_e32 v118, vcc_lo, s23, v8, vcc_lo
	v_add_co_u32 v119, vcc_lo, s20, v121
	v_add_co_ci_u32_e32 v120, vcc_lo, s21, v122, vcc_lo
	v_add3_u32 v124, v124, v126, v125
	v_add_co_u32 v125, vcc_lo, v5, 2
	v_add_co_ci_u32_e32 v126, vcc_lo, 0, v6, vcc_lo
	s_delay_alu instid0(VALU_DEP_3) | instskip(NEXT) | instid1(VALU_DEP_3)
	v_lshlrev_b64 v[7:8], 1, v[123:124]
	v_mul_lo_u32 v127, s19, v125
	v_mad_u64_u32 v[128:129], null, s18, v125, 0
	s_delay_alu instid0(VALU_DEP_4)
	v_mul_lo_u32 v126, s18, v126
	v_mul_lo_u32 v125, s19, v5
	;; [unrolled: 1-line block ×3, first 2 shown]
	v_add_co_u32 v121, vcc_lo, s22, v121
	v_add_co_ci_u32_e32 v122, vcc_lo, s23, v122, vcc_lo
	v_add_co_u32 v123, vcc_lo, s20, v7
	v_add_co_ci_u32_e32 v124, vcc_lo, s21, v8, vcc_lo
	v_add3_u32 v129, v129, v126, v127
	v_add_co_u32 v126, vcc_lo, s22, v7
	v_add3_u32 v135, v135, v6, v125
	v_add_co_ci_u32_e32 v127, vcc_lo, s23, v8, vcc_lo
	v_add_co_u32 v7, vcc_lo, v134, s18
	v_add_co_u32 v26, s4, s22, v26
	v_lshlrev_b64 v[5:6], 1, v[128:129]
	v_add_co_ci_u32_e32 v8, vcc_lo, s19, v135, vcc_lo
	v_add_co_ci_u32_e64 v27, s4, s23, v27, s4
	v_add_co_u32 v38, s4, s22, v38
	s_delay_alu instid0(VALU_DEP_1)
	v_add_co_ci_u32_e64 v39, s4, s23, v39, s4
	v_add_co_u32 v50, s4, s22, v50
	v_add_co_u32 v128, vcc_lo, s20, v5
	v_lshlrev_b64 v[7:8], 1, v[7:8]
	v_add_co_ci_u32_e64 v51, s4, s23, v51, s4
	v_add_co_ci_u32_e32 v129, vcc_lo, s21, v6, vcc_lo
	v_add_co_u32 v61, s4, s22, v61
	v_add_co_u32 v130, vcc_lo, s22, v5
	v_add_co_ci_u32_e64 v62, s4, s23, v62, s4
	v_add_co_ci_u32_e32 v131, vcc_lo, s23, v6, vcc_lo
	v_add_co_u32 v73, s4, s22, v73
	v_add_co_u32 v132, vcc_lo, s20, v7
	v_lshlrev_b64 v[5:6], 1, v[134:135]
	v_add_co_ci_u32_e64 v74, s4, s23, v74, s4
	v_add_co_ci_u32_e32 v133, vcc_lo, s21, v8, vcc_lo
	v_add_co_u32 v85, s4, s22, v85
	v_add_co_u32 v134, vcc_lo, s22, v7
	v_add_co_ci_u32_e64 v86, s4, s23, v86, s4
	v_add_co_ci_u32_e32 v135, vcc_lo, s23, v8, vcc_lo
	v_add_co_u32 v97, s4, s22, v97
	v_add_co_u32 v136, vcc_lo, s20, v5
	;; [unrolled: 4-line block ×3, first 2 shown]
	v_add_co_ci_u32_e64 v110, s4, s23, v110, s4
	v_add_co_ci_u32_e32 v139, vcc_lo, s23, v6, vcc_lo
	v_mov_b32_e32 v125, 0
	s_mov_b64 s[24:25], 31
	s_lshl_b64 s[26:27], s[26:27], 1
	s_mov_b64 s[28:29], s[6:7]
.LBB107_3:                              ; =>This Inner Loop Header: Depth=1
	s_add_u32 s34, s6, s24
	s_addc_u32 s35, 0, s25
	v_add_co_u32 v5, vcc_lo, s6, v10
	v_cmp_ge_i64_e64 s4, s[34:35], s[16:17]
	v_add_co_ci_u32_e32 v6, vcc_lo, 0, v12, vcc_lo
	s_delay_alu instid0(VALU_DEP_2)
	s_and_b32 vcc_lo, exec_lo, s4
	s_cbranch_vccz .LBB107_71
; %bb.4:                                ;   in Loop: Header=BB107_3 Depth=1
	s_load_b32 s4, s[12:13], 0xc
	v_mov_b32_e32 v143, 0
	v_dual_mov_b32 v141, 0 :: v_dual_mov_b32 v142, 0
	s_waitcnt lgkmcnt(0)
	s_and_b32 s4, s4, 0xffff
	s_delay_alu instid0(SALU_CYCLE_1) | instskip(SKIP_1) | instid1(VALU_DEP_1)
	v_mad_u32_u24 v7, v9, s4, v11
	s_mov_b32 s4, exec_lo
	v_and_b32_e32 v7, 31, v7
	s_delay_alu instid0(VALU_DEP_1) | instskip(SKIP_1) | instid1(VALU_DEP_1)
	v_add_co_u32 v7, vcc_lo, v5, v7
	v_add_co_ci_u32_e32 v8, vcc_lo, 0, v6, vcc_lo
	v_cmpx_gt_i64_e64 s[16:17], v[7:8]
	s_cbranch_execz .LBB107_6
; %bb.5:                                ;   in Loop: Header=BB107_3 Depth=1
	v_lshlrev_b64 v[7:8], 2, v[7:8]
	s_delay_alu instid0(VALU_DEP_1) | instskip(NEXT) | instid1(VALU_DEP_2)
	v_add_co_u32 v141, vcc_lo, s8, v7
	v_add_co_ci_u32_e32 v142, vcc_lo, s9, v8, vcc_lo
	v_add_co_u32 v7, vcc_lo, s10, v7
	v_add_co_ci_u32_e32 v8, vcc_lo, s11, v8, vcc_lo
	global_load_b32 v141, v[141:142], off
	global_load_b32 v142, v[7:8], off
.LBB107_6:                              ;   in Loop: Header=BB107_3 Depth=1
	s_or_b32 exec_lo, exec_lo, s4
	v_cmp_gt_i64_e32 vcc_lo, s[16:17], v[5:6]
	v_mov_b32_e32 v7, 0
	s_and_b32 s33, s3, vcc_lo
	s_delay_alu instid0(SALU_CYCLE_1)
	s_and_saveexec_b32 s4, s33
	s_cbranch_execz .LBB107_8
; %bb.7:                                ;   in Loop: Header=BB107_3 Depth=1
	v_add_co_u32 v7, vcc_lo, v138, v3
	v_add_co_ci_u32_e32 v8, vcc_lo, v139, v4, vcc_lo
	v_add_co_u32 v143, vcc_lo, v136, v3
	v_add_co_ci_u32_e32 v144, vcc_lo, v137, v4, vcc_lo
	global_load_u16 v7, v[7:8], off
	global_load_u16 v8, v[143:144], off
	s_waitcnt vmcnt(1)
	v_lshlrev_b32_e32 v143, 16, v7
	s_waitcnt vmcnt(0)
	v_lshlrev_b32_e32 v7, 16, v8
.LBB107_8:                              ;   in Loop: Header=BB107_3 Depth=1
	s_or_b32 exec_lo, exec_lo, s4
	v_add_co_u32 v144, vcc_lo, v5, 1
	v_add_co_ci_u32_e32 v145, vcc_lo, 0, v6, vcc_lo
	v_mov_b32_e32 v8, 0
	s_delay_alu instid0(VALU_DEP_2) | instskip(SKIP_2) | instid1(SALU_CYCLE_1)
	v_cmp_gt_i64_e32 vcc_lo, s[16:17], v[144:145]
	v_dual_mov_b32 v144, 0 :: v_dual_mov_b32 v145, 0
	s_and_b32 s33, s3, vcc_lo
	s_and_saveexec_b32 s4, s33
	s_cbranch_execz .LBB107_10
; %bb.9:                                ;   in Loop: Header=BB107_3 Depth=1
	v_add_co_u32 v145, vcc_lo, v134, v3
	v_add_co_ci_u32_e32 v146, vcc_lo, v135, v4, vcc_lo
	v_add_co_u32 v147, vcc_lo, v132, v3
	v_add_co_ci_u32_e32 v148, vcc_lo, v133, v4, vcc_lo
	global_load_u16 v8, v[145:146], off
	global_load_u16 v146, v[147:148], off
	s_waitcnt vmcnt(1)
	v_lshlrev_b32_e32 v145, 16, v8
	s_waitcnt vmcnt(0)
	v_lshlrev_b32_e32 v8, 16, v146
.LBB107_10:                             ;   in Loop: Header=BB107_3 Depth=1
	s_or_b32 exec_lo, exec_lo, s4
	v_add_co_u32 v146, vcc_lo, v5, 2
	v_add_co_ci_u32_e32 v147, vcc_lo, 0, v6, vcc_lo
	s_delay_alu instid0(VALU_DEP_1) | instskip(SKIP_2) | instid1(SALU_CYCLE_1)
	v_cmp_gt_i64_e32 vcc_lo, s[16:17], v[146:147]
	v_mov_b32_e32 v146, 0
	s_and_b32 s33, s3, vcc_lo
	s_and_saveexec_b32 s4, s33
	s_cbranch_execz .LBB107_12
; %bb.11:                               ;   in Loop: Header=BB107_3 Depth=1
	v_add_co_u32 v146, vcc_lo, v130, v3
	v_add_co_ci_u32_e32 v147, vcc_lo, v131, v4, vcc_lo
	v_add_co_u32 v148, vcc_lo, v128, v3
	v_add_co_ci_u32_e32 v149, vcc_lo, v129, v4, vcc_lo
	global_load_u16 v144, v[146:147], off
	global_load_u16 v146, v[148:149], off
	s_waitcnt vmcnt(1)
	v_lshlrev_b32_e32 v144, 16, v144
	s_waitcnt vmcnt(0)
	v_lshlrev_b32_e32 v146, 16, v146
.LBB107_12:                             ;   in Loop: Header=BB107_3 Depth=1
	s_or_b32 exec_lo, exec_lo, s4
	v_add_co_u32 v147, vcc_lo, v5, 3
	v_add_co_ci_u32_e32 v148, vcc_lo, 0, v6, vcc_lo
	v_mov_b32_e32 v149, 0
	s_delay_alu instid0(VALU_DEP_2) | instskip(SKIP_2) | instid1(SALU_CYCLE_1)
	v_cmp_gt_i64_e32 vcc_lo, s[16:17], v[147:148]
	v_dual_mov_b32 v148, 0 :: v_dual_mov_b32 v147, 0
	s_and_b32 s33, s3, vcc_lo
	s_and_saveexec_b32 s4, s33
	s_cbranch_execz .LBB107_14
; %bb.13:                               ;   in Loop: Header=BB107_3 Depth=1
	v_add_co_u32 v149, vcc_lo, v126, v3
	v_add_co_ci_u32_e32 v150, vcc_lo, v127, v4, vcc_lo
	v_add_co_u32 v151, vcc_lo, v123, v3
	v_add_co_ci_u32_e32 v152, vcc_lo, v124, v4, vcc_lo
	global_load_u16 v147, v[149:150], off
	global_load_u16 v150, v[151:152], off
	s_waitcnt vmcnt(1)
	v_lshlrev_b32_e32 v149, 16, v147
	s_waitcnt vmcnt(0)
	v_lshlrev_b32_e32 v147, 16, v150
.LBB107_14:                             ;   in Loop: Header=BB107_3 Depth=1
	s_or_b32 exec_lo, exec_lo, s4
	v_add_co_u32 v150, vcc_lo, v5, 4
	v_add_co_ci_u32_e32 v151, vcc_lo, 0, v6, vcc_lo
	s_delay_alu instid0(VALU_DEP_1) | instskip(SKIP_2) | instid1(SALU_CYCLE_1)
	v_cmp_gt_i64_e32 vcc_lo, s[16:17], v[150:151]
	v_mov_b32_e32 v150, 0
	s_and_b32 s33, s3, vcc_lo
	s_and_saveexec_b32 s4, s33
	s_cbranch_execz .LBB107_16
; %bb.15:                               ;   in Loop: Header=BB107_3 Depth=1
	v_add_co_u32 v150, vcc_lo, v121, v3
	v_add_co_ci_u32_e32 v151, vcc_lo, v122, v4, vcc_lo
	v_add_co_u32 v152, vcc_lo, v119, v3
	v_add_co_ci_u32_e32 v153, vcc_lo, v120, v4, vcc_lo
	global_load_u16 v148, v[150:151], off
	global_load_u16 v150, v[152:153], off
	s_waitcnt vmcnt(1)
	v_lshlrev_b32_e32 v148, 16, v148
	s_waitcnt vmcnt(0)
	v_lshlrev_b32_e32 v150, 16, v150
.LBB107_16:                             ;   in Loop: Header=BB107_3 Depth=1
	s_or_b32 exec_lo, exec_lo, s4
	v_add_co_u32 v151, vcc_lo, v5, 5
	v_add_co_ci_u32_e32 v152, vcc_lo, 0, v6, vcc_lo
	v_mov_b32_e32 v153, 0
	s_delay_alu instid0(VALU_DEP_2) | instskip(SKIP_2) | instid1(SALU_CYCLE_1)
	v_cmp_gt_i64_e32 vcc_lo, s[16:17], v[151:152]
	v_dual_mov_b32 v152, 0 :: v_dual_mov_b32 v151, 0
	s_and_b32 s33, s3, vcc_lo
	s_and_saveexec_b32 s4, s33
	s_cbranch_execz .LBB107_18
; %bb.17:                               ;   in Loop: Header=BB107_3 Depth=1
	v_add_co_u32 v153, vcc_lo, v117, v3
	v_add_co_ci_u32_e32 v154, vcc_lo, v118, v4, vcc_lo
	v_add_co_u32 v155, vcc_lo, v115, v3
	v_add_co_ci_u32_e32 v156, vcc_lo, v116, v4, vcc_lo
	global_load_u16 v151, v[153:154], off
	global_load_u16 v154, v[155:156], off
	s_waitcnt vmcnt(1)
	v_lshlrev_b32_e32 v153, 16, v151
	s_waitcnt vmcnt(0)
	v_lshlrev_b32_e32 v151, 16, v154
.LBB107_18:                             ;   in Loop: Header=BB107_3 Depth=1
	;; [unrolled: 43-line block ×7, first 2 shown]
	s_or_b32 exec_lo, exec_lo, s4
	v_add_co_u32 v173, vcc_lo, v5, 16
	v_add_co_ci_u32_e32 v174, vcc_lo, 0, v6, vcc_lo
	v_mov_b32_e32 v175, 0
	s_delay_alu instid0(VALU_DEP_2) | instskip(SKIP_1) | instid1(SALU_CYCLE_1)
	v_cmp_gt_i64_e32 vcc_lo, s[16:17], v[173:174]
	s_and_b32 s33, s3, vcc_lo
	s_and_saveexec_b32 s4, s33
	s_cbranch_execz .LBB107_40
; %bb.39:                               ;   in Loop: Header=BB107_3 Depth=1
	v_add_co_u32 v172, vcc_lo, v73, v3
	v_add_co_ci_u32_e32 v173, vcc_lo, v74, v4, vcc_lo
	v_add_co_u32 v174, vcc_lo, v71, v3
	v_add_co_ci_u32_e32 v175, vcc_lo, v72, v4, vcc_lo
	global_load_u16 v172, v[172:173], off
	global_load_u16 v173, v[174:175], off
	s_waitcnt vmcnt(1)
	v_lshlrev_b32_e32 v172, 16, v172
	s_waitcnt vmcnt(0)
	v_lshlrev_b32_e32 v175, 16, v173
.LBB107_40:                             ;   in Loop: Header=BB107_3 Depth=1
	s_or_b32 exec_lo, exec_lo, s4
	v_add_co_u32 v173, vcc_lo, v5, 17
	v_add_co_ci_u32_e32 v174, vcc_lo, 0, v6, vcc_lo
	v_dual_mov_b32 v178, 0 :: v_dual_mov_b32 v177, 0
	v_mov_b32_e32 v180, 0
	s_delay_alu instid0(VALU_DEP_3) | instskip(SKIP_1) | instid1(SALU_CYCLE_1)
	v_cmp_gt_i64_e32 vcc_lo, s[16:17], v[173:174]
	s_and_b32 s33, s3, vcc_lo
	s_and_saveexec_b32 s4, s33
	s_cbranch_execz .LBB107_42
; %bb.41:                               ;   in Loop: Header=BB107_3 Depth=1
	v_add_co_u32 v173, vcc_lo, v69, v3
	v_add_co_ci_u32_e32 v174, vcc_lo, v70, v4, vcc_lo
	v_add_co_u32 v179, vcc_lo, v67, v3
	v_add_co_ci_u32_e32 v180, vcc_lo, v68, v4, vcc_lo
	global_load_u16 v173, v[173:174], off
	global_load_u16 v174, v[179:180], off
	s_waitcnt vmcnt(1)
	v_lshlrev_b32_e32 v180, 16, v173
	s_waitcnt vmcnt(0)
	v_lshlrev_b32_e32 v177, 16, v174
.LBB107_42:                             ;   in Loop: Header=BB107_3 Depth=1
	s_or_b32 exec_lo, exec_lo, s4
	v_add_co_u32 v173, vcc_lo, v5, 18
	v_add_co_ci_u32_e32 v174, vcc_lo, 0, v6, vcc_lo
	v_mov_b32_e32 v179, 0
	s_delay_alu instid0(VALU_DEP_2) | instskip(SKIP_1) | instid1(SALU_CYCLE_1)
	v_cmp_gt_i64_e32 vcc_lo, s[16:17], v[173:174]
	s_and_b32 s33, s3, vcc_lo
	s_and_saveexec_b32 s4, s33
	s_cbranch_execz .LBB107_44
; %bb.43:                               ;   in Loop: Header=BB107_3 Depth=1
	v_add_co_u32 v173, vcc_lo, v65, v3
	v_add_co_ci_u32_e32 v174, vcc_lo, v66, v4, vcc_lo
	v_add_co_u32 v178, vcc_lo, v63, v3
	v_add_co_ci_u32_e32 v179, vcc_lo, v64, v4, vcc_lo
	global_load_u16 v173, v[173:174], off
	global_load_u16 v174, v[178:179], off
	s_waitcnt vmcnt(1)
	v_lshlrev_b32_e32 v178, 16, v173
	s_waitcnt vmcnt(0)
	v_lshlrev_b32_e32 v179, 16, v174
.LBB107_44:                             ;   in Loop: Header=BB107_3 Depth=1
	s_or_b32 exec_lo, exec_lo, s4
	v_add_co_u32 v173, vcc_lo, v5, 19
	v_add_co_ci_u32_e32 v174, vcc_lo, 0, v6, vcc_lo
	v_dual_mov_b32 v182, 0 :: v_dual_mov_b32 v181, 0
	v_mov_b32_e32 v184, 0
	s_delay_alu instid0(VALU_DEP_3) | instskip(SKIP_1) | instid1(SALU_CYCLE_1)
	v_cmp_gt_i64_e32 vcc_lo, s[16:17], v[173:174]
	s_and_b32 s33, s3, vcc_lo
	s_and_saveexec_b32 s4, s33
	s_cbranch_execz .LBB107_46
; %bb.45:                               ;   in Loop: Header=BB107_3 Depth=1
	v_add_co_u32 v173, vcc_lo, v61, v3
	v_add_co_ci_u32_e32 v174, vcc_lo, v62, v4, vcc_lo
	v_add_co_u32 v183, vcc_lo, v59, v3
	v_add_co_ci_u32_e32 v184, vcc_lo, v60, v4, vcc_lo
	global_load_u16 v173, v[173:174], off
	global_load_u16 v174, v[183:184], off
	s_waitcnt vmcnt(1)
	v_lshlrev_b32_e32 v184, 16, v173
	s_waitcnt vmcnt(0)
	v_lshlrev_b32_e32 v181, 16, v174
.LBB107_46:                             ;   in Loop: Header=BB107_3 Depth=1
	;; [unrolled: 43-line block ×7, first 2 shown]
	s_or_b32 exec_lo, exec_lo, s4
	v_add_co_u32 v173, vcc_lo, v5, 30
	v_add_co_ci_u32_e32 v174, vcc_lo, 0, v6, vcc_lo
	v_mov_b32_e32 v204, 0
	s_delay_alu instid0(VALU_DEP_2) | instskip(SKIP_1) | instid1(SALU_CYCLE_1)
	v_cmp_gt_i64_e32 vcc_lo, s[16:17], v[173:174]
	s_and_b32 s33, s3, vcc_lo
	s_and_saveexec_b32 s4, s33
	s_cbranch_execz .LBB107_68
; %bb.67:                               ;   in Loop: Header=BB107_3 Depth=1
	v_add_co_u32 v173, vcc_lo, v18, v3
	v_add_co_ci_u32_e32 v174, vcc_lo, v19, v4, vcc_lo
	v_add_co_u32 v204, vcc_lo, v16, v3
	v_add_co_ci_u32_e32 v205, vcc_lo, v17, v4, vcc_lo
	global_load_u16 v173, v[173:174], off
	global_load_u16 v174, v[204:205], off
	s_waitcnt vmcnt(1)
	v_lshlrev_b32_e32 v202, 16, v173
	s_waitcnt vmcnt(0)
	v_lshlrev_b32_e32 v204, 16, v174
.LBB107_68:                             ;   in Loop: Header=BB107_3 Depth=1
	s_or_b32 exec_lo, exec_lo, s4
	v_add_co_u32 v173, vcc_lo, v5, 31
	v_add_co_ci_u32_e32 v174, vcc_lo, 0, v6, vcc_lo
	s_mov_b32 s4, 0
	s_delay_alu instid0(VALU_DEP_1) | instskip(SKIP_2) | instid1(SALU_CYCLE_1)
	v_cmp_gt_i64_e32 vcc_lo, s[16:17], v[173:174]
	v_dual_mov_b32 v174, 0 :: v_dual_mov_b32 v173, 0
	s_and_b32 s34, s3, vcc_lo
	s_and_saveexec_b32 s33, s34
	s_cbranch_execz .LBB107_70
; %bb.69:                               ;   in Loop: Header=BB107_3 Depth=1
	v_add_co_u32 v173, vcc_lo, v14, v3
	v_add_co_ci_u32_e32 v174, vcc_lo, v15, v4, vcc_lo
	v_add_co_u32 v205, vcc_lo, v1, v3
	v_add_co_ci_u32_e32 v206, vcc_lo, v13, v4, vcc_lo
	global_load_u16 v173, v[173:174], off
	global_load_u16 v205, v[205:206], off
	s_waitcnt vmcnt(1)
	v_lshlrev_b32_e32 v174, 16, v173
	s_waitcnt vmcnt(0)
	v_lshlrev_b32_e32 v173, 16, v205
.LBB107_70:                             ;   in Loop: Header=BB107_3 Depth=1
	s_or_b32 exec_lo, exec_lo, s33
	s_waitcnt vmcnt(1)
	ds_bpermute_b32 v205, v2, v141
	ds_bpermute_b32 v209, v2, v141 offset:4
	ds_bpermute_b32 v211, v2, v141 offset:8
	ds_bpermute_b32 v213, v2, v141 offset:12
	s_waitcnt vmcnt(0)
	ds_bpermute_b32 v206, v2, v142
	ds_bpermute_b32 v208, v2, v142 offset:4
	v_add_f32_e32 v207, v125, v7
	ds_bpermute_b32 v210, v2, v142 offset:8
	ds_bpermute_b32 v215, v2, v141 offset:16
	;; [unrolled: 1-line block ×14, first 2 shown]
	s_waitcnt lgkmcnt(18)
	v_sub_f32_e32 v145, v145, v209
	ds_bpermute_b32 v209, v2, v141 offset:44
	s_waitcnt lgkmcnt(17)
	v_sub_f32_e32 v149, v149, v213
	v_sub_f32_e32 v211, v144, v211
	;; [unrolled: 1-line block ×3, first 2 shown]
	v_mul_f32_e32 v145, v8, v145
	ds_bpermute_b32 v205, v2, v141 offset:36
	v_add_f32_e32 v8, v207, v8
	ds_bpermute_b32 v225, v2, v142 offset:40
	v_mul_f32_e32 v7, v7, v143
	ds_bpermute_b32 v143, v2, v142 offset:44
	v_add_f32_e32 v8, v8, v146
	s_waitcnt lgkmcnt(19)
	v_fma_f32 v144, v7, v206, v140
	v_mul_f32_e32 v206, v146, v211
	s_waitcnt lgkmcnt(16)
	v_sub_f32_e32 v146, v148, v215
	v_mul_f32_e32 v148, v147, v149
	s_waitcnt lgkmcnt(14)
	v_dual_add_f32 v8, v8, v147 :: v_dual_sub_f32 v147, v153, v217
	v_fmac_f32_e32 v144, v145, v208
	ds_bpermute_b32 v145, v2, v141 offset:48
	v_mul_f32_e32 v146, v150, v146
	v_dual_add_f32 v8, v8, v150 :: v_dual_mul_f32 v147, v151, v147
	s_waitcnt lgkmcnt(3)
	v_dual_fmac_f32 v144, v206, v210 :: v_dual_sub_f32 v153, v161, v205
	v_sub_f32_e32 v150, v152, v219
	s_delay_alu instid0(VALU_DEP_3) | instskip(SKIP_1) | instid1(VALU_DEP_4)
	v_add_f32_e32 v8, v8, v151
	v_sub_f32_e32 v151, v156, v223
	v_dual_fmac_f32 v144, v148, v212 :: v_dual_mul_f32 v153, v159, v153
	s_delay_alu instid0(VALU_DEP_4)
	v_mul_f32_e32 v150, v154, v150
	v_sub_f32_e32 v152, v157, v221
	ds_bpermute_b32 v148, v2, v141 offset:52
	v_fmac_f32_e32 v144, v146, v214
	v_mul_f32_e32 v151, v158, v151
	ds_bpermute_b32 v7, v2, v142 offset:48
	ds_bpermute_b32 v149, v2, v142 offset:52
	;; [unrolled: 1-line block ×3, first 2 shown]
	s_waitcnt lgkmcnt(4)
	v_dual_sub_f32 v145, v164, v145 :: v_dual_fmac_f32 v144, v147, v216
	ds_bpermute_b32 v147, v2, v141 offset:56
	v_dual_mul_f32 v152, v155, v152 :: v_dual_mul_f32 v145, v166, v145
	v_fmac_f32_e32 v144, v150, v218
	ds_bpermute_b32 v150, v2, v142 offset:60
	s_waitcnt lgkmcnt(5)
	v_sub_f32_e32 v148, v169, v148
	s_waitcnt lgkmcnt(1)
	s_delay_alu instid0(VALU_DEP_1)
	v_dual_mul_f32 v148, v167, v148 :: v_dual_sub_f32 v147, v168, v147
	v_fmac_f32_e32 v144, v152, v220
	v_add_f32_e32 v8, v8, v154
	v_sub_f32_e32 v154, v160, v226
	ds_bpermute_b32 v152, v2, v141 offset:60
	v_dual_mul_f32 v147, v170, v147 :: v_dual_fmac_f32 v144, v151, v222
	v_dual_add_f32 v8, v8, v155 :: v_dual_sub_f32 v155, v165, v209
	v_mul_f32_e32 v154, v162, v154
	ds_bpermute_b32 v151, v2, v142 offset:64
	v_fmac_f32_e32 v144, v153, v224
	ds_bpermute_b32 v153, v2, v141 offset:64
	v_dual_mul_f32 v155, v163, v155 :: v_dual_fmac_f32 v144, v154, v225
	ds_bpermute_b32 v154, v2, v141 offset:68
	v_fmac_f32_e32 v144, v155, v143
	ds_bpermute_b32 v143, v2, v141 offset:72
	v_fmac_f32_e32 v144, v145, v7
	ds_bpermute_b32 v7, v2, v142 offset:68
	s_waitcnt lgkmcnt(5)
	v_sub_f32_e32 v145, v176, v152
	v_fmac_f32_e32 v144, v148, v149
	ds_bpermute_b32 v149, v2, v141 offset:76
	ds_bpermute_b32 v148, v2, v142 offset:72
	v_mul_f32_e32 v145, v171, v145
	v_fmac_f32_e32 v144, v147, v146
	s_waitcnt lgkmcnt(5)
	v_sub_f32_e32 v146, v172, v153
	ds_bpermute_b32 v147, v2, v141 offset:80
	s_waitcnt lgkmcnt(5)
	v_sub_f32_e32 v152, v180, v154
	v_fmac_f32_e32 v144, v145, v150
	v_mul_f32_e32 v145, v175, v146
	ds_bpermute_b32 v146, v2, v142 offset:76
	s_waitcnt lgkmcnt(5)
	v_dual_mul_f32 v150, v177, v152 :: v_dual_sub_f32 v143, v178, v143
	ds_bpermute_b32 v152, v2, v141 offset:84
	v_fmac_f32_e32 v144, v145, v151
	ds_bpermute_b32 v145, v2, v142 offset:80
	v_dual_add_f32 v8, v8, v158 :: v_dual_mul_f32 v143, v179, v143
	ds_bpermute_b32 v151, v2, v142 offset:116
	s_waitcnt lgkmcnt(6)
	v_dual_fmac_f32 v144, v150, v7 :: v_dual_sub_f32 v7, v184, v149
	ds_bpermute_b32 v149, v2, v141 offset:88
	ds_bpermute_b32 v150, v2, v142 offset:84
	v_add_f32_e32 v8, v8, v159
	s_waitcnt lgkmcnt(7)
	v_dual_fmac_f32 v144, v143, v148 :: v_dual_mul_f32 v7, v181, v7
	ds_bpermute_b32 v143, v2, v141 offset:92
	s_waitcnt lgkmcnt(7)
	v_sub_f32_e32 v147, v182, v147
	ds_bpermute_b32 v148, v2, v141 offset:96
	s_waitcnt lgkmcnt(7)
	v_fmac_f32_e32 v144, v7, v146
	ds_bpermute_b32 v7, v2, v142 offset:88
	s_waitcnt lgkmcnt(7)
	v_dual_mul_f32 v146, v183, v147 :: v_dual_sub_f32 v147, v188, v152
	s_waitcnt lgkmcnt(6)
	s_delay_alu instid0(VALU_DEP_1)
	v_fmac_f32_e32 v144, v146, v145
	ds_bpermute_b32 v145, v2, v142 offset:92
	s_waitcnt lgkmcnt(5)
	v_dual_mul_f32 v146, v185, v147 :: v_dual_sub_f32 v147, v186, v149
	ds_bpermute_b32 v149, v2, v141 offset:100
	v_add_f32_e32 v8, v8, v162
	s_waitcnt lgkmcnt(5)
	v_fmac_f32_e32 v144, v146, v150
	ds_bpermute_b32 v146, v2, v142 offset:96
	v_mul_f32_e32 v147, v187, v147
	s_waitcnt lgkmcnt(5)
	v_sub_f32_e32 v143, v192, v143
	ds_bpermute_b32 v150, v2, v141 offset:104
	v_add_f32_e32 v8, v8, v163
	s_waitcnt lgkmcnt(4)
	v_dual_fmac_f32 v144, v147, v7 :: v_dual_sub_f32 v147, v190, v148
	ds_bpermute_b32 v7, v2, v142 offset:100
	v_mul_f32_e32 v143, v189, v143
	ds_bpermute_b32 v148, v2, v141 offset:108
	v_add_f32_e32 v8, v8, v166
	s_waitcnt lgkmcnt(5)
	v_fmac_f32_e32 v144, v143, v145
	v_mul_f32_e32 v143, v191, v147
	ds_bpermute_b32 v145, v2, v142 offset:104
	s_waitcnt lgkmcnt(5)
	v_sub_f32_e32 v147, v195, v149
	ds_bpermute_b32 v149, v2, v141 offset:112
	s_waitcnt lgkmcnt(5)
	v_fmac_f32_e32 v144, v143, v146
	ds_bpermute_b32 v143, v2, v142 offset:108
	s_waitcnt lgkmcnt(5)
	v_dual_mul_f32 v146, v193, v147 :: v_dual_sub_f32 v147, v194, v150
	ds_bpermute_b32 v150, v2, v141 offset:116
	s_waitcnt lgkmcnt(5)
	v_fmac_f32_e32 v144, v146, v7
	s_waitcnt lgkmcnt(4)
	v_dual_mul_f32 v7, v196, v147 :: v_dual_sub_f32 v148, v199, v148
	v_add_f32_e32 v8, v8, v167
	ds_bpermute_b32 v146, v2, v142 offset:112
	ds_bpermute_b32 v147, v2, v141 offset:120
	s_waitcnt lgkmcnt(5)
	v_dual_fmac_f32 v144, v7, v145 :: v_dual_mul_f32 v7, v197, v148
	s_waitcnt lgkmcnt(4)
	v_dual_add_f32 v8, v8, v170 :: v_dual_sub_f32 v145, v198, v149
	ds_bpermute_b32 v148, v2, v142 offset:120
	s_waitcnt lgkmcnt(4)
	v_fmac_f32_e32 v144, v7, v143
	v_add_f32_e32 v8, v8, v171
	v_mul_f32_e32 v145, v200, v145
	s_waitcnt lgkmcnt(3)
	v_sub_f32_e32 v149, v203, v150
	ds_bpermute_b32 v7, v2, v141 offset:124
	v_dual_add_f32 v8, v8, v175 :: v_dual_mul_f32 v141, v201, v149
	s_waitcnt lgkmcnt(3)
	v_fmac_f32_e32 v144, v145, v146
	s_delay_alu instid0(VALU_DEP_2) | instskip(NEXT) | instid1(VALU_DEP_2)
	v_add_f32_e32 v8, v8, v177
	v_fmac_f32_e32 v144, v141, v151
	s_delay_alu instid0(VALU_DEP_2) | instskip(NEXT) | instid1(VALU_DEP_1)
	v_add_f32_e32 v8, v8, v179
	v_add_f32_e32 v8, v8, v181
	s_delay_alu instid0(VALU_DEP_1) | instskip(NEXT) | instid1(VALU_DEP_1)
	v_add_f32_e32 v8, v8, v183
	v_add_f32_e32 v8, v8, v185
	s_delay_alu instid0(VALU_DEP_1) | instskip(NEXT) | instid1(VALU_DEP_1)
	;; [unrolled: 3-line block ×4, first 2 shown]
	v_add_f32_e32 v8, v8, v196
	v_add_f32_e32 v143, v8, v197
	ds_bpermute_b32 v8, v2, v142 offset:124
	s_waitcnt lgkmcnt(3)
	v_dual_sub_f32 v142, v202, v147 :: v_dual_add_f32 v143, v143, v200
	s_delay_alu instid0(VALU_DEP_1) | instskip(SKIP_1) | instid1(VALU_DEP_1)
	v_dual_mul_f32 v141, v204, v142 :: v_dual_add_f32 v142, v143, v201
	s_waitcnt lgkmcnt(2)
	v_fmac_f32_e32 v144, v141, v148
	s_delay_alu instid0(VALU_DEP_2)
	v_add_f32_e32 v141, v142, v204
	s_and_b32 vcc_lo, exec_lo, s4
	s_cbranch_vccnz .LBB107_72
	s_branch .LBB107_139
.LBB107_71:                             ;   in Loop: Header=BB107_3 Depth=1
                                        ; implicit-def: $vgpr173
                                        ; implicit-def: $vgpr174
                                        ; implicit-def: $vgpr8
                                        ; implicit-def: $vgpr7
                                        ; implicit-def: $vgpr144
                                        ; implicit-def: $vgpr141
	s_cbranch_execz .LBB107_139
.LBB107_72:                             ;   in Loop: Header=BB107_3 Depth=1
	s_load_b32 s4, s[12:13], 0x0
	s_waitcnt lgkmcnt(0)
	v_dual_mov_b32 v141, 0 :: v_dual_mov_b32 v8, 0
	s_cmp_lt_u32 s14, s4
	s_cselect_b32 s4, 12, 18
	s_delay_alu instid0(SALU_CYCLE_1)
	s_add_u32 s34, s12, s4
	s_addc_u32 s35, s13, 0
	s_mov_b32 s4, exec_lo
	global_load_u16 v7, v2, s[34:35]
	s_waitcnt vmcnt(0)
	v_mad_u32_u24 v7, v9, v7, v11
	s_delay_alu instid0(VALU_DEP_1) | instskip(NEXT) | instid1(VALU_DEP_1)
	v_and_b32_e32 v7, 31, v7
	v_add_co_u32 v5, vcc_lo, v5, v7
	v_add_co_ci_u32_e32 v6, vcc_lo, 0, v6, vcc_lo
	v_mov_b32_e32 v7, 0
	s_delay_alu instid0(VALU_DEP_2)
	v_cmpx_gt_i64_e64 s[16:17], v[5:6]
	s_cbranch_execz .LBB107_74
; %bb.73:                               ;   in Loop: Header=BB107_3 Depth=1
	v_lshlrev_b64 v[5:6], 2, v[5:6]
	s_delay_alu instid0(VALU_DEP_1) | instskip(NEXT) | instid1(VALU_DEP_2)
	v_add_co_u32 v7, vcc_lo, s8, v5
	v_add_co_ci_u32_e32 v8, vcc_lo, s9, v6, vcc_lo
	v_add_co_u32 v5, vcc_lo, s10, v5
	v_add_co_ci_u32_e32 v6, vcc_lo, s11, v6, vcc_lo
	global_load_b32 v7, v[7:8], off
	global_load_b32 v8, v[5:6], off
.LBB107_74:                             ;   in Loop: Header=BB107_3 Depth=1
	s_or_b32 exec_lo, exec_lo, s4
	v_mov_b32_e32 v5, 0
	s_and_saveexec_b32 s4, s3
	s_cbranch_execz .LBB107_76
; %bb.75:                               ;   in Loop: Header=BB107_3 Depth=1
	v_add_co_u32 v5, vcc_lo, v138, v3
	v_add_co_ci_u32_e32 v6, vcc_lo, v139, v4, vcc_lo
	v_add_co_u32 v141, vcc_lo, v136, v3
	v_add_co_ci_u32_e32 v142, vcc_lo, v137, v4, vcc_lo
	global_load_u16 v5, v[5:6], off
	global_load_u16 v6, v[141:142], off
	s_waitcnt vmcnt(1)
	v_lshlrev_b32_e32 v141, 16, v5
	s_waitcnt vmcnt(0)
	v_lshlrev_b32_e32 v5, 16, v6
.LBB107_76:                             ;   in Loop: Header=BB107_3 Depth=1
	s_or_b32 exec_lo, exec_lo, s4
	v_dual_mov_b32 v142, 0 :: v_dual_mov_b32 v143, 0
	v_mov_b32_e32 v6, 0
	s_and_saveexec_b32 s4, s3
	s_cbranch_execz .LBB107_78
; %bb.77:                               ;   in Loop: Header=BB107_3 Depth=1
	v_add_co_u32 v143, vcc_lo, v134, v3
	v_add_co_ci_u32_e32 v144, vcc_lo, v135, v4, vcc_lo
	v_add_co_u32 v145, vcc_lo, v132, v3
	v_add_co_ci_u32_e32 v146, vcc_lo, v133, v4, vcc_lo
	global_load_u16 v6, v[143:144], off
	global_load_u16 v144, v[145:146], off
	s_waitcnt vmcnt(1)
	v_lshlrev_b32_e32 v143, 16, v6
	s_waitcnt vmcnt(0)
	v_lshlrev_b32_e32 v6, 16, v144
.LBB107_78:                             ;   in Loop: Header=BB107_3 Depth=1
	s_or_b32 exec_lo, exec_lo, s4
	v_mov_b32_e32 v144, 0
	s_and_saveexec_b32 s4, s3
	s_cbranch_execz .LBB107_80
; %bb.79:                               ;   in Loop: Header=BB107_3 Depth=1
	v_add_co_u32 v144, vcc_lo, v130, v3
	v_add_co_ci_u32_e32 v145, vcc_lo, v131, v4, vcc_lo
	v_add_co_u32 v146, vcc_lo, v128, v3
	v_add_co_ci_u32_e32 v147, vcc_lo, v129, v4, vcc_lo
	global_load_u16 v142, v[144:145], off
	global_load_u16 v144, v[146:147], off
	s_waitcnt vmcnt(1)
	v_lshlrev_b32_e32 v142, 16, v142
	s_waitcnt vmcnt(0)
	v_lshlrev_b32_e32 v144, 16, v144
.LBB107_80:                             ;   in Loop: Header=BB107_3 Depth=1
	s_or_b32 exec_lo, exec_lo, s4
	v_dual_mov_b32 v146, 0 :: v_dual_mov_b32 v147, 0
	v_mov_b32_e32 v145, 0
	s_and_saveexec_b32 s4, s3
	s_cbranch_execz .LBB107_82
; %bb.81:                               ;   in Loop: Header=BB107_3 Depth=1
	v_add_co_u32 v147, vcc_lo, v126, v3
	v_add_co_ci_u32_e32 v148, vcc_lo, v127, v4, vcc_lo
	v_add_co_u32 v149, vcc_lo, v123, v3
	v_add_co_ci_u32_e32 v150, vcc_lo, v124, v4, vcc_lo
	global_load_u16 v145, v[147:148], off
	global_load_u16 v148, v[149:150], off
	s_waitcnt vmcnt(1)
	v_lshlrev_b32_e32 v147, 16, v145
	s_waitcnt vmcnt(0)
	v_lshlrev_b32_e32 v145, 16, v148
.LBB107_82:                             ;   in Loop: Header=BB107_3 Depth=1
	;; [unrolled: 33-line block ×6, first 2 shown]
	s_or_b32 exec_lo, exec_lo, s4
	v_mov_b32_e32 v164, 0
	s_and_saveexec_b32 s4, s3
	s_cbranch_execz .LBB107_100
; %bb.99:                               ;   in Loop: Header=BB107_3 Depth=1
	v_add_co_u32 v164, vcc_lo, v89, v3
	v_add_co_ci_u32_e32 v165, vcc_lo, v90, v4, vcc_lo
	v_add_co_u32 v166, vcc_lo, v87, v3
	v_add_co_ci_u32_e32 v167, vcc_lo, v88, v4, vcc_lo
	global_load_u16 v162, v[164:165], off
	global_load_u16 v164, v[166:167], off
	s_waitcnt vmcnt(1)
	v_lshlrev_b32_e32 v162, 16, v162
	s_waitcnt vmcnt(0)
	v_lshlrev_b32_e32 v164, 16, v164
.LBB107_100:                            ;   in Loop: Header=BB107_3 Depth=1
	s_or_b32 exec_lo, exec_lo, s4
	v_dual_mov_b32 v166, 0 :: v_dual_mov_b32 v167, 0
	v_mov_b32_e32 v165, 0
	s_and_saveexec_b32 s4, s3
	s_cbranch_execz .LBB107_102
; %bb.101:                              ;   in Loop: Header=BB107_3 Depth=1
	v_add_co_u32 v167, vcc_lo, v85, v3
	v_add_co_ci_u32_e32 v168, vcc_lo, v86, v4, vcc_lo
	v_add_co_u32 v169, vcc_lo, v83, v3
	v_add_co_ci_u32_e32 v170, vcc_lo, v84, v4, vcc_lo
	global_load_u16 v165, v[167:168], off
	global_load_u16 v168, v[169:170], off
	s_waitcnt vmcnt(1)
	v_lshlrev_b32_e32 v167, 16, v165
	s_waitcnt vmcnt(0)
	v_lshlrev_b32_e32 v165, 16, v168
.LBB107_102:                            ;   in Loop: Header=BB107_3 Depth=1
	s_or_b32 exec_lo, exec_lo, s4
	v_mov_b32_e32 v168, 0
	s_and_saveexec_b32 s4, s3
	s_cbranch_execz .LBB107_104
; %bb.103:                              ;   in Loop: Header=BB107_3 Depth=1
	v_add_co_u32 v168, vcc_lo, v81, v3
	v_add_co_ci_u32_e32 v169, vcc_lo, v82, v4, vcc_lo
	v_add_co_u32 v170, vcc_lo, v79, v3
	v_add_co_ci_u32_e32 v171, vcc_lo, v80, v4, vcc_lo
	global_load_u16 v166, v[168:169], off
	global_load_u16 v168, v[170:171], off
	s_waitcnt vmcnt(1)
	v_lshlrev_b32_e32 v166, 16, v166
	s_waitcnt vmcnt(0)
	v_lshlrev_b32_e32 v168, 16, v168
.LBB107_104:                            ;   in Loop: Header=BB107_3 Depth=1
	s_or_b32 exec_lo, exec_lo, s4
	v_dual_mov_b32 v170, 0 :: v_dual_mov_b32 v169, 0
	v_mov_b32_e32 v172, 0
	s_and_saveexec_b32 s4, s3
	s_cbranch_execz .LBB107_106
; %bb.105:                              ;   in Loop: Header=BB107_3 Depth=1
	v_add_co_u32 v171, vcc_lo, v77, v3
	v_add_co_ci_u32_e32 v172, vcc_lo, v78, v4, vcc_lo
	v_add_co_u32 v173, vcc_lo, v75, v3
	v_add_co_ci_u32_e32 v174, vcc_lo, v76, v4, vcc_lo
	global_load_u16 v169, v[171:172], off
	global_load_u16 v171, v[173:174], off
	s_waitcnt vmcnt(1)
	v_lshlrev_b32_e32 v172, 16, v169
	s_waitcnt vmcnt(0)
	v_lshlrev_b32_e32 v169, 16, v171
.LBB107_106:                            ;   in Loop: Header=BB107_3 Depth=1
	s_or_b32 exec_lo, exec_lo, s4
	v_mov_b32_e32 v171, 0
	s_and_saveexec_b32 s4, s3
	s_cbranch_execz .LBB107_108
; %bb.107:                              ;   in Loop: Header=BB107_3 Depth=1
	v_add_co_u32 v170, vcc_lo, v73, v3
	v_add_co_ci_u32_e32 v171, vcc_lo, v74, v4, vcc_lo
	v_add_co_u32 v173, vcc_lo, v71, v3
	v_add_co_ci_u32_e32 v174, vcc_lo, v72, v4, vcc_lo
	global_load_u16 v170, v[170:171], off
	global_load_u16 v171, v[173:174], off
	s_waitcnt vmcnt(1)
	v_lshlrev_b32_e32 v170, 16, v170
	s_waitcnt vmcnt(0)
	v_lshlrev_b32_e32 v171, 16, v171
.LBB107_108:                            ;   in Loop: Header=BB107_3 Depth=1
	;; [unrolled: 33-line block ×9, first 2 shown]
	s_or_b32 exec_lo, exec_lo, s4
	v_dual_mov_b32 v174, 0 :: v_dual_mov_b32 v173, 0
	s_and_saveexec_b32 s4, s3
	s_cbranch_execz .LBB107_138
; %bb.137:                              ;   in Loop: Header=BB107_3 Depth=1
	v_add_co_u32 v173, vcc_lo, v14, v3
	v_add_co_ci_u32_e32 v174, vcc_lo, v15, v4, vcc_lo
	v_add_co_u32 v203, vcc_lo, v1, v3
	v_add_co_ci_u32_e32 v204, vcc_lo, v13, v4, vcc_lo
	global_load_u16 v173, v[173:174], off
	global_load_u16 v203, v[203:204], off
	s_waitcnt vmcnt(1)
	v_lshlrev_b32_e32 v174, 16, v173
	s_waitcnt vmcnt(0)
	v_lshlrev_b32_e32 v173, 16, v203
.LBB107_138:                            ;   in Loop: Header=BB107_3 Depth=1
	s_or_b32 exec_lo, exec_lo, s4
	s_waitcnt vmcnt(1)
	ds_bpermute_b32 v203, v2, v7
	ds_bpermute_b32 v208, v2, v7 offset:8
	ds_bpermute_b32 v206, v2, v7 offset:4
	s_waitcnt vmcnt(0)
	ds_bpermute_b32 v204, v2, v8
	ds_bpermute_b32 v205, v2, v8 offset:4
	ds_bpermute_b32 v210, v2, v7 offset:12
	;; [unrolled: 1-line block ×5, first 2 shown]
	v_add_f32_e32 v125, v125, v5
	ds_bpermute_b32 v207, v2, v8 offset:8
	ds_bpermute_b32 v209, v2, v8 offset:12
	;; [unrolled: 1-line block ×11, first 2 shown]
	s_waitcnt lgkmcnt(18)
	v_dual_sub_f32 v142, v142, v208 :: v_dual_sub_f32 v141, v141, v203
	ds_bpermute_b32 v203, v2, v7 offset:36
	ds_bpermute_b32 v222, v2, v8 offset:40
	v_dual_mul_f32 v142, v144, v142 :: v_dual_mul_f32 v5, v5, v141
	s_waitcnt lgkmcnt(19)
	v_sub_f32_e32 v143, v143, v206
	ds_bpermute_b32 v206, v2, v7 offset:44
	ds_bpermute_b32 v141, v2, v8 offset:44
	s_waitcnt lgkmcnt(20)
	v_dual_fmac_f32 v140, v5, v204 :: v_dual_mul_f32 v143, v6, v143
	v_add_f32_e32 v6, v125, v6
	s_waitcnt lgkmcnt(18)
	v_sub_f32_e32 v125, v147, v210
	s_waitcnt lgkmcnt(15)
	v_sub_f32_e32 v147, v155, v218
	ds_bpermute_b32 v5, v2, v8 offset:48
	v_fmac_f32_e32 v140, v143, v205
	ds_bpermute_b32 v143, v2, v7 offset:48
	v_dual_add_f32 v6, v6, v144 :: v_dual_mul_f32 v147, v153, v147
	v_sub_f32_e32 v144, v146, v212
	v_dual_sub_f32 v146, v150, v216 :: v_dual_mul_f32 v125, v145, v125
	s_waitcnt lgkmcnt(16)
	v_fmac_f32_e32 v140, v142, v207
	s_waitcnt lgkmcnt(14)
	v_dual_add_f32 v6, v6, v145 :: v_dual_sub_f32 v145, v151, v214
	v_mul_f32_e32 v144, v148, v144
	v_mul_f32_e32 v146, v152, v146
	v_fmac_f32_e32 v140, v125, v209
	s_delay_alu instid0(VALU_DEP_4)
	v_dual_add_f32 v6, v6, v148 :: v_dual_mul_f32 v145, v149, v145
	ds_bpermute_b32 v125, v2, v7 offset:52
	s_waitcnt lgkmcnt(4)
	v_dual_sub_f32 v151, v163, v206 :: v_dual_sub_f32 v148, v154, v220
	v_dual_add_f32 v6, v6, v149 :: v_dual_sub_f32 v149, v159, v203
	v_fmac_f32_e32 v140, v144, v211
	s_waitcnt lgkmcnt(1)
	v_sub_f32_e32 v143, v162, v143
	v_sub_f32_e32 v150, v158, v223
	ds_bpermute_b32 v142, v2, v8 offset:52
	v_mul_f32_e32 v149, v157, v149
	v_dual_fmac_f32 v140, v145, v213 :: v_dual_mul_f32 v143, v164, v143
	ds_bpermute_b32 v145, v2, v7 offset:56
	v_mul_f32_e32 v150, v160, v150
	ds_bpermute_b32 v144, v2, v8 offset:56
	v_mul_f32_e32 v151, v161, v151
	s_waitcnt lgkmcnt(3)
	v_dual_sub_f32 v125, v167, v125 :: v_dual_mul_f32 v148, v156, v148
	s_delay_alu instid0(VALU_DEP_1)
	v_dual_add_f32 v6, v6, v152 :: v_dual_mul_f32 v125, v165, v125
	s_waitcnt lgkmcnt(1)
	v_sub_f32_e32 v145, v166, v145
	v_fmac_f32_e32 v140, v146, v215
	ds_bpermute_b32 v146, v2, v8 offset:60
	v_mul_f32_e32 v145, v168, v145
	v_fmac_f32_e32 v140, v147, v217
	ds_bpermute_b32 v147, v2, v7 offset:60
	v_add_f32_e32 v6, v6, v153
	v_fmac_f32_e32 v140, v148, v219
	ds_bpermute_b32 v148, v2, v8 offset:64
	v_fmac_f32_e32 v140, v149, v221
	ds_bpermute_b32 v149, v2, v7 offset:64
	;; [unrolled: 2-line block ×5, first 2 shown]
	s_waitcnt lgkmcnt(5)
	v_sub_f32_e32 v143, v172, v147
	ds_bpermute_b32 v147, v2, v7 offset:80
	v_add_f32_e32 v6, v6, v156
	v_fmac_f32_e32 v140, v125, v142
	ds_bpermute_b32 v142, v2, v7 offset:76
	ds_bpermute_b32 v125, v2, v8 offset:72
	v_mul_f32_e32 v143, v169, v143
	v_fmac_f32_e32 v140, v145, v144
	s_waitcnt lgkmcnt(6)
	v_sub_f32_e32 v144, v170, v149
	s_waitcnt lgkmcnt(5)
	v_sub_f32_e32 v145, v178, v150
	v_fmac_f32_e32 v140, v143, v146
	s_delay_alu instid0(VALU_DEP_3) | instskip(NEXT) | instid1(VALU_DEP_3)
	v_mul_f32_e32 v143, v171, v144
	v_mul_f32_e32 v144, v175, v145
	ds_bpermute_b32 v145, v2, v8 offset:76
	ds_bpermute_b32 v146, v2, v7 offset:84
	s_waitcnt lgkmcnt(6)
	v_dual_sub_f32 v141, v177, v141 :: v_dual_fmac_f32 v140, v143, v148
	ds_bpermute_b32 v143, v2, v8 offset:80
	v_mul_f32_e32 v141, v176, v141
	s_waitcnt lgkmcnt(6)
	v_fmac_f32_e32 v140, v144, v5
	ds_bpermute_b32 v5, v2, v7 offset:88
	s_waitcnt lgkmcnt(5)
	v_sub_f32_e32 v142, v182, v142
	ds_bpermute_b32 v144, v2, v8 offset:84
	v_add_f32_e32 v6, v6, v157
	s_waitcnt lgkmcnt(5)
	v_fmac_f32_e32 v140, v141, v125
	ds_bpermute_b32 v141, v2, v7 offset:92
	v_dual_mul_f32 v125, v179, v142 :: v_dual_sub_f32 v142, v180, v147
	v_add_f32_e32 v6, v6, v160
	s_waitcnt lgkmcnt(5)
	s_delay_alu instid0(VALU_DEP_2)
	v_fmac_f32_e32 v140, v125, v145
	ds_bpermute_b32 v125, v2, v8 offset:88
	v_mul_f32_e32 v142, v181, v142
	s_waitcnt lgkmcnt(5)
	v_sub_f32_e32 v145, v186, v146
	ds_bpermute_b32 v146, v2, v7 offset:96
	s_waitcnt lgkmcnt(5)
	v_fmac_f32_e32 v140, v142, v143
	ds_bpermute_b32 v142, v2, v8 offset:92
	s_waitcnt lgkmcnt(5)
	v_sub_f32_e32 v5, v184, v5
	v_mul_f32_e32 v143, v183, v145
	ds_bpermute_b32 v145, v2, v7 offset:100
	v_add_f32_e32 v6, v6, v161
	s_waitcnt lgkmcnt(5)
	v_dual_mul_f32 v5, v185, v5 :: v_dual_fmac_f32 v140, v143, v144
	ds_bpermute_b32 v143, v2, v8 offset:96
	ds_bpermute_b32 v144, v2, v7 offset:104
	s_waitcnt lgkmcnt(6)
	v_sub_f32_e32 v141, v190, v141
	s_waitcnt lgkmcnt(5)
	v_fmac_f32_e32 v140, v5, v125
	ds_bpermute_b32 v5, v2, v8 offset:100
	v_mul_f32_e32 v125, v187, v141
	s_waitcnt lgkmcnt(5)
	v_sub_f32_e32 v141, v188, v146
	ds_bpermute_b32 v146, v2, v7 offset:108
	v_add_f32_e32 v6, v6, v164
	s_waitcnt lgkmcnt(5)
	v_fmac_f32_e32 v140, v125, v142
	v_mul_f32_e32 v125, v189, v141
	ds_bpermute_b32 v141, v2, v8 offset:104
	s_waitcnt lgkmcnt(5)
	v_sub_f32_e32 v142, v194, v145
	ds_bpermute_b32 v145, v2, v7 offset:112
	v_add_f32_e32 v6, v6, v165
	s_waitcnt lgkmcnt(5)
	v_dual_fmac_f32 v140, v125, v143 :: v_dual_mul_f32 v125, v191, v142
	ds_bpermute_b32 v142, v2, v8 offset:108
	s_waitcnt lgkmcnt(5)
	v_sub_f32_e32 v143, v192, v144
	ds_bpermute_b32 v144, v2, v7 offset:116
	v_add_f32_e32 v6, v6, v168
	s_waitcnt lgkmcnt(5)
	v_fmac_f32_e32 v140, v125, v5
	ds_bpermute_b32 v125, v2, v8 offset:112
	v_mul_f32_e32 v5, v193, v143
	s_waitcnt lgkmcnt(5)
	v_dual_sub_f32 v143, v197, v146 :: v_dual_add_f32 v6, v6, v169
	ds_bpermute_b32 v146, v2, v7 offset:120
	ds_bpermute_b32 v7, v2, v7 offset:124
	s_waitcnt lgkmcnt(6)
	v_dual_fmac_f32 v140, v5, v141 :: v_dual_mul_f32 v5, v195, v143
	s_waitcnt lgkmcnt(5)
	v_sub_f32_e32 v143, v196, v145
	ds_bpermute_b32 v141, v2, v8 offset:116
	s_waitcnt lgkmcnt(5)
	v_fmac_f32_e32 v140, v5, v142
	s_waitcnt lgkmcnt(4)
	v_dual_mul_f32 v142, v198, v143 :: v_dual_sub_f32 v143, v201, v144
	v_add_f32_e32 v6, v6, v171
	ds_bpermute_b32 v5, v2, v8 offset:120
	ds_bpermute_b32 v8, v2, v8 offset:124
	s_waitcnt lgkmcnt(5)
	v_dual_fmac_f32 v140, v142, v125 :: v_dual_mul_f32 v125, v199, v143
	v_add_f32_e32 v6, v6, v175
	s_waitcnt lgkmcnt(4)
	v_sub_f32_e32 v142, v200, v146
	s_delay_alu instid0(VALU_DEP_2) | instskip(SKIP_1) | instid1(VALU_DEP_2)
	v_add_f32_e32 v6, v6, v176
	s_waitcnt lgkmcnt(2)
	v_dual_fmac_f32 v140, v125, v141 :: v_dual_mul_f32 v125, v202, v142
	s_delay_alu instid0(VALU_DEP_2) | instskip(NEXT) | instid1(VALU_DEP_1)
	v_add_f32_e32 v6, v6, v179
	v_add_f32_e32 v6, v6, v181
	s_waitcnt lgkmcnt(1)
	s_delay_alu instid0(VALU_DEP_3) | instskip(NEXT) | instid1(VALU_DEP_2)
	v_fmac_f32_e32 v140, v125, v5
	v_add_f32_e32 v6, v6, v183
	s_delay_alu instid0(VALU_DEP_2) | instskip(NEXT) | instid1(VALU_DEP_2)
	v_mov_b32_e32 v144, v140
	v_add_f32_e32 v6, v6, v185
	s_delay_alu instid0(VALU_DEP_1) | instskip(NEXT) | instid1(VALU_DEP_1)
	v_add_f32_e32 v6, v6, v187
	v_add_f32_e32 v6, v6, v189
	s_delay_alu instid0(VALU_DEP_1) | instskip(NEXT) | instid1(VALU_DEP_1)
	v_add_f32_e32 v6, v6, v191
	;; [unrolled: 3-line block ×4, first 2 shown]
	v_add_f32_e32 v141, v6, v202
.LBB107_139:                            ;   in Loop: Header=BB107_3 Depth=1
	v_add_co_u32 v1, vcc_lo, v1, s26
	v_add_co_ci_u32_e32 v13, vcc_lo, s27, v13, vcc_lo
	v_add_co_u32 v14, vcc_lo, v14, s26
	v_add_co_ci_u32_e32 v15, vcc_lo, s27, v15, vcc_lo
	;; [unrolled: 2-line block ×61, first 2 shown]
	v_add_co_u32 v134, vcc_lo, v134, s26
	s_waitcnt lgkmcnt(1)
	v_sub_f32_e32 v5, v174, v7
	v_add_co_ci_u32_e32 v135, vcc_lo, s27, v135, vcc_lo
	v_add_co_u32 v136, vcc_lo, v136, s26
	s_add_u32 s28, s28, s31
	v_add_co_ci_u32_e32 v137, vcc_lo, s27, v137, vcc_lo
	v_mul_f32_e32 v5, v173, v5
	s_addc_u32 s29, s29, 0
	v_add_co_u32 v138, vcc_lo, v138, s26
	v_add_co_ci_u32_e32 v139, vcc_lo, s27, v139, vcc_lo
	v_cmp_lt_i64_e64 s4, s[28:29], s[16:17]
	v_add_co_u32 v10, vcc_lo, v10, s31
	v_add_f32_e32 v125, v141, v173
	s_waitcnt lgkmcnt(0)
	v_fmac_f32_e32 v144, v5, v8
	v_add_co_ci_u32_e32 v12, vcc_lo, 0, v12, vcc_lo
	s_add_u32 s24, s24, s31
	s_addc_u32 s25, s25, 0
	s_and_b32 vcc_lo, exec_lo, s4
	s_cbranch_vccz .LBB107_142
; %bb.140:                              ;   in Loop: Header=BB107_3 Depth=1
	v_mov_b32_e32 v140, v144
	s_branch .LBB107_3
.LBB107_141:
	s_mov_b32 s5, -1
                                        ; implicit-def: $vgpr144
                                        ; implicit-def: $vgpr125
.LBB107_142:
	s_delay_alu instid0(SALU_CYCLE_1)
	s_and_not1_b32 vcc_lo, exec_lo, s5
	s_cbranch_vccnz .LBB107_220
; %bb.143:
	v_dual_mov_b32 v144, 0 :: v_dual_mov_b32 v125, 0
	s_and_not1_b32 vcc_lo, exec_lo, s30
	s_cbranch_vccnz .LBB107_220
; %bb.144:
	v_bfe_u32 v7, v227, 10, 10
	s_add_u32 s4, s0, 64
	s_addc_u32 s5, s1, 0
	s_lshl_b64 s[12:13], s[6:7], 1
	s_delay_alu instid0(VALU_DEP_1) | instskip(SKIP_2) | instid1(VALU_DEP_1)
	v_dual_mov_b32 v177, v227 :: v_dual_lshlrev_b32 v0, 6, v7
	scratch_store_b32 off, v177, off offset:304 ; 4-byte Folded Spill
	v_add_co_u32 v121, s3, v0, s12
	v_add_co_ci_u32_e64 v122, null, 0, s13, s3
	s_delay_alu instid0(VALU_DEP_2) | instskip(NEXT) | instid1(VALU_DEP_2)
	v_add_co_u32 v11, vcc_lo, v121, 2
	v_add_co_ci_u32_e32 v0, vcc_lo, 0, v122, vcc_lo
	v_add_co_u32 v15, vcc_lo, v121, 4
	v_add_co_ci_u32_e32 v5, vcc_lo, 0, v122, vcc_lo
	v_add_co_u32 v19, vcc_lo, v121, 6
	s_delay_alu instid0(VALU_DEP_4) | instskip(SKIP_3) | instid1(VALU_DEP_3)
	v_mul_lo_u32 v18, s18, v0
	v_add_co_ci_u32_e32 v0, vcc_lo, 0, v122, vcc_lo
	v_add_co_u32 v24, vcc_lo, v121, 8
	v_add_co_ci_u32_e32 v9, vcc_lo, 0, v122, vcc_lo
	v_mul_lo_u32 v22, s18, v0
	v_lshlrev_b32_e32 v0, 5, v7
	scratch_store_b32 off, v7, off offset:296 ; 4-byte Folded Spill
	v_add_co_u32 v25, vcc_lo, v121, 10
	v_mad_u64_u32 v[1:2], null, s18, v11, s[20:21]
	scratch_store_b32 off, v0, off          ; 4-byte Folded Spill
	v_add_co_u32 v0, s3, v0, s6
	s_delay_alu instid0(VALU_DEP_1) | instskip(SKIP_1) | instid1(VALU_DEP_3)
	v_add_co_ci_u32_e64 v133, null, 0, 0, s3
	v_mul_lo_u32 v17, s19, v11
	v_mul_lo_u32 v14, s19, v0
	v_mad_u64_u32 v[135:136], null, s18, v0, 0
	s_delay_alu instid0(VALU_DEP_4)
	v_mul_lo_u32 v16, s18, v133
	v_add_co_ci_u32_e32 v13, vcc_lo, 0, v122, vcc_lo
	v_mul_lo_u32 v26, s18, v9
	v_mad_u64_u32 v[9:10], null, s18, v11, s[22:23]
	v_mad_u64_u32 v[3:4], null, s18, v15, s[20:21]
	v_mul_lo_u32 v20, s18, v5
	v_mul_lo_u32 v21, s19, v15
	v_mad_u64_u32 v[5:6], null, s18, v19, s[20:21]
	v_mul_lo_u32 v23, s19, v19
	v_mul_lo_u32 v28, s18, v13
	v_add3_u32 v136, v136, v16, v14
	v_mad_u64_u32 v[13:14], null, s18, v15, s[22:23]
	v_mad_u64_u32 v[15:16], null, s18, v19, s[22:23]
	v_add3_u32 v2, v17, v2, v18
	v_mad_u64_u32 v[7:8], null, s18, v24, s[20:21]
	v_mul_lo_u32 v27, s19, v24
	v_add3_u32 v10, v17, v10, v18
	v_mad_u64_u32 v[17:18], null, s18, v24, s[22:23]
	v_add_co_u32 v30, vcc_lo, v121, 12
	v_add3_u32 v4, v21, v4, v20
	v_add3_u32 v6, v23, v6, v22
	v_mad_u64_u32 v[11:12], null, s18, v25, s[20:21]
	v_mul_lo_u32 v29, s19, v25
	v_add_co_ci_u32_e32 v31, vcc_lo, 0, v122, vcc_lo
	v_add3_u32 v14, v21, v14, v20
	v_add3_u32 v16, v23, v16, v22
	v_mad_u64_u32 v[21:22], null, s18, v25, s[22:23]
	v_mad_u64_u32 v[19:20], null, s18, v30, s[20:21]
	v_mul_lo_u32 v32, s19, v30
	v_mad_u64_u32 v[23:24], null, s18, v30, s[22:23]
	v_add_co_u32 v30, vcc_lo, v121, 14
	v_add3_u32 v8, v27, v8, v26
	v_add3_u32 v18, v27, v18, v26
	v_add_co_ci_u32_e32 v27, vcc_lo, 0, v122, vcc_lo
	v_mul_lo_u32 v31, s18, v31
	v_add3_u32 v12, v29, v12, v28
	v_add3_u32 v22, v29, v22, v28
	v_mad_u64_u32 v[25:26], null, s18, v30, s[20:21]
	v_mul_lo_u32 v29, s18, v27
	v_mul_lo_u32 v33, s19, v30
	v_mad_u64_u32 v[27:28], null, s18, v30, s[22:23]
	v_add_co_u32 v34, vcc_lo, v121, 16
	v_add_co_ci_u32_e32 v30, vcc_lo, 0, v122, vcc_lo
	v_add3_u32 v20, v32, v20, v31
	v_add3_u32 v24, v32, v24, v31
	v_add3_u32 v26, v33, v26, v29
	v_add3_u32 v28, v33, v28, v29
	v_mul_lo_u32 v33, s18, v30
	v_mul_lo_u32 v35, s19, v34
	v_mad_u64_u32 v[29:30], null, s18, v34, s[20:21]
	v_mad_u64_u32 v[31:32], null, s18, v34, s[22:23]
	v_add_co_u32 v37, vcc_lo, v121, 18
	v_lshlrev_b64 v[137:138], 1, v[135:136]
	s_load_b32 s3, s[0:1], 0x44
	s_delay_alu instid0(VALU_DEP_4) | instskip(NEXT) | instid1(VALU_DEP_3)
	v_add3_u32 v30, v35, v30, v33
	v_mul_lo_u32 v39, s19, v37
	v_add3_u32 v32, v35, v32, v33
	v_add_co_ci_u32_e32 v33, vcc_lo, 0, v122, vcc_lo
	v_mad_u64_u32 v[35:36], null, s18, v37, s[22:23]
	v_add_co_u32 v41, vcc_lo, v121, 20
	s_delay_alu instid0(VALU_DEP_3) | instskip(SKIP_2) | instid1(VALU_DEP_4)
	v_mul_lo_u32 v38, s18, v33
	v_mad_u64_u32 v[33:34], null, s18, v37, s[20:21]
	v_add_co_ci_u32_e32 v37, vcc_lo, 0, v122, vcc_lo
	v_mul_lo_u32 v43, s19, v41
	v_add_co_u32 v45, vcc_lo, v121, 22
	v_add3_u32 v36, v39, v36, v38
	v_add3_u32 v34, v39, v34, v38
	v_mul_lo_u32 v42, s18, v37
	v_mad_u64_u32 v[37:38], null, s18, v41, s[20:21]
	v_mad_u64_u32 v[39:40], null, s18, v41, s[22:23]
	v_add_co_ci_u32_e32 v41, vcc_lo, 0, v122, vcc_lo
	v_mul_lo_u32 v47, s19, v45
	v_add_co_u32 v49, vcc_lo, v121, 24
	v_add3_u32 v38, v43, v38, v42
	v_add3_u32 v40, v43, v40, v42
	v_mul_lo_u32 v46, s18, v41
	v_mad_u64_u32 v[41:42], null, s18, v45, s[20:21]
	;; [unrolled: 8-line block ×20, first 2 shown]
	v_mad_u64_u32 v[115:116], null, s18, v117, s[22:23]
	v_add_co_ci_u32_e32 v117, vcc_lo, 0, v122, vcc_lo
	v_mul_lo_u32 v125, s19, v123
	s_waitcnt lgkmcnt(0)
	s_lshl_b32 s3, s3, 5
	s_delay_alu instid0(VALU_DEP_4)
	v_add3_u32 v114, v119, v114, v118
	v_mul_lo_u32 v124, s18, v117
	v_add3_u32 v116, v119, v116, v118
	v_mad_u64_u32 v[117:118], null, s18, v123, s[20:21]
	v_mad_u64_u32 v[119:120], null, s18, v123, s[22:23]
	s_mul_i32 s12, s19, s3
	s_mul_hi_u32 s13, s18, s3
	s_delay_alu instid0(SALU_CYCLE_1) | instskip(NEXT) | instid1(VALU_DEP_2)
	s_add_i32 s13, s13, s12
	v_add3_u32 v118, v125, v118, v124
	s_mul_i32 s12, s18, s3
	s_delay_alu instid0(VALU_DEP_2) | instskip(SKIP_3) | instid1(VALU_DEP_2)
	v_add3_u32 v120, v125, v120, v124
	v_add_co_u32 v125, vcc_lo, v121, 62
	v_add_co_ci_u32_e32 v121, vcc_lo, 0, v122, vcc_lo
	s_lshl_b64 s[12:13], s[12:13], 1
	v_mul_lo_u32 v127, s19, v125
	v_mad_u64_u32 v[123:124], null, s18, v125, s[22:23]
	s_delay_alu instid0(VALU_DEP_3) | instskip(SKIP_2) | instid1(VALU_DEP_3)
	v_mul_lo_u32 v126, s18, v121
	v_mad_u64_u32 v[121:122], null, s18, v125, s[20:21]
	v_add_co_u32 v125, vcc_lo, v0, 31
	v_add3_u32 v124, v127, v124, v126
	s_delay_alu instid0(VALU_DEP_3) | instskip(SKIP_1) | instid1(VALU_DEP_4)
	v_add3_u32 v122, v127, v122, v126
	v_add_co_ci_u32_e32 v126, vcc_lo, 0, v133, vcc_lo
	v_mul_lo_u32 v129, s19, v125
	v_mad_u64_u32 v[127:128], null, s18, v125, 0
	s_delay_alu instid0(VALU_DEP_3) | instskip(SKIP_1) | instid1(VALU_DEP_1)
	v_mul_lo_u32 v126, s18, v126
	v_add_co_u32 v125, vcc_lo, v0, 30
	v_mul_lo_u32 v131, s19, v125
	s_delay_alu instid0(VALU_DEP_3) | instskip(SKIP_3) | instid1(VALU_DEP_3)
	v_add3_u32 v128, v128, v126, v129
	v_add_co_ci_u32_e32 v126, vcc_lo, 0, v133, vcc_lo
	v_mad_u64_u32 v[129:130], null, s18, v125, 0
	v_add_co_u32 v125, vcc_lo, v0, 29
	v_mul_lo_u32 v126, s18, v126
	v_lshlrev_b64 v[127:128], 1, v[127:128]
	s_delay_alu instid0(VALU_DEP_3) | instskip(NEXT) | instid1(VALU_DEP_3)
	v_mul_lo_u32 v134, s19, v125
	v_add3_u32 v130, v130, v126, v131
	v_add_co_ci_u32_e32 v126, vcc_lo, 0, v133, vcc_lo
	v_mad_u64_u32 v[131:132], null, s18, v125, 0
	v_add_co_u32 v125, vcc_lo, v0, 28
	s_delay_alu instid0(VALU_DEP_3) | instskip(NEXT) | instid1(VALU_DEP_2)
	v_mul_lo_u32 v126, s18, v126
	v_mad_u64_u32 v[139:140], null, s18, v125, 0
	s_delay_alu instid0(VALU_DEP_2) | instskip(SKIP_3) | instid1(VALU_DEP_3)
	v_add3_u32 v132, v132, v126, v134
	v_add_co_ci_u32_e32 v126, vcc_lo, 0, v133, vcc_lo
	v_mul_lo_u32 v134, s19, v125
	v_add_co_u32 v125, vcc_lo, v0, 27
	v_mul_lo_u32 v126, s18, v126
	s_delay_alu instid0(VALU_DEP_2) | instskip(NEXT) | instid1(VALU_DEP_2)
	v_mad_u64_u32 v[141:142], null, s18, v125, 0
	v_add3_u32 v140, v140, v126, v134
	v_add_co_ci_u32_e32 v126, vcc_lo, 0, v133, vcc_lo
	v_mul_lo_u32 v134, s19, v125
	v_add_co_u32 v125, vcc_lo, v0, 26
	s_delay_alu instid0(VALU_DEP_3) | instskip(NEXT) | instid1(VALU_DEP_2)
	v_mul_lo_u32 v126, s18, v126
	v_mad_u64_u32 v[143:144], null, s18, v125, 0
	s_delay_alu instid0(VALU_DEP_2) | instskip(SKIP_3) | instid1(VALU_DEP_3)
	v_add3_u32 v142, v142, v126, v134
	v_add_co_ci_u32_e32 v126, vcc_lo, 0, v133, vcc_lo
	v_mul_lo_u32 v134, s19, v125
	v_add_co_u32 v125, vcc_lo, v0, 25
	v_mul_lo_u32 v126, s18, v126
	s_delay_alu instid0(VALU_DEP_2) | instskip(NEXT) | instid1(VALU_DEP_2)
	v_mad_u64_u32 v[145:146], null, s18, v125, 0
	v_add3_u32 v144, v144, v126, v134
	v_add_co_ci_u32_e32 v126, vcc_lo, 0, v133, vcc_lo
	v_mul_lo_u32 v134, s19, v125
	;; [unrolled: 15-line block ×13, first 2 shown]
	v_add_co_u32 v0, vcc_lo, v0, 2
	s_delay_alu instid0(VALU_DEP_3) | instskip(SKIP_1) | instid1(VALU_DEP_1)
	v_mul_lo_u32 v126, s18, v126
	v_add_co_ci_u32_e32 v125, vcc_lo, 0, v133, vcc_lo
	v_mul_lo_u32 v125, s18, v125
	s_delay_alu instid0(VALU_DEP_3) | instskip(SKIP_2) | instid1(VALU_DEP_1)
	v_add3_u32 v252, v252, v126, v134
	v_mul_lo_u32 v126, s19, v0
	v_mad_u64_u32 v[133:134], null, s18, v0, 0
	v_add3_u32 v134, v134, v125, v126
	v_add_co_u32 v125, vcc_lo, v135, s18
	v_add_co_ci_u32_e32 v126, vcc_lo, s19, v136, vcc_lo
	v_add_co_u32 v135, vcc_lo, s20, v137
	v_add_co_ci_u32_e32 v136, vcc_lo, s21, v138, vcc_lo
	;; [unrolled: 2-line block ×3, first 2 shown]
	v_add_co_u32 v0, vcc_lo, s20, v127
	v_lshlrev_b64 v[125:126], 1, v[125:126]
	scratch_store_b32 off, v0, off offset:4 ; 4-byte Folded Spill
	v_add_co_ci_u32_e32 v0, vcc_lo, s21, v128, vcc_lo
	scratch_store_b32 off, v0, off offset:8 ; 4-byte Folded Spill
	v_add_co_u32 v0, vcc_lo, s22, v127
	scratch_store_b32 off, v0, off offset:12 ; 4-byte Folded Spill
	v_add_co_ci_u32_e32 v0, vcc_lo, s23, v128, vcc_lo
	v_lshlrev_b64 v[127:128], 1, v[129:130]
	scratch_store_b32 off, v0, off offset:16 ; 4-byte Folded Spill
	v_add_co_u32 v0, vcc_lo, s20, v127
	scratch_store_b32 off, v0, off offset:20 ; 4-byte Folded Spill
	v_add_co_ci_u32_e32 v0, vcc_lo, s21, v128, vcc_lo
	scratch_store_b32 off, v0, off offset:24 ; 4-byte Folded Spill
	v_add_co_u32 v0, vcc_lo, s22, v127
	scratch_store_b32 off, v0, off offset:28 ; 4-byte Folded Spill
	v_add_co_ci_u32_e32 v0, vcc_lo, s23, v128, vcc_lo
	v_lshlrev_b64 v[127:128], 1, v[131:132]
	v_mov_b32_e32 v131, 0
	scratch_store_b32 off, v0, off offset:32 ; 4-byte Folded Spill
	v_add_co_u32 v0, vcc_lo, s20, v127
	scratch_store_b32 off, v0, off offset:36 ; 4-byte Folded Spill
	v_add_co_ci_u32_e32 v0, vcc_lo, s21, v128, vcc_lo
	scratch_store_b32 off, v0, off offset:40 ; 4-byte Folded Spill
	v_add_co_u32 v0, vcc_lo, s22, v127
	scratch_store_b32 off, v0, off offset:44 ; 4-byte Folded Spill
	v_add_co_ci_u32_e32 v0, vcc_lo, s23, v128, vcc_lo
	v_lshlrev_b64 v[127:128], 1, v[139:140]
	scratch_store_b32 off, v0, off offset:48 ; 4-byte Folded Spill
	v_add_co_u32 v0, vcc_lo, s20, v127
	scratch_store_b32 off, v0, off offset:52 ; 4-byte Folded Spill
	v_add_co_ci_u32_e32 v0, vcc_lo, s21, v128, vcc_lo
	scratch_store_b32 off, v0, off offset:56 ; 4-byte Folded Spill
	v_add_co_u32 v0, vcc_lo, s22, v127
	scratch_store_b32 off, v0, off offset:60 ; 4-byte Folded Spill
	v_add_co_ci_u32_e32 v0, vcc_lo, s23, v128, vcc_lo
	v_lshlrev_b64 v[127:128], 1, v[141:142]
	;; [unrolled: 9-line block ×4, first 2 shown]
	v_mov_b32_e32 v145, 0
	scratch_store_b32 off, v0, off offset:96 ; 4-byte Folded Spill
	v_add_co_u32 v0, vcc_lo, s20, v127
	scratch_store_b32 off, v0, off offset:100 ; 4-byte Folded Spill
	v_add_co_ci_u32_e32 v0, vcc_lo, s21, v128, vcc_lo
	scratch_store_b32 off, v0, off offset:104 ; 4-byte Folded Spill
	v_add_co_u32 v0, vcc_lo, s22, v127
	scratch_store_b32 off, v0, off offset:108 ; 4-byte Folded Spill
	v_add_co_ci_u32_e32 v0, vcc_lo, s23, v128, vcc_lo
	v_lshlrev_b64 v[127:128], 1, v[147:148]
	scratch_store_b32 off, v0, off offset:112 ; 4-byte Folded Spill
	v_add_co_u32 v0, vcc_lo, s20, v127
	scratch_store_b32 off, v0, off offset:116 ; 4-byte Folded Spill
	v_add_co_ci_u32_e32 v0, vcc_lo, s21, v128, vcc_lo
	scratch_store_b32 off, v0, off offset:120 ; 4-byte Folded Spill
	v_add_co_u32 v0, vcc_lo, s22, v127
	scratch_store_b32 off, v0, off offset:124 ; 4-byte Folded Spill
	v_add_co_ci_u32_e32 v0, vcc_lo, s23, v128, vcc_lo
	v_lshlrev_b64 v[127:128], 1, v[149:150]
	;; [unrolled: 9-line block ×6, first 2 shown]
	scratch_store_b32 off, v0, off offset:192 ; 4-byte Folded Spill
	v_add_co_u32 v0, vcc_lo, s20, v127
	scratch_store_b32 off, v0, off offset:196 ; 4-byte Folded Spill
	v_add_co_ci_u32_e32 v0, vcc_lo, s21, v128, vcc_lo
	scratch_store_b32 off, v0, off offset:200 ; 4-byte Folded Spill
	v_add_co_u32 v0, vcc_lo, s22, v127
	v_add_co_ci_u32_e32 v190, vcc_lo, s23, v128, vcc_lo
	v_lshlrev_b64 v[127:128], 1, v[159:160]
	scratch_store_b32 off, v0, off offset:204 ; 4-byte Folded Spill
	v_add_co_u32 v191, vcc_lo, s20, v127
	v_add_co_ci_u32_e32 v192, vcc_lo, s21, v128, vcc_lo
	v_add_co_u32 v193, vcc_lo, s22, v127
	v_add_co_ci_u32_e32 v194, vcc_lo, s23, v128, vcc_lo
	v_lshlrev_b64 v[127:128], 1, v[161:162]
	s_delay_alu instid0(VALU_DEP_1) | instskip(NEXT) | instid1(VALU_DEP_2)
	v_add_co_u32 v195, vcc_lo, s20, v127
	v_add_co_ci_u32_e32 v196, vcc_lo, s21, v128, vcc_lo
	v_add_co_u32 v197, vcc_lo, s22, v127
	v_add_co_ci_u32_e32 v198, vcc_lo, s23, v128, vcc_lo
	v_lshlrev_b64 v[127:128], 1, v[163:164]
	s_delay_alu instid0(VALU_DEP_1) | instskip(NEXT) | instid1(VALU_DEP_2)
	;; [unrolled: 6-line block ×16, first 2 shown]
	v_add_co_u32 v255, vcc_lo, s20, v127
	v_add_co_ci_u32_e32 v133, vcc_lo, s21, v128, vcc_lo
	v_add_co_u32 v0, vcc_lo, s22, v127
	v_add_co_ci_u32_e32 v134, vcc_lo, s23, v128, vcc_lo
	;; [unrolled: 2-line block ×3, first 2 shown]
	v_add_co_u32 v141, vcc_lo, s22, v125
	v_and_b32_e32 v125, 0x3ff, v177
	v_add_co_ci_u32_e32 v142, vcc_lo, s23, v126, vcc_lo
	v_mov_b32_e32 v126, 0
	s_mov_b64 s[20:21], 31
	scratch_store_b32 off, v125, off offset:300 ; 4-byte Folded Spill
	v_add_nc_u32_e32 v125, s15, v125
	s_mov_b64 s[22:23], s[6:7]
	v_mov_b32_e32 v143, v126
	s_delay_alu instid0(VALU_DEP_2)
	v_lshlrev_b64 v[127:128], 1, v[125:126]
.LBB107_145:                            ; =>This Inner Loop Header: Depth=1
	scratch_load_b32 v125, off, off         ; 4-byte Folded Reload
	s_add_u32 s24, s6, s20
	s_addc_u32 s25, 0, s21
	scratch_store_b32 off, v131, off offset:208 ; 4-byte Folded Spill
	v_cmp_ge_i64_e64 s7, s[24:25], s[16:17]
	s_waitcnt vmcnt(0)
	v_add_co_u32 v129, vcc_lo, s6, v125
	v_add_co_ci_u32_e32 v130, vcc_lo, 0, v143, vcc_lo
	s_delay_alu instid0(VALU_DEP_3)
	s_and_b32 vcc_lo, exec_lo, s7
	s_cbranch_vccz .LBB107_213
; %bb.146:                              ;   in Loop: Header=BB107_145 Depth=1
	s_load_b32 s7, s[4:5], 0xc
	s_clause 0x1
	scratch_load_b32 v125, off, off offset:296
	scratch_load_b32 v131, off, off offset:300
	v_mov_b32_e32 v146, 0
	s_waitcnt lgkmcnt(0)
	s_and_b32 s7, s7, 0xffff
	s_waitcnt vmcnt(0)
	v_mad_u32_u24 v125, v125, s7, v131
	s_mov_b32 s7, exec_lo
	s_delay_alu instid0(VALU_DEP_1) | instskip(NEXT) | instid1(VALU_DEP_1)
	v_and_b32_e32 v125, 31, v125
	v_add_co_u32 v131, vcc_lo, v129, v125
	v_mov_b32_e32 v125, 0
	v_add_co_ci_u32_e32 v132, vcc_lo, 0, v130, vcc_lo
	scratch_store_b32 off, v125, off offset:212 ; 4-byte Folded Spill
	v_mov_b32_e32 v125, 0
	v_cmpx_gt_i64_e64 s[16:17], v[131:132]
	s_cbranch_execz .LBB107_148
; %bb.147:                              ;   in Loop: Header=BB107_145 Depth=1
	v_lshlrev_b64 v[131:132], 2, v[131:132]
	s_delay_alu instid0(VALU_DEP_1) | instskip(NEXT) | instid1(VALU_DEP_2)
	v_add_co_u32 v146, vcc_lo, s8, v131
	v_add_co_ci_u32_e32 v147, vcc_lo, s9, v132, vcc_lo
	v_add_co_u32 v131, vcc_lo, s10, v131
	v_add_co_ci_u32_e32 v132, vcc_lo, s11, v132, vcc_lo
	global_load_b32 v146, v[146:147], off
	global_load_b32 v125, v[131:132], off
.LBB107_148:                            ;   in Loop: Header=BB107_145 Depth=1
	s_or_b32 exec_lo, exec_lo, s7
	v_mov_b32_e32 v178, 0
	s_mov_b32 s7, exec_lo
	v_cmpx_gt_i64_e64 s[16:17], v[129:130]
	s_cbranch_execz .LBB107_150
; %bb.149:                              ;   in Loop: Header=BB107_145 Depth=1
	v_add_co_u32 v131, vcc_lo, v137, v127
	v_add_co_ci_u32_e32 v132, vcc_lo, v138, v128, vcc_lo
	v_add_co_u32 v147, vcc_lo, v135, v127
	v_add_co_ci_u32_e32 v148, vcc_lo, v136, v128, vcc_lo
	global_load_u16 v131, v[131:132], off
	global_load_u16 v132, v[147:148], off
	s_waitcnt vmcnt(1)
	v_lshlrev_b32_e32 v131, 16, v131
	s_waitcnt vmcnt(0)
	v_lshlrev_b32_e32 v178, 16, v132
	scratch_store_b32 off, v131, off offset:212 ; 4-byte Folded Spill
.LBB107_150:                            ;   in Loop: Header=BB107_145 Depth=1
	s_or_b32 exec_lo, exec_lo, s7
	v_add_co_u32 v131, vcc_lo, v129, 1
	v_add_co_ci_u32_e32 v132, vcc_lo, 0, v130, vcc_lo
	v_dual_mov_b32 v187, 0 :: v_dual_mov_b32 v188, 0
	v_mov_b32_e32 v179, 0
	s_mov_b32 s7, exec_lo
	s_delay_alu instid0(VALU_DEP_3)
	v_cmpx_gt_i64_e64 s[16:17], v[131:132]
	s_cbranch_execz .LBB107_152
; %bb.151:                              ;   in Loop: Header=BB107_145 Depth=1
	v_add_co_u32 v131, vcc_lo, v141, v127
	v_add_co_ci_u32_e32 v132, vcc_lo, v142, v128, vcc_lo
	v_add_co_u32 v147, vcc_lo, v139, v127
	v_add_co_ci_u32_e32 v148, vcc_lo, v140, v128, vcc_lo
	global_load_u16 v131, v[131:132], off
	global_load_u16 v132, v[147:148], off
	s_waitcnt vmcnt(1)
	v_lshlrev_b32_e32 v188, 16, v131
	s_waitcnt vmcnt(0)
	v_lshlrev_b32_e32 v179, 16, v132
.LBB107_152:                            ;   in Loop: Header=BB107_145 Depth=1
	s_or_b32 exec_lo, exec_lo, s7
	v_add_co_u32 v131, vcc_lo, v129, 2
	v_add_co_ci_u32_e32 v132, vcc_lo, 0, v130, vcc_lo
	v_mov_b32_e32 v180, 0
	s_mov_b32 s7, exec_lo
	s_delay_alu instid0(VALU_DEP_2)
	v_cmpx_gt_i64_e64 s[16:17], v[131:132]
	s_cbranch_execz .LBB107_154
; %bb.153:                              ;   in Loop: Header=BB107_145 Depth=1
	v_add_co_u32 v131, vcc_lo, v0, v127
	v_add_co_ci_u32_e32 v132, vcc_lo, v134, v128, vcc_lo
	v_add_co_u32 v147, vcc_lo, v255, v127
	v_add_co_ci_u32_e32 v148, vcc_lo, v133, v128, vcc_lo
	global_load_u16 v131, v[131:132], off
	global_load_u16 v132, v[147:148], off
	s_waitcnt vmcnt(1)
	v_lshlrev_b32_e32 v187, 16, v131
	s_waitcnt vmcnt(0)
	v_lshlrev_b32_e32 v180, 16, v132
.LBB107_154:                            ;   in Loop: Header=BB107_145 Depth=1
	s_or_b32 exec_lo, exec_lo, s7
	v_add_co_u32 v131, vcc_lo, v129, 3
	v_add_co_ci_u32_e32 v132, vcc_lo, 0, v130, vcc_lo
	v_mov_b32_e32 v189, 0
	v_mov_b32_e32 v181, 0
	s_delay_alu instid0(VALU_DEP_3)
	v_cmp_gt_i64_e32 vcc_lo, s[16:17], v[131:132]
	v_mov_b32_e32 v131, 0
	scratch_store_b32 off, v131, off offset:228 ; 4-byte Folded Spill
	s_and_saveexec_b32 s7, vcc_lo
	s_cbranch_execz .LBB107_156
; %bb.155:                              ;   in Loop: Header=BB107_145 Depth=1
	v_add_co_u32 v131, vcc_lo, v253, v127
	v_add_co_ci_u32_e32 v132, vcc_lo, v254, v128, vcc_lo
	v_add_co_u32 v147, vcc_lo, v251, v127
	v_add_co_ci_u32_e32 v148, vcc_lo, v252, v128, vcc_lo
	global_load_u16 v131, v[131:132], off
	global_load_u16 v132, v[147:148], off
	s_waitcnt vmcnt(1)
	v_lshlrev_b32_e32 v131, 16, v131
	s_waitcnt vmcnt(0)
	v_lshlrev_b32_e32 v181, 16, v132
	scratch_store_b32 off, v131, off offset:228 ; 4-byte Folded Spill
.LBB107_156:                            ;   in Loop: Header=BB107_145 Depth=1
	s_or_b32 exec_lo, exec_lo, s7
	v_add_co_u32 v131, vcc_lo, v129, 4
	v_add_co_ci_u32_e32 v132, vcc_lo, 0, v130, vcc_lo
	v_mov_b32_e32 v182, 0
	s_mov_b32 s7, exec_lo
	s_delay_alu instid0(VALU_DEP_2)
	v_cmpx_gt_i64_e64 s[16:17], v[131:132]
	s_cbranch_execz .LBB107_158
; %bb.157:                              ;   in Loop: Header=BB107_145 Depth=1
	v_add_co_u32 v131, vcc_lo, v249, v127
	v_add_co_ci_u32_e32 v132, vcc_lo, v250, v128, vcc_lo
	v_add_co_u32 v147, vcc_lo, v247, v127
	v_add_co_ci_u32_e32 v148, vcc_lo, v248, v128, vcc_lo
	global_load_u16 v131, v[131:132], off
	global_load_u16 v132, v[147:148], off
	s_waitcnt vmcnt(1)
	v_lshlrev_b32_e32 v189, 16, v131
	s_waitcnt vmcnt(0)
	v_lshlrev_b32_e32 v182, 16, v132
.LBB107_158:                            ;   in Loop: Header=BB107_145 Depth=1
	s_or_b32 exec_lo, exec_lo, s7
	v_add_co_u32 v131, vcc_lo, v129, 5
	v_add_co_ci_u32_e32 v132, vcc_lo, 0, v130, vcc_lo
	v_dual_mov_b32 v144, 0 :: v_dual_mov_b32 v185, 0
	s_delay_alu instid0(VALU_DEP_2)
	v_cmp_gt_i64_e32 vcc_lo, s[16:17], v[131:132]
	v_mov_b32_e32 v131, 0
	s_clause 0x1
	scratch_store_b32 off, v144, off offset:232
	scratch_store_b32 off, v131, off offset:236
	s_and_saveexec_b32 s7, vcc_lo
	s_cbranch_execz .LBB107_160
; %bb.159:                              ;   in Loop: Header=BB107_145 Depth=1
	v_add_co_u32 v131, vcc_lo, v245, v127
	v_add_co_ci_u32_e32 v132, vcc_lo, v246, v128, vcc_lo
	v_add_co_u32 v147, vcc_lo, v243, v127
	v_add_co_ci_u32_e32 v148, vcc_lo, v244, v128, vcc_lo
	global_load_u16 v131, v[131:132], off
	global_load_u16 v132, v[147:148], off
	s_waitcnt vmcnt(1)
	v_lshlrev_b32_e32 v131, 16, v131
	s_waitcnt vmcnt(0)
	v_lshlrev_b32_e32 v185, 16, v132
	scratch_store_b32 off, v131, off offset:236 ; 4-byte Folded Spill
.LBB107_160:                            ;   in Loop: Header=BB107_145 Depth=1
	s_or_b32 exec_lo, exec_lo, s7
	v_add_co_u32 v131, vcc_lo, v129, 6
	v_add_co_ci_u32_e32 v132, vcc_lo, 0, v130, vcc_lo
	v_mov_b32_e32 v186, 0
	s_mov_b32 s7, exec_lo
	s_delay_alu instid0(VALU_DEP_2)
	v_cmpx_gt_i64_e64 s[16:17], v[131:132]
	s_cbranch_execz .LBB107_162
; %bb.161:                              ;   in Loop: Header=BB107_145 Depth=1
	v_add_co_u32 v131, vcc_lo, v241, v127
	v_add_co_ci_u32_e32 v132, vcc_lo, v242, v128, vcc_lo
	v_add_co_u32 v147, vcc_lo, v239, v127
	v_add_co_ci_u32_e32 v148, vcc_lo, v240, v128, vcc_lo
	global_load_u16 v131, v[131:132], off
	global_load_u16 v132, v[147:148], off
	s_waitcnt vmcnt(1)
	v_lshlrev_b32_e32 v131, 16, v131
	s_waitcnt vmcnt(0)
	v_lshlrev_b32_e32 v186, 16, v132
	scratch_store_b32 off, v131, off offset:232 ; 4-byte Folded Spill
.LBB107_162:                            ;   in Loop: Header=BB107_145 Depth=1
	s_or_b32 exec_lo, exec_lo, s7
	v_add_co_u32 v131, vcc_lo, v129, 7
	v_add_co_ci_u32_e32 v132, vcc_lo, 0, v130, vcc_lo
	v_mov_b32_e32 v144, 0
	s_delay_alu instid0(VALU_DEP_2)
	v_cmp_gt_i64_e32 vcc_lo, s[16:17], v[131:132]
	v_mov_b32_e32 v131, 0
	scratch_store_b32 off, v131, off offset:244 ; 4-byte Folded Spill
	v_mov_b32_e32 v131, 0
	s_clause 0x1
	scratch_store_b32 off, v144, off offset:240
	scratch_store_b32 off, v131, off offset:216
	s_and_saveexec_b32 s7, vcc_lo
	s_cbranch_execz .LBB107_164
; %bb.163:                              ;   in Loop: Header=BB107_145 Depth=1
	v_add_co_u32 v131, vcc_lo, v237, v127
	v_add_co_ci_u32_e32 v132, vcc_lo, v238, v128, vcc_lo
	v_add_co_u32 v147, vcc_lo, v235, v127
	v_add_co_ci_u32_e32 v148, vcc_lo, v236, v128, vcc_lo
	global_load_u16 v131, v[131:132], off
	global_load_u16 v132, v[147:148], off
	s_waitcnt vmcnt(1)
	v_lshlrev_b32_e32 v131, 16, v131
	scratch_store_b32 off, v131, off offset:244 ; 4-byte Folded Spill
	s_waitcnt vmcnt(0)
	v_lshlrev_b32_e32 v131, 16, v132
	scratch_store_b32 off, v131, off offset:216 ; 4-byte Folded Spill
.LBB107_164:                            ;   in Loop: Header=BB107_145 Depth=1
	s_or_b32 exec_lo, exec_lo, s7
	v_add_co_u32 v131, vcc_lo, v129, 8
	v_add_co_ci_u32_e32 v132, vcc_lo, 0, v130, vcc_lo
	s_delay_alu instid0(VALU_DEP_1)
	v_cmp_gt_i64_e32 vcc_lo, s[16:17], v[131:132]
	v_mov_b32_e32 v131, 0
	scratch_store_b32 off, v131, off offset:220 ; 4-byte Folded Spill
	s_and_saveexec_b32 s7, vcc_lo
	s_cbranch_execz .LBB107_166
; %bb.165:                              ;   in Loop: Header=BB107_145 Depth=1
	v_add_co_u32 v131, vcc_lo, v233, v127
	v_add_co_ci_u32_e32 v132, vcc_lo, v234, v128, vcc_lo
	v_add_co_u32 v147, vcc_lo, v231, v127
	v_add_co_ci_u32_e32 v148, vcc_lo, v232, v128, vcc_lo
	global_load_u16 v131, v[131:132], off
	global_load_u16 v132, v[147:148], off
	s_waitcnt vmcnt(1)
	v_lshlrev_b32_e32 v131, 16, v131
	scratch_store_b32 off, v131, off offset:240 ; 4-byte Folded Spill
	s_waitcnt vmcnt(0)
	v_lshlrev_b32_e32 v131, 16, v132
	scratch_store_b32 off, v131, off offset:220 ; 4-byte Folded Spill
.LBB107_166:                            ;   in Loop: Header=BB107_145 Depth=1
	s_or_b32 exec_lo, exec_lo, s7
	v_add_co_u32 v131, vcc_lo, v129, 9
	v_add_co_ci_u32_e32 v132, vcc_lo, 0, v130, vcc_lo
	v_mov_b32_e32 v144, 0
	s_delay_alu instid0(VALU_DEP_2)
	v_cmp_gt_i64_e32 vcc_lo, s[16:17], v[131:132]
	v_mov_b32_e32 v131, 0
	scratch_store_b32 off, v131, off offset:252 ; 4-byte Folded Spill
	v_mov_b32_e32 v131, 0
	s_clause 0x1
	scratch_store_b32 off, v144, off offset:248
	scratch_store_b32 off, v131, off offset:224
	s_and_saveexec_b32 s7, vcc_lo
	s_cbranch_execz .LBB107_168
; %bb.167:                              ;   in Loop: Header=BB107_145 Depth=1
	v_add_co_u32 v131, vcc_lo, v229, v127
	v_add_co_ci_u32_e32 v132, vcc_lo, v230, v128, vcc_lo
	v_add_co_u32 v147, vcc_lo, v227, v127
	v_add_co_ci_u32_e32 v148, vcc_lo, v228, v128, vcc_lo
	global_load_u16 v131, v[131:132], off
	global_load_u16 v132, v[147:148], off
	s_waitcnt vmcnt(1)
	v_lshlrev_b32_e32 v131, 16, v131
	scratch_store_b32 off, v131, off offset:252 ; 4-byte Folded Spill
	s_waitcnt vmcnt(0)
	v_lshlrev_b32_e32 v131, 16, v132
	scratch_store_b32 off, v131, off offset:224 ; 4-byte Folded Spill
.LBB107_168:                            ;   in Loop: Header=BB107_145 Depth=1
	s_or_b32 exec_lo, exec_lo, s7
	v_add_co_u32 v131, vcc_lo, v129, 10
	v_add_co_ci_u32_e32 v132, vcc_lo, 0, v130, vcc_lo
	s_delay_alu instid0(VALU_DEP_1)
	v_cmp_gt_i64_e32 vcc_lo, s[16:17], v[131:132]
	v_mov_b32_e32 v131, 0
	s_and_saveexec_b32 s7, vcc_lo
	s_cbranch_execz .LBB107_170
; %bb.169:                              ;   in Loop: Header=BB107_145 Depth=1
	v_add_co_u32 v131, vcc_lo, v225, v127
	v_add_co_ci_u32_e32 v132, vcc_lo, v226, v128, vcc_lo
	v_add_co_u32 v147, vcc_lo, v223, v127
	v_add_co_ci_u32_e32 v148, vcc_lo, v224, v128, vcc_lo
	global_load_u16 v131, v[131:132], off
	global_load_u16 v132, v[147:148], off
	s_waitcnt vmcnt(1)
	v_lshlrev_b32_e32 v131, 16, v131
	scratch_store_b32 off, v131, off offset:248 ; 4-byte Folded Spill
	s_waitcnt vmcnt(0)
	v_lshlrev_b32_e32 v131, 16, v132
.LBB107_170:                            ;   in Loop: Header=BB107_145 Depth=1
	s_or_b32 exec_lo, exec_lo, s7
	v_mov_b32_e32 v132, 0
	v_add_co_u32 v147, vcc_lo, v129, 11
	v_add_co_ci_u32_e32 v148, vcc_lo, 0, v130, vcc_lo
	scratch_store_b32 off, v132, off offset:256 ; 4-byte Folded Spill
	v_mov_b32_e32 v132, 0
	s_mov_b32 s7, exec_lo
	scratch_store_b32 off, v132, off offset:260 ; 4-byte Folded Spill
	v_mov_b32_e32 v132, 0
	v_cmpx_gt_i64_e64 s[16:17], v[147:148]
	s_cbranch_execz .LBB107_172
; %bb.171:                              ;   in Loop: Header=BB107_145 Depth=1
	v_add_co_u32 v147, vcc_lo, v221, v127
	v_add_co_ci_u32_e32 v148, vcc_lo, v222, v128, vcc_lo
	v_add_co_u32 v149, vcc_lo, v219, v127
	v_add_co_ci_u32_e32 v150, vcc_lo, v220, v128, vcc_lo
	global_load_u16 v132, v[147:148], off
	global_load_u16 v147, v[149:150], off
	s_waitcnt vmcnt(1)
	v_lshlrev_b32_e32 v132, 16, v132
	scratch_store_b32 off, v132, off offset:260 ; 4-byte Folded Spill
	s_waitcnt vmcnt(0)
	v_lshlrev_b32_e32 v132, 16, v147
.LBB107_172:                            ;   in Loop: Header=BB107_145 Depth=1
	s_or_b32 exec_lo, exec_lo, s7
	v_add_co_u32 v147, vcc_lo, v129, 12
	v_add_co_ci_u32_e32 v148, vcc_lo, 0, v130, vcc_lo
	s_delay_alu instid0(VALU_DEP_1)
	v_cmp_gt_i64_e32 vcc_lo, s[16:17], v[147:148]
	v_mov_b32_e32 v147, 0
	s_and_saveexec_b32 s7, vcc_lo
	s_cbranch_execz .LBB107_174
; %bb.173:                              ;   in Loop: Header=BB107_145 Depth=1
	v_add_co_u32 v147, vcc_lo, v217, v127
	v_add_co_ci_u32_e32 v148, vcc_lo, v218, v128, vcc_lo
	v_add_co_u32 v149, vcc_lo, v215, v127
	v_add_co_ci_u32_e32 v150, vcc_lo, v216, v128, vcc_lo
	global_load_u16 v147, v[147:148], off
	global_load_u16 v148, v[149:150], off
	s_waitcnt vmcnt(1)
	v_lshlrev_b32_e32 v144, 16, v147
	s_waitcnt vmcnt(0)
	v_lshlrev_b32_e32 v147, 16, v148
	scratch_store_b32 off, v144, off offset:256 ; 4-byte Folded Spill
.LBB107_174:                            ;   in Loop: Header=BB107_145 Depth=1
	s_or_b32 exec_lo, exec_lo, s7
	v_add_co_u32 v148, vcc_lo, v129, 13
	v_add_co_ci_u32_e32 v149, vcc_lo, 0, v130, vcc_lo
	v_mov_b32_e32 v144, 0
	s_delay_alu instid0(VALU_DEP_2)
	v_cmp_gt_i64_e32 vcc_lo, s[16:17], v[148:149]
	v_mov_b32_e32 v148, 0
	scratch_store_b32 off, v144, off offset:264 ; 4-byte Folded Spill
	v_mov_b32_e32 v144, 0
	scratch_store_b32 off, v144, off offset:268 ; 4-byte Folded Spill
	s_and_saveexec_b32 s7, vcc_lo
	s_cbranch_execz .LBB107_176
; %bb.175:                              ;   in Loop: Header=BB107_145 Depth=1
	v_add_co_u32 v148, vcc_lo, v213, v127
	v_add_co_ci_u32_e32 v149, vcc_lo, v214, v128, vcc_lo
	v_add_co_u32 v150, vcc_lo, v211, v127
	v_add_co_ci_u32_e32 v151, vcc_lo, v212, v128, vcc_lo
	global_load_u16 v148, v[148:149], off
	global_load_u16 v149, v[150:151], off
	s_waitcnt vmcnt(1)
	v_lshlrev_b32_e32 v144, 16, v148
	s_waitcnt vmcnt(0)
	v_lshlrev_b32_e32 v148, 16, v149
	scratch_store_b32 off, v144, off offset:268 ; 4-byte Folded Spill
.LBB107_176:                            ;   in Loop: Header=BB107_145 Depth=1
	s_or_b32 exec_lo, exec_lo, s7
	v_add_co_u32 v149, vcc_lo, v129, 14
	v_add_co_ci_u32_e32 v150, vcc_lo, 0, v130, vcc_lo
	s_delay_alu instid0(VALU_DEP_1)
	v_cmp_gt_i64_e32 vcc_lo, s[16:17], v[149:150]
	v_mov_b32_e32 v149, 0
	s_and_saveexec_b32 s7, vcc_lo
	s_cbranch_execz .LBB107_178
; %bb.177:                              ;   in Loop: Header=BB107_145 Depth=1
	v_add_co_u32 v149, vcc_lo, v209, v127
	v_add_co_ci_u32_e32 v150, vcc_lo, v210, v128, vcc_lo
	v_add_co_u32 v151, vcc_lo, v207, v127
	v_add_co_ci_u32_e32 v152, vcc_lo, v208, v128, vcc_lo
	global_load_u16 v149, v[149:150], off
	global_load_u16 v150, v[151:152], off
	s_waitcnt vmcnt(1)
	v_lshlrev_b32_e32 v144, 16, v149
	s_waitcnt vmcnt(0)
	v_lshlrev_b32_e32 v149, 16, v150
	scratch_store_b32 off, v144, off offset:264 ; 4-byte Folded Spill
.LBB107_178:                            ;   in Loop: Header=BB107_145 Depth=1
	s_or_b32 exec_lo, exec_lo, s7
	v_add_co_u32 v150, vcc_lo, v129, 15
	v_add_co_ci_u32_e32 v151, vcc_lo, 0, v130, vcc_lo
	v_mov_b32_e32 v144, 0
	s_delay_alu instid0(VALU_DEP_2)
	v_cmp_gt_i64_e32 vcc_lo, s[16:17], v[150:151]
	v_mov_b32_e32 v150, 0
	scratch_store_b32 off, v144, off offset:276 ; 4-byte Folded Spill
	v_mov_b32_e32 v144, 0
	scratch_store_b32 off, v144, off offset:280 ; 4-byte Folded Spill
	s_and_saveexec_b32 s7, vcc_lo
	s_cbranch_execz .LBB107_180
; %bb.179:                              ;   in Loop: Header=BB107_145 Depth=1
	v_add_co_u32 v150, vcc_lo, v205, v127
	v_add_co_ci_u32_e32 v151, vcc_lo, v206, v128, vcc_lo
	v_add_co_u32 v152, vcc_lo, v203, v127
	v_add_co_ci_u32_e32 v153, vcc_lo, v204, v128, vcc_lo
	global_load_u16 v150, v[150:151], off
	global_load_u16 v151, v[152:153], off
	s_waitcnt vmcnt(1)
	v_lshlrev_b32_e32 v144, 16, v150
	s_waitcnt vmcnt(0)
	v_lshlrev_b32_e32 v150, 16, v151
	scratch_store_b32 off, v144, off offset:280 ; 4-byte Folded Spill
.LBB107_180:                            ;   in Loop: Header=BB107_145 Depth=1
	;; [unrolled: 46-line block ×3, first 2 shown]
	s_or_b32 exec_lo, exec_lo, s7
	v_add_co_u32 v153, vcc_lo, v129, 18
	v_add_co_ci_u32_e32 v154, vcc_lo, 0, v130, vcc_lo
	s_delay_alu instid0(VALU_DEP_1)
	v_cmp_gt_i64_e32 vcc_lo, s[16:17], v[153:154]
	v_mov_b32_e32 v153, 0
	s_and_saveexec_b32 s7, vcc_lo
	s_cbranch_execz .LBB107_186
; %bb.185:                              ;   in Loop: Header=BB107_145 Depth=1
	v_add_co_u32 v153, vcc_lo, v193, v127
	v_add_co_ci_u32_e32 v154, vcc_lo, v194, v128, vcc_lo
	v_add_co_u32 v155, vcc_lo, v191, v127
	v_add_co_ci_u32_e32 v156, vcc_lo, v192, v128, vcc_lo
	global_load_u16 v153, v[153:154], off
	global_load_u16 v154, v[155:156], off
	s_waitcnt vmcnt(1)
	v_lshlrev_b32_e32 v144, 16, v153
	s_waitcnt vmcnt(0)
	v_lshlrev_b32_e32 v153, 16, v154
	scratch_store_b32 off, v144, off offset:272 ; 4-byte Folded Spill
.LBB107_186:                            ;   in Loop: Header=BB107_145 Depth=1
	s_or_b32 exec_lo, exec_lo, s7
	v_add_co_u32 v154, vcc_lo, v129, 19
	v_add_co_ci_u32_e32 v155, vcc_lo, 0, v130, vcc_lo
	v_mov_b32_e32 v144, 0
	s_delay_alu instid0(VALU_DEP_2)
	v_cmp_gt_i64_e32 vcc_lo, s[16:17], v[154:155]
	v_mov_b32_e32 v154, 0
	scratch_store_b32 off, v144, off offset:284 ; 4-byte Folded Spill
	v_mov_b32_e32 v144, 0
	scratch_store_b32 off, v144, off offset:288 ; 4-byte Folded Spill
	s_and_saveexec_b32 s7, vcc_lo
	s_cbranch_execz .LBB107_188
; %bb.187:                              ;   in Loop: Header=BB107_145 Depth=1
	scratch_load_b32 v144, off, off offset:204 ; 4-byte Folded Reload
	s_waitcnt vmcnt(0)
	v_add_co_u32 v154, vcc_lo, v144, v127
	scratch_load_b32 v144, off, off offset:196 ; 4-byte Folded Reload
	v_add_co_ci_u32_e32 v155, vcc_lo, v190, v128, vcc_lo
	s_waitcnt vmcnt(0)
	v_add_co_u32 v156, vcc_lo, v144, v127
	scratch_load_b32 v144, off, off offset:200 ; 4-byte Folded Reload
	s_waitcnt vmcnt(0)
	v_add_co_ci_u32_e32 v157, vcc_lo, v144, v128, vcc_lo
	global_load_u16 v154, v[154:155], off
	global_load_u16 v155, v[156:157], off
	s_waitcnt vmcnt(1)
	v_lshlrev_b32_e32 v144, 16, v154
	s_waitcnt vmcnt(0)
	v_lshlrev_b32_e32 v154, 16, v155
	scratch_store_b32 off, v144, off offset:288 ; 4-byte Folded Spill
.LBB107_188:                            ;   in Loop: Header=BB107_145 Depth=1
	s_or_b32 exec_lo, exec_lo, s7
	v_add_co_u32 v155, vcc_lo, v129, 20
	v_add_co_ci_u32_e32 v156, vcc_lo, 0, v130, vcc_lo
	s_delay_alu instid0(VALU_DEP_1)
	v_cmp_gt_i64_e32 vcc_lo, s[16:17], v[155:156]
	v_mov_b32_e32 v155, 0
	s_and_saveexec_b32 s7, vcc_lo
	s_cbranch_execz .LBB107_190
; %bb.189:                              ;   in Loop: Header=BB107_145 Depth=1
	scratch_load_b32 v144, off, off offset:188 ; 4-byte Folded Reload
	s_waitcnt vmcnt(0)
	v_add_co_u32 v155, vcc_lo, v144, v127
	scratch_load_b32 v144, off, off offset:192 ; 4-byte Folded Reload
	s_waitcnt vmcnt(0)
	v_add_co_ci_u32_e32 v156, vcc_lo, v144, v128, vcc_lo
	scratch_load_b32 v144, off, off offset:180 ; 4-byte Folded Reload
	s_waitcnt vmcnt(0)
	v_add_co_u32 v157, vcc_lo, v144, v127
	scratch_load_b32 v144, off, off offset:184 ; 4-byte Folded Reload
	s_waitcnt vmcnt(0)
	v_add_co_ci_u32_e32 v158, vcc_lo, v144, v128, vcc_lo
	global_load_u16 v155, v[155:156], off
	global_load_u16 v156, v[157:158], off
	s_waitcnt vmcnt(1)
	v_lshlrev_b32_e32 v144, 16, v155
	s_waitcnt vmcnt(0)
	v_lshlrev_b32_e32 v155, 16, v156
	scratch_store_b32 off, v144, off offset:284 ; 4-byte Folded Spill
.LBB107_190:                            ;   in Loop: Header=BB107_145 Depth=1
	s_or_b32 exec_lo, exec_lo, s7
	v_add_co_u32 v158, vcc_lo, v129, 21
	v_add_co_ci_u32_e32 v159, vcc_lo, 0, v130, vcc_lo
	v_dual_mov_b32 v157, 0 :: v_dual_mov_b32 v156, 0
	s_delay_alu instid0(VALU_DEP_2)
	v_cmp_gt_i64_e32 vcc_lo, s[16:17], v[158:159]
	v_mov_b32_e32 v158, 0
	s_and_saveexec_b32 s7, vcc_lo
	s_cbranch_execz .LBB107_192
; %bb.191:                              ;   in Loop: Header=BB107_145 Depth=1
	s_clause 0x1
	scratch_load_b32 v144, off, off offset:172
	scratch_load_b32 v156, off, off offset:164
	s_waitcnt vmcnt(1)
	v_add_co_u32 v158, vcc_lo, v144, v127
	scratch_load_b32 v144, off, off offset:176 ; 4-byte Folded Reload
	s_waitcnt vmcnt(0)
	v_add_co_ci_u32_e32 v159, vcc_lo, v144, v128, vcc_lo
	v_add_co_u32 v160, vcc_lo, v156, v127
	scratch_load_b32 v156, off, off offset:168 ; 4-byte Folded Reload
	s_waitcnt vmcnt(0)
	v_add_co_ci_u32_e32 v161, vcc_lo, v156, v128, vcc_lo
	global_load_u16 v156, v[158:159], off
	global_load_u16 v159, v[160:161], off
	s_waitcnt vmcnt(1)
	v_lshlrev_b32_e32 v158, 16, v156
	s_waitcnt vmcnt(0)
	v_lshlrev_b32_e32 v156, 16, v159
.LBB107_192:                            ;   in Loop: Header=BB107_145 Depth=1
	s_or_b32 exec_lo, exec_lo, s7
	v_add_co_u32 v159, vcc_lo, v129, 22
	v_add_co_ci_u32_e32 v160, vcc_lo, 0, v130, vcc_lo
	s_delay_alu instid0(VALU_DEP_1)
	v_cmp_gt_i64_e32 vcc_lo, s[16:17], v[159:160]
	v_mov_b32_e32 v159, 0
	s_and_saveexec_b32 s7, vcc_lo
	s_cbranch_execz .LBB107_194
; %bb.193:                              ;   in Loop: Header=BB107_145 Depth=1
	scratch_load_b32 v157, off, off offset:156 ; 4-byte Folded Reload
	s_waitcnt vmcnt(0)
	v_add_co_u32 v159, vcc_lo, v157, v127
	scratch_load_b32 v157, off, off offset:160 ; 4-byte Folded Reload
	s_waitcnt vmcnt(0)
	v_add_co_ci_u32_e32 v160, vcc_lo, v157, v128, vcc_lo
	scratch_load_b32 v157, off, off offset:148 ; 4-byte Folded Reload
	s_waitcnt vmcnt(0)
	v_add_co_u32 v161, vcc_lo, v157, v127
	scratch_load_b32 v157, off, off offset:152 ; 4-byte Folded Reload
	s_waitcnt vmcnt(0)
	v_add_co_ci_u32_e32 v162, vcc_lo, v157, v128, vcc_lo
	global_load_u16 v157, v[159:160], off
	global_load_u16 v159, v[161:162], off
	s_waitcnt vmcnt(1)
	v_lshlrev_b32_e32 v157, 16, v157
	s_waitcnt vmcnt(0)
	v_lshlrev_b32_e32 v159, 16, v159
.LBB107_194:                            ;   in Loop: Header=BB107_145 Depth=1
	s_or_b32 exec_lo, exec_lo, s7
	v_add_co_u32 v162, vcc_lo, v129, 23
	v_add_co_ci_u32_e32 v163, vcc_lo, 0, v130, vcc_lo
	v_dual_mov_b32 v161, 0 :: v_dual_mov_b32 v160, 0
	s_delay_alu instid0(VALU_DEP_2)
	v_cmp_gt_i64_e32 vcc_lo, s[16:17], v[162:163]
	v_mov_b32_e32 v163, 0
	s_and_saveexec_b32 s7, vcc_lo
	s_cbranch_execz .LBB107_196
; %bb.195:                              ;   in Loop: Header=BB107_145 Depth=1
	scratch_load_b32 v160, off, off offset:140 ; 4-byte Folded Reload
	s_waitcnt vmcnt(0)
	v_add_co_u32 v162, vcc_lo, v160, v127
	scratch_load_b32 v160, off, off offset:144 ; 4-byte Folded Reload
	s_waitcnt vmcnt(0)
	v_add_co_ci_u32_e32 v163, vcc_lo, v160, v128, vcc_lo
	scratch_load_b32 v160, off, off offset:132 ; 4-byte Folded Reload
	s_waitcnt vmcnt(0)
	v_add_co_u32 v164, vcc_lo, v160, v127
	scratch_load_b32 v160, off, off offset:136 ; 4-byte Folded Reload
	s_waitcnt vmcnt(0)
	v_add_co_ci_u32_e32 v165, vcc_lo, v160, v128, vcc_lo
	global_load_u16 v160, v[162:163], off
	global_load_u16 v162, v[164:165], off
	s_waitcnt vmcnt(1)
	v_lshlrev_b32_e32 v163, 16, v160
	s_waitcnt vmcnt(0)
	v_lshlrev_b32_e32 v160, 16, v162
.LBB107_196:                            ;   in Loop: Header=BB107_145 Depth=1
	s_or_b32 exec_lo, exec_lo, s7
	v_add_co_u32 v164, vcc_lo, v129, 24
	v_add_co_ci_u32_e32 v165, vcc_lo, 0, v130, vcc_lo
	v_mov_b32_e32 v162, 0
	s_mov_b32 s7, exec_lo
	s_delay_alu instid0(VALU_DEP_2)
	v_cmpx_gt_i64_e64 s[16:17], v[164:165]
	s_cbranch_execz .LBB107_198
; %bb.197:                              ;   in Loop: Header=BB107_145 Depth=1
	s_clause 0x3
	scratch_load_b32 v161, off, off offset:124
	scratch_load_b32 v162, off, off offset:128
	;; [unrolled: 1-line block ×4, first 2 shown]
	s_waitcnt vmcnt(3)
	v_add_co_u32 v161, vcc_lo, v161, v127
	s_waitcnt vmcnt(2)
	v_add_co_ci_u32_e32 v162, vcc_lo, v162, v128, vcc_lo
	s_waitcnt vmcnt(1)
	v_add_co_u32 v164, vcc_lo, v164, v127
	s_waitcnt vmcnt(0)
	v_add_co_ci_u32_e32 v165, vcc_lo, v165, v128, vcc_lo
	global_load_u16 v161, v[161:162], off
	global_load_u16 v162, v[164:165], off
	s_waitcnt vmcnt(1)
	v_lshlrev_b32_e32 v161, 16, v161
	s_waitcnt vmcnt(0)
	v_lshlrev_b32_e32 v162, 16, v162
.LBB107_198:                            ;   in Loop: Header=BB107_145 Depth=1
	s_or_b32 exec_lo, exec_lo, s7
	v_add_co_u32 v166, vcc_lo, v129, 25
	v_add_co_ci_u32_e32 v167, vcc_lo, 0, v130, vcc_lo
	v_dual_mov_b32 v165, 0 :: v_dual_mov_b32 v164, 0
	s_delay_alu instid0(VALU_DEP_2)
	v_cmp_gt_i64_e32 vcc_lo, s[16:17], v[166:167]
	v_mov_b32_e32 v167, 0
	s_and_saveexec_b32 s7, vcc_lo
	s_cbranch_execz .LBB107_200
; %bb.199:                              ;   in Loop: Header=BB107_145 Depth=1
	scratch_load_b32 v164, off, off offset:108 ; 4-byte Folded Reload
	s_waitcnt vmcnt(0)
	v_add_co_u32 v166, vcc_lo, v164, v127
	scratch_load_b32 v164, off, off offset:112 ; 4-byte Folded Reload
	s_waitcnt vmcnt(0)
	v_add_co_ci_u32_e32 v167, vcc_lo, v164, v128, vcc_lo
	scratch_load_b32 v164, off, off offset:100 ; 4-byte Folded Reload
	s_waitcnt vmcnt(0)
	v_add_co_u32 v168, vcc_lo, v164, v127
	scratch_load_b32 v164, off, off offset:104 ; 4-byte Folded Reload
	s_waitcnt vmcnt(0)
	v_add_co_ci_u32_e32 v169, vcc_lo, v164, v128, vcc_lo
	global_load_u16 v164, v[166:167], off
	global_load_u16 v166, v[168:169], off
	s_waitcnt vmcnt(1)
	v_lshlrev_b32_e32 v167, 16, v164
	s_waitcnt vmcnt(0)
	v_lshlrev_b32_e32 v164, 16, v166
.LBB107_200:                            ;   in Loop: Header=BB107_145 Depth=1
	s_or_b32 exec_lo, exec_lo, s7
	v_add_co_u32 v168, vcc_lo, v129, 26
	v_add_co_ci_u32_e32 v169, vcc_lo, 0, v130, vcc_lo
	v_mov_b32_e32 v166, 0
	s_mov_b32 s7, exec_lo
	s_delay_alu instid0(VALU_DEP_2)
	v_cmpx_gt_i64_e64 s[16:17], v[168:169]
	s_cbranch_execz .LBB107_202
; %bb.201:                              ;   in Loop: Header=BB107_145 Depth=1
	s_clause 0x3
	scratch_load_b32 v165, off, off offset:92
	scratch_load_b32 v166, off, off offset:96
	;; [unrolled: 1-line block ×4, first 2 shown]
	s_waitcnt vmcnt(3)
	v_add_co_u32 v165, vcc_lo, v165, v127
	s_waitcnt vmcnt(2)
	v_add_co_ci_u32_e32 v166, vcc_lo, v166, v128, vcc_lo
	s_waitcnt vmcnt(1)
	v_add_co_u32 v168, vcc_lo, v168, v127
	s_waitcnt vmcnt(0)
	v_add_co_ci_u32_e32 v169, vcc_lo, v169, v128, vcc_lo
	global_load_u16 v165, v[165:166], off
	global_load_u16 v166, v[168:169], off
	s_waitcnt vmcnt(1)
	v_lshlrev_b32_e32 v165, 16, v165
	s_waitcnt vmcnt(0)
	v_lshlrev_b32_e32 v166, 16, v166
.LBB107_202:                            ;   in Loop: Header=BB107_145 Depth=1
	s_or_b32 exec_lo, exec_lo, s7
	v_add_co_u32 v170, vcc_lo, v129, 27
	v_add_co_ci_u32_e32 v171, vcc_lo, 0, v130, vcc_lo
	v_dual_mov_b32 v169, 0 :: v_dual_mov_b32 v168, 0
	s_delay_alu instid0(VALU_DEP_2)
	v_cmp_gt_i64_e32 vcc_lo, s[16:17], v[170:171]
	v_mov_b32_e32 v170, 0
	s_and_saveexec_b32 s7, vcc_lo
	s_cbranch_execz .LBB107_204
; %bb.203:                              ;   in Loop: Header=BB107_145 Depth=1
	scratch_load_b32 v168, off, off offset:76 ; 4-byte Folded Reload
	s_waitcnt vmcnt(0)
	v_add_co_u32 v170, vcc_lo, v168, v127
	scratch_load_b32 v168, off, off offset:80 ; 4-byte Folded Reload
	s_waitcnt vmcnt(0)
	v_add_co_ci_u32_e32 v171, vcc_lo, v168, v128, vcc_lo
	scratch_load_b32 v168, off, off offset:68 ; 4-byte Folded Reload
	s_waitcnt vmcnt(0)
	v_add_co_u32 v172, vcc_lo, v168, v127
	scratch_load_b32 v168, off, off offset:72 ; 4-byte Folded Reload
	s_waitcnt vmcnt(0)
	v_add_co_ci_u32_e32 v173, vcc_lo, v168, v128, vcc_lo
	global_load_u16 v168, v[170:171], off
	global_load_u16 v171, v[172:173], off
	s_waitcnt vmcnt(1)
	v_lshlrev_b32_e32 v170, 16, v168
	s_waitcnt vmcnt(0)
	v_lshlrev_b32_e32 v168, 16, v171
.LBB107_204:                            ;   in Loop: Header=BB107_145 Depth=1
	s_or_b32 exec_lo, exec_lo, s7
	v_add_co_u32 v171, vcc_lo, v129, 28
	v_add_co_ci_u32_e32 v172, vcc_lo, 0, v130, vcc_lo
	s_delay_alu instid0(VALU_DEP_1)
	v_cmp_gt_i64_e32 vcc_lo, s[16:17], v[171:172]
	v_mov_b32_e32 v171, 0
	s_and_saveexec_b32 s7, vcc_lo
	s_cbranch_execz .LBB107_206
; %bb.205:                              ;   in Loop: Header=BB107_145 Depth=1
	scratch_load_b32 v169, off, off offset:60 ; 4-byte Folded Reload
	s_waitcnt vmcnt(0)
	v_add_co_u32 v171, vcc_lo, v169, v127
	scratch_load_b32 v169, off, off offset:64 ; 4-byte Folded Reload
	s_waitcnt vmcnt(0)
	v_add_co_ci_u32_e32 v172, vcc_lo, v169, v128, vcc_lo
	scratch_load_b32 v169, off, off offset:52 ; 4-byte Folded Reload
	s_waitcnt vmcnt(0)
	v_add_co_u32 v173, vcc_lo, v169, v127
	scratch_load_b32 v169, off, off offset:56 ; 4-byte Folded Reload
	s_waitcnt vmcnt(0)
	v_add_co_ci_u32_e32 v174, vcc_lo, v169, v128, vcc_lo
	global_load_u16 v169, v[171:172], off
	global_load_u16 v171, v[173:174], off
	s_waitcnt vmcnt(1)
	v_lshlrev_b32_e32 v169, 16, v169
	s_waitcnt vmcnt(0)
	v_lshlrev_b32_e32 v171, 16, v171
.LBB107_206:                            ;   in Loop: Header=BB107_145 Depth=1
	s_or_b32 exec_lo, exec_lo, s7
	v_add_co_u32 v174, vcc_lo, v129, 29
	v_add_co_ci_u32_e32 v175, vcc_lo, 0, v130, vcc_lo
	v_dual_mov_b32 v173, 0 :: v_dual_mov_b32 v172, 0
	s_delay_alu instid0(VALU_DEP_2)
	v_cmp_gt_i64_e32 vcc_lo, s[16:17], v[174:175]
	v_mov_b32_e32 v174, 0
	s_and_saveexec_b32 s7, vcc_lo
	s_cbranch_execz .LBB107_208
; %bb.207:                              ;   in Loop: Header=BB107_145 Depth=1
	scratch_load_b32 v172, off, off offset:44 ; 4-byte Folded Reload
	s_waitcnt vmcnt(0)
	v_add_co_u32 v174, vcc_lo, v172, v127
	scratch_load_b32 v172, off, off offset:48 ; 4-byte Folded Reload
	s_waitcnt vmcnt(0)
	v_add_co_ci_u32_e32 v175, vcc_lo, v172, v128, vcc_lo
	scratch_load_b32 v172, off, off offset:36 ; 4-byte Folded Reload
	s_waitcnt vmcnt(0)
	v_add_co_u32 v176, vcc_lo, v172, v127
	scratch_load_b32 v172, off, off offset:40 ; 4-byte Folded Reload
	s_waitcnt vmcnt(0)
	v_add_co_ci_u32_e32 v177, vcc_lo, v172, v128, vcc_lo
	global_load_u16 v172, v[174:175], off
	global_load_u16 v175, v[176:177], off
	s_waitcnt vmcnt(1)
	v_lshlrev_b32_e32 v174, 16, v172
	s_waitcnt vmcnt(0)
	v_lshlrev_b32_e32 v172, 16, v175
.LBB107_208:                            ;   in Loop: Header=BB107_145 Depth=1
	s_or_b32 exec_lo, exec_lo, s7
	v_add_co_u32 v175, vcc_lo, v129, 30
	v_add_co_ci_u32_e32 v176, vcc_lo, 0, v130, vcc_lo
	v_mov_b32_e32 v144, v178
	s_delay_alu instid0(VALU_DEP_2)
	v_cmp_gt_i64_e32 vcc_lo, s[16:17], v[175:176]
	v_mov_b32_e32 v175, 0
	s_and_saveexec_b32 s7, vcc_lo
	s_cbranch_execz .LBB107_210
; %bb.209:                              ;   in Loop: Header=BB107_145 Depth=1
	scratch_load_b32 v173, off, off offset:28 ; 4-byte Folded Reload
	s_waitcnt vmcnt(0)
	v_add_co_u32 v175, vcc_lo, v173, v127
	scratch_load_b32 v173, off, off offset:32 ; 4-byte Folded Reload
	s_waitcnt vmcnt(0)
	v_add_co_ci_u32_e32 v176, vcc_lo, v173, v128, vcc_lo
	scratch_load_b32 v173, off, off offset:20 ; 4-byte Folded Reload
	s_waitcnt vmcnt(0)
	v_add_co_u32 v177, vcc_lo, v173, v127
	scratch_load_b32 v173, off, off offset:24 ; 4-byte Folded Reload
	s_waitcnt vmcnt(0)
	v_add_co_ci_u32_e32 v178, vcc_lo, v173, v128, vcc_lo
	global_load_u16 v173, v[175:176], off
	global_load_u16 v175, v[177:178], off
	s_waitcnt vmcnt(1)
	v_lshlrev_b32_e32 v173, 16, v173
	s_waitcnt vmcnt(0)
	v_lshlrev_b32_e32 v175, 16, v175
.LBB107_210:                            ;   in Loop: Header=BB107_145 Depth=1
	s_or_b32 exec_lo, exec_lo, s7
	v_add_co_u32 v176, vcc_lo, v129, 31
	v_add_co_ci_u32_e32 v177, vcc_lo, 0, v130, vcc_lo
	v_mov_b32_e32 v183, v181
	v_mov_b32_e32 v181, v179
	s_mov_b32 s7, 0
	s_delay_alu instid0(VALU_DEP_3)
	v_cmp_gt_i64_e32 vcc_lo, s[16:17], v[176:177]
	v_dual_mov_b32 v176, 0 :: v_dual_mov_b32 v177, 0
	s_and_saveexec_b32 s15, vcc_lo
	s_cbranch_execz .LBB107_212
; %bb.211:                              ;   in Loop: Header=BB107_145 Depth=1
	s_clause 0x3
	scratch_load_b32 v176, off, off offset:12
	scratch_load_b32 v177, off, off offset:16
	;; [unrolled: 1-line block ×4, first 2 shown]
	s_waitcnt vmcnt(3)
	v_add_co_u32 v176, vcc_lo, v176, v127
	s_waitcnt vmcnt(2)
	v_add_co_ci_u32_e32 v177, vcc_lo, v177, v128, vcc_lo
	s_waitcnt vmcnt(1)
	v_add_co_u32 v178, vcc_lo, v178, v127
	s_waitcnt vmcnt(0)
	v_add_co_ci_u32_e32 v179, vcc_lo, v179, v128, vcc_lo
	global_load_u16 v176, v[176:177], off
	global_load_u16 v178, v[178:179], off
	s_waitcnt vmcnt(1)
	v_lshlrev_b32_e32 v177, 16, v176
	s_waitcnt vmcnt(0)
	v_lshlrev_b32_e32 v176, 16, v178
.LBB107_212:                            ;   in Loop: Header=BB107_145 Depth=1
	s_or_b32 exec_lo, exec_lo, s15
	scratch_load_b32 v179, off, off offset:212 ; 4-byte Folded Reload
	s_waitcnt vmcnt(2)
	ds_bpermute_b32 v178, v126, v146
	v_mov_b32_e32 v184, v144
	s_waitcnt vmcnt(0) lgkmcnt(0)
	v_sub_f32_e32 v178, v179, v178
	ds_bpermute_b32 v179, v126, v146 offset:4
	s_waitcnt lgkmcnt(0)
	v_sub_f32_e32 v179, v188, v179
	v_mul_f32_e32 v144, v184, v178
	ds_bpermute_b32 v178, v126, v125
	scratch_load_b32 v188, off, off offset:220 ; 4-byte Folded Reload
	s_waitcnt lgkmcnt(0)
	v_fma_f32 v144, v144, v178, v145
	v_mul_f32_e32 v178, v181, v179
	ds_bpermute_b32 v179, v126, v125 offset:4
	s_waitcnt lgkmcnt(0)
	v_fmac_f32_e32 v144, v178, v179
	ds_bpermute_b32 v178, v126, v146 offset:8
	ds_bpermute_b32 v179, v126, v125 offset:8
	s_waitcnt lgkmcnt(1)
	v_sub_f32_e32 v178, v187, v178
	scratch_load_b32 v187, off, off offset:216 ; 4-byte Folded Reload
	v_mul_f32_e32 v178, v180, v178
	s_waitcnt lgkmcnt(0)
	s_delay_alu instid0(VALU_DEP_1)
	v_fmac_f32_e32 v144, v178, v179
	scratch_load_b32 v179, off, off offset:228 ; 4-byte Folded Reload
	ds_bpermute_b32 v178, v126, v146 offset:12
	s_waitcnt vmcnt(0) lgkmcnt(0)
	v_sub_f32_e32 v178, v179, v178
	ds_bpermute_b32 v179, v126, v125 offset:12
	v_mul_f32_e32 v178, v183, v178
	s_waitcnt lgkmcnt(0)
	s_delay_alu instid0(VALU_DEP_1)
	v_fmac_f32_e32 v144, v178, v179
	ds_bpermute_b32 v178, v126, v146 offset:16
	ds_bpermute_b32 v179, v126, v125 offset:16
	s_waitcnt lgkmcnt(1)
	v_sub_f32_e32 v178, v189, v178
	scratch_load_b32 v189, off, off offset:224 ; 4-byte Folded Reload
	v_mul_f32_e32 v178, v182, v178
	s_waitcnt lgkmcnt(0)
	s_delay_alu instid0(VALU_DEP_1)
	v_fmac_f32_e32 v144, v178, v179
	scratch_load_b32 v179, off, off offset:236 ; 4-byte Folded Reload
	ds_bpermute_b32 v178, v126, v146 offset:20
	s_waitcnt vmcnt(0) lgkmcnt(0)
	v_sub_f32_e32 v178, v179, v178
	ds_bpermute_b32 v179, v126, v125 offset:20
	v_mul_f32_e32 v178, v185, v178
	s_waitcnt lgkmcnt(0)
	s_delay_alu instid0(VALU_DEP_1)
	v_fmac_f32_e32 v144, v178, v179
	scratch_load_b32 v179, off, off offset:232 ; 4-byte Folded Reload
	ds_bpermute_b32 v178, v126, v146 offset:24
	s_waitcnt vmcnt(0) lgkmcnt(0)
	v_sub_f32_e32 v178, v179, v178
	ds_bpermute_b32 v179, v126, v125 offset:24
	;; [unrolled: 9-line block ×13, first 2 shown]
	v_mul_f32_e32 v178, v152, v178
	s_waitcnt lgkmcnt(0)
	s_delay_alu instid0(VALU_DEP_1)
	v_fmac_f32_e32 v144, v178, v179
	s_clause 0x1
	scratch_load_b32 v178, off, off offset:208
	scratch_load_b32 v179, off, off offset:272
	s_waitcnt vmcnt(1)
	v_add_f32_e32 v178, v178, v184
	s_delay_alu instid0(VALU_DEP_1) | instskip(SKIP_4) | instid1(VALU_DEP_1)
	v_add_f32_e32 v178, v178, v181
	scratch_load_b32 v181, off, off offset:284 ; 4-byte Folded Reload
	v_add_f32_e32 v178, v178, v180
	scratch_load_b32 v180, off, off offset:288 ; 4-byte Folded Reload
	v_add_f32_e32 v178, v178, v183
	v_add_f32_e32 v178, v178, v182
	s_delay_alu instid0(VALU_DEP_1) | instskip(NEXT) | instid1(VALU_DEP_1)
	v_add_f32_e32 v178, v178, v185
	v_add_f32_e32 v178, v178, v186
	s_delay_alu instid0(VALU_DEP_1) | instskip(NEXT) | instid1(VALU_DEP_1)
	;; [unrolled: 3-line block ×3, first 2 shown]
	v_add_f32_e32 v178, v178, v189
	v_add_f32_e32 v131, v178, v131
	ds_bpermute_b32 v178, v126, v146 offset:72
	v_add_f32_e32 v131, v131, v132
	ds_bpermute_b32 v132, v126, v146 offset:76
	;; [unrolled: 2-line block ×5, first 2 shown]
	s_waitcnt vmcnt(2) lgkmcnt(4)
	v_sub_f32_e32 v178, v179, v178
	ds_bpermute_b32 v179, v126, v146 offset:84
	v_add_f32_e32 v131, v131, v150
	ds_bpermute_b32 v150, v126, v125 offset:80
	v_dual_mul_f32 v178, v153, v178 :: v_dual_add_f32 v131, v131, v151
	ds_bpermute_b32 v151, v126, v125 offset:84
	v_add_f32_e32 v131, v131, v152
	s_waitcnt lgkmcnt(4)
	v_fmac_f32_e32 v144, v178, v148
	ds_bpermute_b32 v148, v126, v146 offset:92
	v_add_f32_e32 v131, v131, v153
	ds_bpermute_b32 v153, v126, v146 offset:100
	s_waitcnt lgkmcnt(4)
	v_dual_sub_f32 v152, v158, v179 :: v_dual_add_f32 v131, v131, v154
	s_delay_alu instid0(VALU_DEP_1) | instskip(NEXT) | instid1(VALU_DEP_1)
	v_add_f32_e32 v131, v131, v155
	v_add_f32_e32 v131, v131, v156
	s_waitcnt lgkmcnt(1)
	v_sub_f32_e32 v148, v163, v148
	s_delay_alu instid0(VALU_DEP_1) | instskip(NEXT) | instid1(VALU_DEP_1)
	v_dual_add_f32 v131, v131, v159 :: v_dual_mul_f32 v148, v160, v148
	v_add_f32_e32 v131, v131, v160
	s_delay_alu instid0(VALU_DEP_1) | instskip(NEXT) | instid1(VALU_DEP_1)
	v_add_f32_e32 v131, v131, v162
	v_add_f32_e32 v131, v131, v164
	s_delay_alu instid0(VALU_DEP_1) | instskip(NEXT) | instid1(VALU_DEP_1)
	v_add_f32_e32 v131, v131, v166
	;; [unrolled: 3-line block ×3, first 2 shown]
	v_add_f32_e32 v131, v131, v172
	s_delay_alu instid0(VALU_DEP_1)
	v_add_f32_e32 v131, v131, v175
	s_waitcnt vmcnt(0)
	v_dual_sub_f32 v147, v181, v147 :: v_dual_sub_f32 v132, v180, v132
	ds_bpermute_b32 v180, v126, v146 offset:88
	v_dual_mul_f32 v147, v155, v147 :: v_dual_mul_f32 v132, v154, v132
	ds_bpermute_b32 v154, v126, v125 offset:116
	v_fmac_f32_e32 v144, v132, v149
	ds_bpermute_b32 v132, v126, v125 offset:88
	ds_bpermute_b32 v149, v126, v146 offset:96
	v_fmac_f32_e32 v144, v147, v150
	ds_bpermute_b32 v147, v126, v125 offset:92
	v_mul_f32_e32 v150, v156, v152
	s_waitcnt lgkmcnt(4)
	v_sub_f32_e32 v152, v157, v180
	s_delay_alu instid0(VALU_DEP_2)
	v_fmac_f32_e32 v144, v150, v151
	ds_bpermute_b32 v150, v126, v125 offset:96
	v_mul_f32_e32 v151, v159, v152
	ds_bpermute_b32 v152, v126, v146 offset:104
	s_waitcnt lgkmcnt(4)
	v_fmac_f32_e32 v144, v151, v132
	ds_bpermute_b32 v132, v126, v125 offset:100
	s_waitcnt lgkmcnt(4)
	v_sub_f32_e32 v149, v161, v149
	ds_bpermute_b32 v151, v126, v146 offset:108
	s_waitcnt lgkmcnt(4)
	v_fmac_f32_e32 v144, v148, v147
	ds_bpermute_b32 v148, v126, v125 offset:104
	v_mul_f32_e32 v147, v162, v149
	v_sub_f32_e32 v149, v167, v153
	ds_bpermute_b32 v153, v126, v146 offset:112
	s_waitcnt lgkmcnt(5)
	v_dual_fmac_f32 v144, v147, v150 :: v_dual_mul_f32 v147, v164, v149
	ds_bpermute_b32 v149, v126, v125 offset:108
	s_waitcnt lgkmcnt(5)
	v_sub_f32_e32 v150, v165, v152
	ds_bpermute_b32 v152, v126, v146 offset:116
	s_waitcnt lgkmcnt(5)
	v_dual_fmac_f32 v144, v147, v132 :: v_dual_mul_f32 v147, v166, v150
	ds_bpermute_b32 v132, v126, v125 offset:112
	ds_bpermute_b32 v150, v126, v146 offset:120
	s_waitcnt lgkmcnt(6)
	v_sub_f32_e32 v151, v170, v151
	ds_bpermute_b32 v146, v126, v146 offset:124
	s_waitcnt lgkmcnt(6)
	v_fmac_f32_e32 v144, v147, v148
	s_waitcnt lgkmcnt(5)
	v_dual_sub_f32 v148, v169, v153 :: v_dual_mul_f32 v147, v168, v151
	ds_bpermute_b32 v151, v126, v125 offset:120
	ds_bpermute_b32 v125, v126, v125 offset:124
	s_waitcnt lgkmcnt(6)
	v_fmac_f32_e32 v144, v147, v149
	v_mul_f32_e32 v147, v171, v148
	s_waitcnt lgkmcnt(5)
	v_sub_f32_e32 v148, v174, v152
	s_waitcnt lgkmcnt(4)
	s_delay_alu instid0(VALU_DEP_2) | instskip(SKIP_1) | instid1(VALU_DEP_2)
	v_fmac_f32_e32 v144, v147, v132
	s_waitcnt lgkmcnt(3)
	v_dual_mul_f32 v132, v172, v148 :: v_dual_sub_f32 v147, v173, v150
	s_waitcnt lgkmcnt(2)
	v_sub_f32_e32 v146, v177, v146
	s_delay_alu instid0(VALU_DEP_2) | instskip(NEXT) | instid1(VALU_DEP_3)
	v_fmac_f32_e32 v144, v132, v154
	v_mul_f32_e32 v132, v175, v147
	s_waitcnt lgkmcnt(1)
	s_delay_alu instid0(VALU_DEP_1) | instskip(SKIP_2) | instid1(VALU_DEP_1)
	v_fmac_f32_e32 v144, v132, v151
	v_mul_f32_e32 v132, v176, v146
	s_waitcnt lgkmcnt(0)
	v_dual_fmac_f32 v144, v132, v125 :: v_dual_add_f32 v125, v131, v176
	s_and_b32 vcc_lo, exec_lo, s7
	s_cbranch_vccnz .LBB107_214
	s_branch .LBB107_217
.LBB107_213:                            ;   in Loop: Header=BB107_145 Depth=1
                                        ; implicit-def: $vgpr125
                                        ; implicit-def: $vgpr144
	s_cbranch_execz .LBB107_217
.LBB107_214:                            ;   in Loop: Header=BB107_145 Depth=1
	s_load_b32 s7, s[4:5], 0x0
	s_waitcnt lgkmcnt(0)
	s_cmp_lt_u32 s14, s7
	s_cselect_b32 s7, 12, 18
	s_delay_alu instid0(SALU_CYCLE_1)
	s_add_u32 s24, s4, s7
	s_addc_u32 s25, s5, 0
	s_mov_b32 s7, exec_lo
	global_load_u16 v125, v126, s[24:25]
	s_clause 0x1
	scratch_load_b32 v131, off, off offset:296
	scratch_load_b32 v132, off, off offset:300
	s_waitcnt vmcnt(0)
	v_mad_u32_u24 v125, v131, v125, v132
	v_mov_b32_e32 v131, 0
	s_delay_alu instid0(VALU_DEP_2) | instskip(NEXT) | instid1(VALU_DEP_1)
	v_and_b32_e32 v125, 31, v125
	v_add_co_u32 v129, vcc_lo, v129, v125
	v_add_co_ci_u32_e32 v130, vcc_lo, 0, v130, vcc_lo
	v_mov_b32_e32 v125, 0
	s_delay_alu instid0(VALU_DEP_2)
	v_cmpx_gt_i64_e64 s[16:17], v[129:130]
	s_cbranch_execz .LBB107_216
; %bb.215:                              ;   in Loop: Header=BB107_145 Depth=1
	v_lshlrev_b64 v[129:130], 2, v[129:130]
	s_delay_alu instid0(VALU_DEP_1) | instskip(NEXT) | instid1(VALU_DEP_2)
	v_add_co_u32 v131, vcc_lo, s8, v129
	v_add_co_ci_u32_e32 v132, vcc_lo, s9, v130, vcc_lo
	v_add_co_u32 v129, vcc_lo, s10, v129
	v_add_co_ci_u32_e32 v130, vcc_lo, s11, v130, vcc_lo
	global_load_b32 v131, v[131:132], off
	global_load_b32 v125, v[129:130], off
.LBB107_216:                            ;   in Loop: Header=BB107_145 Depth=1
	s_or_b32 exec_lo, exec_lo, s7
	v_add_co_u32 v129, vcc_lo, v137, v127
	v_add_co_ci_u32_e32 v130, vcc_lo, v138, v128, vcc_lo
	s_waitcnt vmcnt(1)
	ds_bpermute_b32 v144, v126, v131 offset:4
	global_load_u16 v132, v[129:130], off
	v_add_co_u32 v129, vcc_lo, v135, v127
	v_add_co_ci_u32_e32 v130, vcc_lo, v136, v128, vcc_lo
	v_add_co_u32 v146, vcc_lo, v9, v127
	v_add_co_ci_u32_e32 v147, vcc_lo, v10, v128, vcc_lo
	global_load_u16 v129, v[129:130], off
	s_waitcnt vmcnt(1)
	v_lshlrev_b32_e32 v130, 16, v132
	ds_bpermute_b32 v132, v126, v131
	s_waitcnt vmcnt(0) lgkmcnt(0)
	v_dual_sub_f32 v130, v130, v132 :: v_dual_lshlrev_b32 v129, 16, v129
	ds_bpermute_b32 v132, v126, v125
	v_mul_f32_e32 v130, v130, v129
	s_waitcnt lgkmcnt(0)
	s_delay_alu instid0(VALU_DEP_1)
	v_fmac_f32_e32 v145, v130, v132
	global_load_u16 v130, v[146:147], off
	v_add_co_u32 v146, vcc_lo, v1, v127
	v_add_co_ci_u32_e32 v147, vcc_lo, v2, v128, vcc_lo
	global_load_u16 v132, v[146:147], off
	v_add_co_u32 v146, vcc_lo, v13, v127
	v_add_co_ci_u32_e32 v147, vcc_lo, v14, v128, vcc_lo
	s_waitcnt vmcnt(1)
	v_lshlrev_b32_e32 v130, 16, v130
	s_delay_alu instid0(VALU_DEP_1) | instskip(SKIP_2) | instid1(VALU_DEP_1)
	v_sub_f32_e32 v144, v130, v144
	s_waitcnt vmcnt(0)
	v_lshlrev_b32_e32 v130, 16, v132
	v_mul_f32_e32 v132, v144, v130
	ds_bpermute_b32 v144, v126, v125 offset:4
	s_waitcnt lgkmcnt(0)
	v_fmac_f32_e32 v145, v132, v144
	global_load_u16 v132, v[146:147], off
	v_add_co_u32 v146, vcc_lo, v3, v127
	v_add_co_ci_u32_e32 v147, vcc_lo, v4, v128, vcc_lo
	global_load_u16 v144, v[146:147], off
	ds_bpermute_b32 v146, v126, v131 offset:8
	s_waitcnt vmcnt(1)
	v_lshlrev_b32_e32 v132, 16, v132
	s_waitcnt lgkmcnt(0)
	s_delay_alu instid0(VALU_DEP_1) | instskip(SKIP_2) | instid1(VALU_DEP_1)
	v_sub_f32_e32 v146, v132, v146
	s_waitcnt vmcnt(0)
	v_lshlrev_b32_e32 v132, 16, v144
	v_mul_f32_e32 v144, v146, v132
	ds_bpermute_b32 v146, v126, v125 offset:8
	s_waitcnt lgkmcnt(0)
	v_fmac_f32_e32 v145, v144, v146
	v_add_co_u32 v146, vcc_lo, v15, v127
	v_add_co_ci_u32_e32 v147, vcc_lo, v16, v128, vcc_lo
	global_load_u16 v144, v[146:147], off
	v_add_co_u32 v146, vcc_lo, v5, v127
	v_add_co_ci_u32_e32 v147, vcc_lo, v6, v128, vcc_lo
	global_load_u16 v146, v[146:147], off
	ds_bpermute_b32 v147, v126, v131 offset:12
	s_waitcnt vmcnt(1)
	v_lshlrev_b32_e32 v144, 16, v144
	s_waitcnt vmcnt(0) lgkmcnt(0)
	s_delay_alu instid0(VALU_DEP_1) | instskip(NEXT) | instid1(VALU_DEP_1)
	v_dual_sub_f32 v147, v144, v147 :: v_dual_lshlrev_b32 v144, 16, v146
	v_mul_f32_e32 v146, v147, v144
	ds_bpermute_b32 v147, v126, v125 offset:12
	s_waitcnt lgkmcnt(0)
	v_fmac_f32_e32 v145, v146, v147
	v_add_co_u32 v146, vcc_lo, v17, v127
	v_add_co_ci_u32_e32 v147, vcc_lo, v18, v128, vcc_lo
	global_load_u16 v148, v[146:147], off
	v_add_co_u32 v146, vcc_lo, v7, v127
	v_add_co_ci_u32_e32 v147, vcc_lo, v8, v128, vcc_lo
	global_load_u16 v146, v[146:147], off
	s_waitcnt vmcnt(1)
	v_lshlrev_b32_e32 v147, 16, v148
	ds_bpermute_b32 v148, v126, v131 offset:16
	s_waitcnt lgkmcnt(0)
	v_sub_f32_e32 v147, v147, v148
	ds_bpermute_b32 v148, v126, v125 offset:16
	s_waitcnt vmcnt(0)
	v_lshlrev_b32_e32 v146, 16, v146
	s_delay_alu instid0(VALU_DEP_1) | instskip(SKIP_1) | instid1(VALU_DEP_1)
	v_mul_f32_e32 v147, v147, v146
	s_waitcnt lgkmcnt(0)
	v_fmac_f32_e32 v145, v147, v148
	v_add_co_u32 v147, vcc_lo, v21, v127
	v_add_co_ci_u32_e32 v148, vcc_lo, v22, v128, vcc_lo
	global_load_u16 v149, v[147:148], off
	v_add_co_u32 v147, vcc_lo, v11, v127
	v_add_co_ci_u32_e32 v148, vcc_lo, v12, v128, vcc_lo
	global_load_u16 v147, v[147:148], off
	s_waitcnt vmcnt(1)
	v_lshlrev_b32_e32 v148, 16, v149
	ds_bpermute_b32 v149, v126, v131 offset:20
	s_waitcnt vmcnt(0) lgkmcnt(0)
	v_dual_sub_f32 v148, v148, v149 :: v_dual_lshlrev_b32 v147, 16, v147
	ds_bpermute_b32 v149, v126, v125 offset:20
	v_mul_f32_e32 v148, v148, v147
	s_waitcnt lgkmcnt(0)
	s_delay_alu instid0(VALU_DEP_1)
	v_fmac_f32_e32 v145, v148, v149
	v_add_co_u32 v148, vcc_lo, v23, v127
	v_add_co_ci_u32_e32 v149, vcc_lo, v24, v128, vcc_lo
	global_load_u16 v150, v[148:149], off
	v_add_co_u32 v148, vcc_lo, v19, v127
	v_add_co_ci_u32_e32 v149, vcc_lo, v20, v128, vcc_lo
	global_load_u16 v148, v[148:149], off
	s_waitcnt vmcnt(1)
	v_lshlrev_b32_e32 v149, 16, v150
	ds_bpermute_b32 v150, v126, v131 offset:24
	s_waitcnt vmcnt(0) lgkmcnt(0)
	v_dual_sub_f32 v149, v149, v150 :: v_dual_lshlrev_b32 v148, 16, v148
	ds_bpermute_b32 v150, v126, v125 offset:24
	v_mul_f32_e32 v149, v149, v148
	s_waitcnt lgkmcnt(0)
	s_delay_alu instid0(VALU_DEP_1)
	;; [unrolled: 16-line block ×5, first 2 shown]
	v_fmac_f32_e32 v145, v152, v153
	v_add_co_u32 v152, vcc_lo, v39, v127
	v_add_co_ci_u32_e32 v153, vcc_lo, v40, v128, vcc_lo
	global_load_u16 v154, v[152:153], off
	v_add_co_u32 v152, vcc_lo, v37, v127
	v_add_co_ci_u32_e32 v153, vcc_lo, v38, v128, vcc_lo
	global_load_u16 v152, v[152:153], off
	s_waitcnt vmcnt(1)
	v_lshlrev_b32_e32 v153, 16, v154
	ds_bpermute_b32 v154, v126, v131 offset:40
	s_waitcnt vmcnt(0) lgkmcnt(0)
	v_dual_sub_f32 v153, v153, v154 :: v_dual_lshlrev_b32 v154, 16, v152
	s_delay_alu instid0(VALU_DEP_1)
	v_mul_f32_e32 v152, v153, v154
	ds_bpermute_b32 v153, v126, v125 offset:40
	s_waitcnt lgkmcnt(0)
	v_fmac_f32_e32 v145, v152, v153
	v_add_co_u32 v152, vcc_lo, v43, v127
	v_add_co_ci_u32_e32 v153, vcc_lo, v44, v128, vcc_lo
	global_load_u16 v155, v[152:153], off
	v_add_co_u32 v152, vcc_lo, v41, v127
	v_add_co_ci_u32_e32 v153, vcc_lo, v42, v128, vcc_lo
	global_load_u16 v152, v[152:153], off
	s_waitcnt vmcnt(1)
	v_lshlrev_b32_e32 v153, 16, v155
	ds_bpermute_b32 v155, v126, v131 offset:44
	s_waitcnt lgkmcnt(0)
	v_sub_f32_e32 v153, v153, v155
	s_waitcnt vmcnt(0)
	v_lshlrev_b32_e32 v155, 16, v152
	s_delay_alu instid0(VALU_DEP_1)
	v_mul_f32_e32 v152, v153, v155
	ds_bpermute_b32 v153, v126, v125 offset:44
	s_waitcnt lgkmcnt(0)
	v_fmac_f32_e32 v145, v152, v153
	v_add_co_u32 v152, vcc_lo, v47, v127
	v_add_co_ci_u32_e32 v153, vcc_lo, v48, v128, vcc_lo
	global_load_u16 v156, v[152:153], off
	v_add_co_u32 v152, vcc_lo, v45, v127
	v_add_co_ci_u32_e32 v153, vcc_lo, v46, v128, vcc_lo
	global_load_u16 v152, v[152:153], off
	s_waitcnt vmcnt(1)
	v_lshlrev_b32_e32 v153, 16, v156
	ds_bpermute_b32 v156, v126, v131 offset:48
	s_waitcnt lgkmcnt(0)
	v_sub_f32_e32 v153, v153, v156
	s_waitcnt vmcnt(0)
	v_lshlrev_b32_e32 v156, 16, v152
	;; [unrolled: 18-line block ×3, first 2 shown]
	s_delay_alu instid0(VALU_DEP_1)
	v_mul_f32_e32 v152, v153, v157
	ds_bpermute_b32 v153, v126, v125 offset:52
	s_waitcnt lgkmcnt(0)
	v_fmac_f32_e32 v145, v152, v153
	v_add_co_u32 v152, vcc_lo, v55, v127
	v_add_co_ci_u32_e32 v153, vcc_lo, v56, v128, vcc_lo
	global_load_u16 v158, v[152:153], off
	v_add_co_u32 v152, vcc_lo, v53, v127
	v_add_co_ci_u32_e32 v153, vcc_lo, v54, v128, vcc_lo
	global_load_u16 v152, v[152:153], off
	s_waitcnt vmcnt(1)
	v_lshlrev_b32_e32 v153, 16, v158
	ds_bpermute_b32 v158, v126, v131 offset:56
	s_waitcnt vmcnt(0) lgkmcnt(0)
	v_dual_sub_f32 v153, v153, v158 :: v_dual_lshlrev_b32 v158, 16, v152
	s_delay_alu instid0(VALU_DEP_1)
	v_mul_f32_e32 v152, v153, v158
	ds_bpermute_b32 v153, v126, v125 offset:56
	s_waitcnt lgkmcnt(0)
	v_fmac_f32_e32 v145, v152, v153
	v_add_co_u32 v152, vcc_lo, v59, v127
	v_add_co_ci_u32_e32 v153, vcc_lo, v60, v128, vcc_lo
	global_load_u16 v159, v[152:153], off
	v_add_co_u32 v152, vcc_lo, v57, v127
	v_add_co_ci_u32_e32 v153, vcc_lo, v58, v128, vcc_lo
	global_load_u16 v152, v[152:153], off
	s_waitcnt vmcnt(1)
	v_lshlrev_b32_e32 v153, 16, v159
	ds_bpermute_b32 v159, v126, v131 offset:60
	s_waitcnt lgkmcnt(0)
	v_sub_f32_e32 v153, v153, v159
	s_waitcnt vmcnt(0)
	v_lshlrev_b32_e32 v159, 16, v152
	s_delay_alu instid0(VALU_DEP_1)
	v_mul_f32_e32 v152, v153, v159
	ds_bpermute_b32 v153, v126, v125 offset:60
	s_waitcnt lgkmcnt(0)
	v_fmac_f32_e32 v145, v152, v153
	v_add_co_u32 v152, vcc_lo, v63, v127
	v_add_co_ci_u32_e32 v153, vcc_lo, v64, v128, vcc_lo
	global_load_u16 v160, v[152:153], off
	v_add_co_u32 v152, vcc_lo, v61, v127
	v_add_co_ci_u32_e32 v153, vcc_lo, v62, v128, vcc_lo
	global_load_u16 v152, v[152:153], off
	s_waitcnt vmcnt(1)
	v_lshlrev_b32_e32 v153, 16, v160
	ds_bpermute_b32 v160, v126, v131 offset:64
	s_waitcnt lgkmcnt(0)
	v_sub_f32_e32 v153, v153, v160
	s_waitcnt vmcnt(0)
	v_lshlrev_b32_e32 v160, 16, v152
	;; [unrolled: 18-line block ×3, first 2 shown]
	s_delay_alu instid0(VALU_DEP_1)
	v_mul_f32_e32 v152, v153, v161
	ds_bpermute_b32 v153, v126, v125 offset:68
	s_waitcnt lgkmcnt(0)
	v_fmac_f32_e32 v145, v152, v153
	v_add_co_u32 v152, vcc_lo, v71, v127
	v_add_co_ci_u32_e32 v153, vcc_lo, v72, v128, vcc_lo
	global_load_u16 v162, v[152:153], off
	v_add_co_u32 v152, vcc_lo, v69, v127
	v_add_co_ci_u32_e32 v153, vcc_lo, v70, v128, vcc_lo
	global_load_u16 v152, v[152:153], off
	s_waitcnt vmcnt(1)
	v_lshlrev_b32_e32 v153, 16, v162
	ds_bpermute_b32 v162, v126, v131 offset:72
	s_waitcnt vmcnt(0) lgkmcnt(0)
	v_dual_sub_f32 v153, v153, v162 :: v_dual_lshlrev_b32 v162, 16, v152
	s_delay_alu instid0(VALU_DEP_1)
	v_mul_f32_e32 v152, v153, v162
	ds_bpermute_b32 v153, v126, v125 offset:72
	s_waitcnt lgkmcnt(0)
	v_fmac_f32_e32 v145, v152, v153
	v_add_co_u32 v152, vcc_lo, v75, v127
	v_add_co_ci_u32_e32 v153, vcc_lo, v76, v128, vcc_lo
	global_load_u16 v163, v[152:153], off
	v_add_co_u32 v152, vcc_lo, v73, v127
	v_add_co_ci_u32_e32 v153, vcc_lo, v74, v128, vcc_lo
	global_load_u16 v152, v[152:153], off
	s_waitcnt vmcnt(1)
	v_lshlrev_b32_e32 v153, 16, v163
	ds_bpermute_b32 v163, v126, v131 offset:76
	s_waitcnt lgkmcnt(0)
	v_sub_f32_e32 v153, v153, v163
	s_waitcnt vmcnt(0)
	v_lshlrev_b32_e32 v163, 16, v152
	s_delay_alu instid0(VALU_DEP_1)
	v_mul_f32_e32 v152, v153, v163
	ds_bpermute_b32 v153, v126, v125 offset:76
	s_waitcnt lgkmcnt(0)
	v_fmac_f32_e32 v145, v152, v153
	v_add_co_u32 v152, vcc_lo, v79, v127
	v_add_co_ci_u32_e32 v153, vcc_lo, v80, v128, vcc_lo
	global_load_u16 v164, v[152:153], off
	v_add_co_u32 v152, vcc_lo, v77, v127
	v_add_co_ci_u32_e32 v153, vcc_lo, v78, v128, vcc_lo
	global_load_u16 v152, v[152:153], off
	s_waitcnt vmcnt(1)
	v_lshlrev_b32_e32 v153, 16, v164
	ds_bpermute_b32 v164, v126, v131 offset:80
	s_waitcnt lgkmcnt(0)
	v_sub_f32_e32 v153, v153, v164
	s_waitcnt vmcnt(0)
	v_lshlrev_b32_e32 v164, 16, v152
	;; [unrolled: 18-line block ×3, first 2 shown]
	s_delay_alu instid0(VALU_DEP_1)
	v_mul_f32_e32 v152, v153, v165
	ds_bpermute_b32 v153, v126, v125 offset:84
	s_waitcnt lgkmcnt(0)
	v_fmac_f32_e32 v145, v152, v153
	v_add_co_u32 v152, vcc_lo, v87, v127
	v_add_co_ci_u32_e32 v153, vcc_lo, v88, v128, vcc_lo
	global_load_u16 v166, v[152:153], off
	v_add_co_u32 v152, vcc_lo, v85, v127
	v_add_co_ci_u32_e32 v153, vcc_lo, v86, v128, vcc_lo
	global_load_u16 v152, v[152:153], off
	s_waitcnt vmcnt(1)
	v_lshlrev_b32_e32 v153, 16, v166
	ds_bpermute_b32 v166, v126, v131 offset:88
	s_waitcnt vmcnt(0) lgkmcnt(0)
	v_dual_sub_f32 v153, v153, v166 :: v_dual_lshlrev_b32 v166, 16, v152
	s_delay_alu instid0(VALU_DEP_1)
	v_mul_f32_e32 v152, v153, v166
	ds_bpermute_b32 v153, v126, v125 offset:88
	s_waitcnt lgkmcnt(0)
	v_fmac_f32_e32 v145, v152, v153
	v_add_co_u32 v152, vcc_lo, v91, v127
	v_add_co_ci_u32_e32 v153, vcc_lo, v92, v128, vcc_lo
	global_load_u16 v167, v[152:153], off
	v_add_co_u32 v152, vcc_lo, v89, v127
	v_add_co_ci_u32_e32 v153, vcc_lo, v90, v128, vcc_lo
	global_load_u16 v152, v[152:153], off
	s_waitcnt vmcnt(1)
	v_lshlrev_b32_e32 v153, 16, v167
	ds_bpermute_b32 v167, v126, v131 offset:92
	s_waitcnt lgkmcnt(0)
	v_sub_f32_e32 v153, v153, v167
	s_waitcnt vmcnt(0)
	v_lshlrev_b32_e32 v167, 16, v152
	s_delay_alu instid0(VALU_DEP_1)
	v_mul_f32_e32 v152, v153, v167
	ds_bpermute_b32 v153, v126, v125 offset:92
	s_waitcnt lgkmcnt(0)
	v_fmac_f32_e32 v145, v152, v153
	v_add_co_u32 v152, vcc_lo, v95, v127
	v_add_co_ci_u32_e32 v153, vcc_lo, v96, v128, vcc_lo
	global_load_u16 v168, v[152:153], off
	v_add_co_u32 v152, vcc_lo, v93, v127
	v_add_co_ci_u32_e32 v153, vcc_lo, v94, v128, vcc_lo
	global_load_u16 v152, v[152:153], off
	s_waitcnt vmcnt(1)
	v_lshlrev_b32_e32 v153, 16, v168
	ds_bpermute_b32 v168, v126, v131 offset:96
	s_waitcnt lgkmcnt(0)
	v_sub_f32_e32 v153, v153, v168
	s_waitcnt vmcnt(0)
	v_lshlrev_b32_e32 v168, 16, v152
	s_delay_alu instid0(VALU_DEP_1)
	v_mul_f32_e32 v152, v153, v168
	ds_bpermute_b32 v153, v126, v125 offset:96
	s_waitcnt lgkmcnt(0)
	v_fmac_f32_e32 v145, v152, v153
	v_add_co_u32 v152, vcc_lo, v99, v127
	v_add_co_ci_u32_e32 v153, vcc_lo, v100, v128, vcc_lo
	global_load_u16 v169, v[152:153], off
	v_add_co_u32 v152, vcc_lo, v97, v127
	v_add_co_ci_u32_e32 v153, vcc_lo, v98, v128, vcc_lo
	global_load_u16 v152, v[152:153], off
	s_waitcnt vmcnt(1)
	v_lshlrev_b32_e32 v153, 16, v169
	ds_bpermute_b32 v169, v126, v131 offset:100
	s_waitcnt lgkmcnt(0)
	v_sub_f32_e32 v153, v153, v169
	s_waitcnt vmcnt(0)
	v_lshlrev_b32_e32 v169, 16, v152
	s_delay_alu instid0(VALU_DEP_1)
	v_mul_f32_e32 v152, v153, v169
	ds_bpermute_b32 v153, v126, v125 offset:100
	s_waitcnt lgkmcnt(0)
	v_fmac_f32_e32 v145, v152, v153
	v_add_co_u32 v152, vcc_lo, v103, v127
	v_add_co_ci_u32_e32 v153, vcc_lo, v104, v128, vcc_lo
	global_load_u16 v170, v[152:153], off
	v_add_co_u32 v152, vcc_lo, v101, v127
	v_add_co_ci_u32_e32 v153, vcc_lo, v102, v128, vcc_lo
	global_load_u16 v152, v[152:153], off
	s_waitcnt vmcnt(1)
	v_lshlrev_b32_e32 v153, 16, v170
	ds_bpermute_b32 v170, v126, v131 offset:104
	s_waitcnt vmcnt(0) lgkmcnt(0)
	v_dual_sub_f32 v153, v153, v170 :: v_dual_lshlrev_b32 v170, 16, v152
	s_delay_alu instid0(VALU_DEP_1)
	v_mul_f32_e32 v152, v153, v170
	ds_bpermute_b32 v153, v126, v125 offset:104
	s_waitcnt lgkmcnt(0)
	v_fmac_f32_e32 v145, v152, v153
	v_add_co_u32 v152, vcc_lo, v107, v127
	v_add_co_ci_u32_e32 v153, vcc_lo, v108, v128, vcc_lo
	global_load_u16 v171, v[152:153], off
	v_add_co_u32 v152, vcc_lo, v105, v127
	v_add_co_ci_u32_e32 v153, vcc_lo, v106, v128, vcc_lo
	global_load_u16 v152, v[152:153], off
	s_waitcnt vmcnt(1)
	v_lshlrev_b32_e32 v153, 16, v171
	ds_bpermute_b32 v171, v126, v131 offset:108
	s_waitcnt lgkmcnt(0)
	v_sub_f32_e32 v153, v153, v171
	s_waitcnt vmcnt(0)
	v_lshlrev_b32_e32 v171, 16, v152
	s_delay_alu instid0(VALU_DEP_1)
	v_mul_f32_e32 v152, v153, v171
	ds_bpermute_b32 v153, v126, v125 offset:108
	s_waitcnt lgkmcnt(0)
	v_fmac_f32_e32 v145, v152, v153
	v_add_co_u32 v152, vcc_lo, v111, v127
	v_add_co_ci_u32_e32 v153, vcc_lo, v112, v128, vcc_lo
	global_load_u16 v172, v[152:153], off
	v_add_co_u32 v152, vcc_lo, v109, v127
	v_add_co_ci_u32_e32 v153, vcc_lo, v110, v128, vcc_lo
	global_load_u16 v152, v[152:153], off
	s_waitcnt vmcnt(1)
	v_lshlrev_b32_e32 v153, 16, v172
	ds_bpermute_b32 v172, v126, v131 offset:112
	s_waitcnt lgkmcnt(0)
	v_sub_f32_e32 v153, v153, v172
	s_waitcnt vmcnt(0)
	v_lshlrev_b32_e32 v172, 16, v152
	s_delay_alu instid0(VALU_DEP_1)
	v_mul_f32_e32 v152, v153, v172
	ds_bpermute_b32 v153, v126, v125 offset:112
	s_waitcnt lgkmcnt(0)
	v_fmac_f32_e32 v145, v152, v153
	v_add_co_u32 v152, vcc_lo, v115, v127
	v_add_co_ci_u32_e32 v153, vcc_lo, v116, v128, vcc_lo
	global_load_u16 v173, v[152:153], off
	v_add_co_u32 v152, vcc_lo, v113, v127
	v_add_co_ci_u32_e32 v153, vcc_lo, v114, v128, vcc_lo
	global_load_u16 v152, v[152:153], off
	s_waitcnt vmcnt(1)
	v_lshlrev_b32_e32 v153, 16, v173
	ds_bpermute_b32 v173, v126, v131 offset:116
	s_waitcnt lgkmcnt(0)
	v_sub_f32_e32 v153, v153, v173
	s_waitcnt vmcnt(0)
	v_lshlrev_b32_e32 v173, 16, v152
	s_delay_alu instid0(VALU_DEP_1)
	v_mul_f32_e32 v152, v153, v173
	ds_bpermute_b32 v153, v126, v125 offset:116
	s_waitcnt lgkmcnt(0)
	v_fmac_f32_e32 v145, v152, v153
	v_add_co_u32 v152, vcc_lo, v119, v127
	v_add_co_ci_u32_e32 v153, vcc_lo, v120, v128, vcc_lo
	global_load_u16 v174, v[152:153], off
	v_add_co_u32 v152, vcc_lo, v117, v127
	v_add_co_ci_u32_e32 v153, vcc_lo, v118, v128, vcc_lo
	global_load_u16 v152, v[152:153], off
	s_waitcnt vmcnt(1)
	v_lshlrev_b32_e32 v153, 16, v174
	ds_bpermute_b32 v174, v126, v131 offset:120
	ds_bpermute_b32 v131, v126, v131 offset:124
	s_waitcnt vmcnt(0) lgkmcnt(1)
	v_dual_sub_f32 v153, v153, v174 :: v_dual_lshlrev_b32 v174, 16, v152
	s_delay_alu instid0(VALU_DEP_1)
	v_mul_f32_e32 v152, v153, v174
	ds_bpermute_b32 v153, v126, v125 offset:120
	ds_bpermute_b32 v125, v126, v125 offset:124
	s_waitcnt lgkmcnt(1)
	v_fmac_f32_e32 v145, v152, v153
	v_add_co_u32 v152, vcc_lo, v123, v127
	v_add_co_ci_u32_e32 v153, vcc_lo, v124, v128, vcc_lo
	global_load_u16 v175, v[152:153], off
	v_add_co_u32 v152, vcc_lo, v121, v127
	v_add_co_ci_u32_e32 v153, vcc_lo, v122, v128, vcc_lo
	global_load_u16 v152, v[152:153], off
	s_waitcnt vmcnt(1)
	v_lshlrev_b32_e32 v153, 16, v175
	s_waitcnt vmcnt(0)
	s_delay_alu instid0(VALU_DEP_1) | instskip(NEXT) | instid1(VALU_DEP_1)
	v_dual_sub_f32 v131, v153, v131 :: v_dual_lshlrev_b32 v152, 16, v152
	v_mul_f32_e32 v131, v131, v152
	s_waitcnt lgkmcnt(0)
	s_delay_alu instid0(VALU_DEP_1) | instskip(SKIP_3) | instid1(VALU_DEP_1)
	v_fmac_f32_e32 v145, v131, v125
	scratch_load_b32 v125, off, off offset:208 ; 4-byte Folded Reload
	s_waitcnt vmcnt(0)
	v_add_f32_e32 v125, v125, v129
	v_add_f32_e32 v125, v125, v130
	s_delay_alu instid0(VALU_DEP_1) | instskip(NEXT) | instid1(VALU_DEP_1)
	v_add_f32_e32 v125, v125, v132
	v_add_f32_e32 v125, v125, v144
	v_mov_b32_e32 v144, v145
	s_delay_alu instid0(VALU_DEP_2) | instskip(NEXT) | instid1(VALU_DEP_1)
	v_add_f32_e32 v125, v125, v146
	v_add_f32_e32 v125, v125, v147
	s_delay_alu instid0(VALU_DEP_1) | instskip(NEXT) | instid1(VALU_DEP_1)
	v_add_f32_e32 v125, v125, v148
	v_add_f32_e32 v125, v125, v149
	s_delay_alu instid0(VALU_DEP_1) | instskip(NEXT) | instid1(VALU_DEP_1)
	;; [unrolled: 3-line block ×13, first 2 shown]
	v_add_f32_e32 v125, v125, v174
	v_add_f32_e32 v125, v125, v152
.LBB107_217:                            ;   in Loop: Header=BB107_145 Depth=1
	scratch_load_b32 v129, off, off         ; 4-byte Folded Reload
	v_add_co_u32 v1, vcc_lo, v1, s12
	v_add_co_ci_u32_e32 v2, vcc_lo, s13, v2, vcc_lo
	v_add_co_u32 v3, vcc_lo, v3, s12
	v_add_co_ci_u32_e32 v4, vcc_lo, s13, v4, vcc_lo
	;; [unrolled: 2-line block ×64, first 2 shown]
	s_add_u32 s22, s22, s3
	s_addc_u32 s23, s23, 0
	s_add_u32 s20, s20, s3
	v_cmp_ge_i64_e64 s7, s[22:23], s[16:17]
	s_addc_u32 s21, s21, 0
	s_waitcnt vmcnt(0)
	v_add_co_u32 v129, vcc_lo, v129, s3
	v_add_co_ci_u32_e32 v143, vcc_lo, 0, v143, vcc_lo
	scratch_store_b32 off, v129, off        ; 4-byte Folded Spill
	scratch_load_b32 v129, off, off offset:4 ; 4-byte Folded Reload
	s_waitcnt vmcnt(0)
	v_add_co_u32 v129, vcc_lo, v129, s12
	scratch_store_b32 off, v129, off offset:4 ; 4-byte Folded Spill
	scratch_load_b32 v129, off, off offset:8 ; 4-byte Folded Reload
	s_waitcnt vmcnt(0)
	v_add_co_ci_u32_e32 v129, vcc_lo, s13, v129, vcc_lo
	scratch_store_b32 off, v129, off offset:8 ; 4-byte Folded Spill
	scratch_load_b32 v129, off, off offset:12 ; 4-byte Folded Reload
	s_waitcnt vmcnt(0)
	v_add_co_u32 v129, vcc_lo, v129, s12
	scratch_store_b32 off, v129, off offset:12 ; 4-byte Folded Spill
	scratch_load_b32 v129, off, off offset:16 ; 4-byte Folded Reload
	s_waitcnt vmcnt(0)
	v_add_co_ci_u32_e32 v129, vcc_lo, s13, v129, vcc_lo
	scratch_store_b32 off, v129, off offset:16 ; 4-byte Folded Spill
	;; [unrolled: 8-line block ×25, first 2 shown]
	scratch_load_b32 v129, off, off offset:204 ; 4-byte Folded Reload
	s_waitcnt vmcnt(0)
	v_add_co_u32 v129, vcc_lo, v129, s12
	v_add_co_ci_u32_e32 v190, vcc_lo, s13, v190, vcc_lo
	v_add_co_u32 v191, vcc_lo, v191, s12
	v_add_co_ci_u32_e32 v192, vcc_lo, s13, v192, vcc_lo
	v_add_co_u32 v193, vcc_lo, v193, s12
	v_add_co_ci_u32_e32 v194, vcc_lo, s13, v194, vcc_lo
	v_add_co_u32 v195, vcc_lo, v195, s12
	v_add_co_ci_u32_e32 v196, vcc_lo, s13, v196, vcc_lo
	v_add_co_u32 v197, vcc_lo, v197, s12
	v_add_co_ci_u32_e32 v198, vcc_lo, s13, v198, vcc_lo
	v_add_co_u32 v199, vcc_lo, v199, s12
	v_add_co_ci_u32_e32 v200, vcc_lo, s13, v200, vcc_lo
	v_add_co_u32 v201, vcc_lo, v201, s12
	v_add_co_ci_u32_e32 v202, vcc_lo, s13, v202, vcc_lo
	v_add_co_u32 v203, vcc_lo, v203, s12
	v_add_co_ci_u32_e32 v204, vcc_lo, s13, v204, vcc_lo
	v_add_co_u32 v205, vcc_lo, v205, s12
	v_add_co_ci_u32_e32 v206, vcc_lo, s13, v206, vcc_lo
	v_add_co_u32 v207, vcc_lo, v207, s12
	v_add_co_ci_u32_e32 v208, vcc_lo, s13, v208, vcc_lo
	v_add_co_u32 v209, vcc_lo, v209, s12
	v_add_co_ci_u32_e32 v210, vcc_lo, s13, v210, vcc_lo
	v_add_co_u32 v211, vcc_lo, v211, s12
	v_add_co_ci_u32_e32 v212, vcc_lo, s13, v212, vcc_lo
	v_add_co_u32 v213, vcc_lo, v213, s12
	v_add_co_ci_u32_e32 v214, vcc_lo, s13, v214, vcc_lo
	v_add_co_u32 v215, vcc_lo, v215, s12
	v_add_co_ci_u32_e32 v216, vcc_lo, s13, v216, vcc_lo
	v_add_co_u32 v217, vcc_lo, v217, s12
	v_add_co_ci_u32_e32 v218, vcc_lo, s13, v218, vcc_lo
	v_add_co_u32 v219, vcc_lo, v219, s12
	v_add_co_ci_u32_e32 v220, vcc_lo, s13, v220, vcc_lo
	v_add_co_u32 v221, vcc_lo, v221, s12
	v_add_co_ci_u32_e32 v222, vcc_lo, s13, v222, vcc_lo
	v_add_co_u32 v223, vcc_lo, v223, s12
	v_add_co_ci_u32_e32 v224, vcc_lo, s13, v224, vcc_lo
	v_add_co_u32 v225, vcc_lo, v225, s12
	v_add_co_ci_u32_e32 v226, vcc_lo, s13, v226, vcc_lo
	v_add_co_u32 v227, vcc_lo, v227, s12
	v_add_co_ci_u32_e32 v228, vcc_lo, s13, v228, vcc_lo
	v_add_co_u32 v229, vcc_lo, v229, s12
	v_add_co_ci_u32_e32 v230, vcc_lo, s13, v230, vcc_lo
	v_add_co_u32 v231, vcc_lo, v231, s12
	v_add_co_ci_u32_e32 v232, vcc_lo, s13, v232, vcc_lo
	v_add_co_u32 v233, vcc_lo, v233, s12
	v_add_co_ci_u32_e32 v234, vcc_lo, s13, v234, vcc_lo
	v_add_co_u32 v235, vcc_lo, v235, s12
	v_add_co_ci_u32_e32 v236, vcc_lo, s13, v236, vcc_lo
	v_add_co_u32 v237, vcc_lo, v237, s12
	v_add_co_ci_u32_e32 v238, vcc_lo, s13, v238, vcc_lo
	v_add_co_u32 v239, vcc_lo, v239, s12
	v_add_co_ci_u32_e32 v240, vcc_lo, s13, v240, vcc_lo
	v_add_co_u32 v241, vcc_lo, v241, s12
	v_add_co_ci_u32_e32 v242, vcc_lo, s13, v242, vcc_lo
	v_add_co_u32 v243, vcc_lo, v243, s12
	v_add_co_ci_u32_e32 v244, vcc_lo, s13, v244, vcc_lo
	v_add_co_u32 v245, vcc_lo, v245, s12
	v_add_co_ci_u32_e32 v246, vcc_lo, s13, v246, vcc_lo
	v_add_co_u32 v247, vcc_lo, v247, s12
	v_add_co_ci_u32_e32 v248, vcc_lo, s13, v248, vcc_lo
	v_add_co_u32 v249, vcc_lo, v249, s12
	v_add_co_ci_u32_e32 v250, vcc_lo, s13, v250, vcc_lo
	v_add_co_u32 v251, vcc_lo, v251, s12
	v_add_co_ci_u32_e32 v252, vcc_lo, s13, v252, vcc_lo
	v_add_co_u32 v253, vcc_lo, v253, s12
	v_add_co_ci_u32_e32 v254, vcc_lo, s13, v254, vcc_lo
	v_add_co_u32 v255, vcc_lo, v255, s12
	v_add_co_ci_u32_e32 v133, vcc_lo, s13, v133, vcc_lo
	v_add_co_u32 v0, vcc_lo, v0, s12
	v_add_co_ci_u32_e32 v134, vcc_lo, s13, v134, vcc_lo
	v_add_co_u32 v139, vcc_lo, v139, s12
	v_add_co_ci_u32_e32 v140, vcc_lo, s13, v140, vcc_lo
	v_add_co_u32 v141, vcc_lo, v141, s12
	v_add_co_ci_u32_e32 v142, vcc_lo, s13, v142, vcc_lo
	s_and_b32 vcc_lo, exec_lo, s7
	scratch_store_b32 off, v129, off offset:204 ; 4-byte Folded Spill
	s_cbranch_vccnz .LBB107_219
; %bb.218:                              ;   in Loop: Header=BB107_145 Depth=1
	v_mov_b32_e32 v131, v125
	v_mov_b32_e32 v145, v144
	s_branch .LBB107_145
.LBB107_219:
	scratch_load_b32 v227, off, off offset:304 ; 4-byte Folded Reload
.LBB107_220:
	s_mov_b32 s15, 0
	s_mov_b32 s3, exec_lo
	s_lshl_b64 s[4:5], s[14:15], 5
	s_waitcnt vmcnt(0)
	v_dual_mov_b32 v5, s5 :: v_dual_and_b32 v0, 0x3ff, v227
	s_delay_alu instid0(VALU_DEP_1) | instskip(NEXT) | instid1(VALU_DEP_1)
	v_or_b32_e32 v4, s4, v0
	v_cmpx_gt_i64_e64 s[18:19], v[4:5]
	s_cbranch_execz .LBB107_225
; %bb.221:
	s_clause 0x1
	s_load_b32 s3, s[0:1], 0x4c
	s_load_b128 s[4:7], s[0:1], 0x30
	v_bfe_u32 v0, v227, 10, 10
	v_mov_b32_e32 v1, 0
	s_waitcnt lgkmcnt(0)
	s_lshr_b32 s0, s3, 16
	s_cmp_eq_u64 s[4:5], 0
	s_delay_alu instid0(VALU_DEP_1) | instskip(SKIP_1) | instid1(VALU_DEP_2)
	v_mad_u64_u32 v[2:3], null, s0, s2, v[0:1]
	v_lshlrev_b64 v[0:1], 1, v[4:5]
	v_mul_lo_u32 v3, v3, s18
	s_delay_alu instid0(VALU_DEP_3)
	v_mul_lo_u32 v6, v2, s19
	s_cbranch_scc1 .LBB107_223
; %bb.222:
	v_mad_u64_u32 v[4:5], null, v2, s18, 0
	v_bfe_u32 v7, v144, 16, 1
	s_delay_alu instid0(VALU_DEP_1) | instskip(NEXT) | instid1(VALU_DEP_3)
	v_add3_u32 v7, v144, v7, 0x7fff
	v_add3_u32 v5, v5, v6, v3
	s_delay_alu instid0(VALU_DEP_2) | instskip(NEXT) | instid1(VALU_DEP_2)
	v_lshrrev_b32_e32 v7, 16, v7
	v_lshlrev_b64 v[4:5], 1, v[4:5]
	s_delay_alu instid0(VALU_DEP_1) | instskip(NEXT) | instid1(VALU_DEP_2)
	v_add_co_u32 v4, vcc_lo, s4, v4
	v_add_co_ci_u32_e32 v5, vcc_lo, s5, v5, vcc_lo
	v_cmp_o_f32_e32 vcc_lo, v144, v144
	v_cndmask_b32_e32 v7, 0x7fc0, v7, vcc_lo
	s_delay_alu instid0(VALU_DEP_4) | instskip(NEXT) | instid1(VALU_DEP_4)
	v_add_co_u32 v4, vcc_lo, v4, v0
	v_add_co_ci_u32_e32 v5, vcc_lo, v5, v1, vcc_lo
	global_store_b16 v[4:5], v7, off
.LBB107_223:
	s_cmp_eq_u64 s[6:7], 0
	s_cbranch_scc1 .LBB107_225
; %bb.224:
	v_mad_u64_u32 v[4:5], null, v2, s18, 0
	v_bfe_u32 v2, v125, 16, 1
	s_delay_alu instid0(VALU_DEP_2) | instskip(NEXT) | instid1(VALU_DEP_2)
	v_add3_u32 v5, v5, v6, v3
	v_add3_u32 v6, v125, v2, 0x7fff
	s_delay_alu instid0(VALU_DEP_2) | instskip(NEXT) | instid1(VALU_DEP_2)
	v_lshlrev_b64 v[2:3], 1, v[4:5]
	v_lshrrev_b32_e32 v4, 16, v6
	s_delay_alu instid0(VALU_DEP_2) | instskip(NEXT) | instid1(VALU_DEP_3)
	v_add_co_u32 v2, vcc_lo, s6, v2
	v_add_co_ci_u32_e32 v3, vcc_lo, s7, v3, vcc_lo
	v_cmp_o_f32_e32 vcc_lo, v125, v125
	s_delay_alu instid0(VALU_DEP_4) | instskip(NEXT) | instid1(VALU_DEP_4)
	v_cndmask_b32_e32 v4, 0x7fc0, v4, vcc_lo
	v_add_co_u32 v0, vcc_lo, v2, v0
	s_delay_alu instid0(VALU_DEP_4)
	v_add_co_ci_u32_e32 v1, vcc_lo, v3, v1, vcc_lo
	global_store_b16 v[0:1], v4, off
.LBB107_225:
	s_endpgm
	.section	.rodata,"a",@progbits
	.p2align	6, 0x0
	.amdhsa_kernel _ZN2at6native12_GLOBAL__N_135GammaBetaBackwardCUDAKernelTemplateIN3c108BFloat16EfLj32ELj1ELj32ELb1ELb0ELb0EEEvllPKT_S7_PKT0_SA_PS5_SB_
		.amdhsa_group_segment_fixed_size 0
		.amdhsa_private_segment_fixed_size 312
		.amdhsa_kernarg_size 320
		.amdhsa_user_sgpr_count 14
		.amdhsa_user_sgpr_dispatch_ptr 0
		.amdhsa_user_sgpr_queue_ptr 0
		.amdhsa_user_sgpr_kernarg_segment_ptr 1
		.amdhsa_user_sgpr_dispatch_id 0
		.amdhsa_user_sgpr_private_segment_size 0
		.amdhsa_wavefront_size32 1
		.amdhsa_uses_dynamic_stack 0
		.amdhsa_enable_private_segment 1
		.amdhsa_system_sgpr_workgroup_id_x 1
		.amdhsa_system_sgpr_workgroup_id_y 1
		.amdhsa_system_sgpr_workgroup_id_z 0
		.amdhsa_system_sgpr_workgroup_info 0
		.amdhsa_system_vgpr_workitem_id 1
		.amdhsa_next_free_vgpr 256
		.amdhsa_next_free_sgpr 36
		.amdhsa_reserve_vcc 1
		.amdhsa_float_round_mode_32 0
		.amdhsa_float_round_mode_16_64 0
		.amdhsa_float_denorm_mode_32 3
		.amdhsa_float_denorm_mode_16_64 3
		.amdhsa_dx10_clamp 1
		.amdhsa_ieee_mode 1
		.amdhsa_fp16_overflow 0
		.amdhsa_workgroup_processor_mode 1
		.amdhsa_memory_ordered 1
		.amdhsa_forward_progress 0
		.amdhsa_shared_vgpr_count 0
		.amdhsa_exception_fp_ieee_invalid_op 0
		.amdhsa_exception_fp_denorm_src 0
		.amdhsa_exception_fp_ieee_div_zero 0
		.amdhsa_exception_fp_ieee_overflow 0
		.amdhsa_exception_fp_ieee_underflow 0
		.amdhsa_exception_fp_ieee_inexact 0
		.amdhsa_exception_int_div_zero 0
	.end_amdhsa_kernel
	.section	.text._ZN2at6native12_GLOBAL__N_135GammaBetaBackwardCUDAKernelTemplateIN3c108BFloat16EfLj32ELj1ELj32ELb1ELb0ELb0EEEvllPKT_S7_PKT0_SA_PS5_SB_,"axG",@progbits,_ZN2at6native12_GLOBAL__N_135GammaBetaBackwardCUDAKernelTemplateIN3c108BFloat16EfLj32ELj1ELj32ELb1ELb0ELb0EEEvllPKT_S7_PKT0_SA_PS5_SB_,comdat
.Lfunc_end107:
	.size	_ZN2at6native12_GLOBAL__N_135GammaBetaBackwardCUDAKernelTemplateIN3c108BFloat16EfLj32ELj1ELj32ELb1ELb0ELb0EEEvllPKT_S7_PKT0_SA_PS5_SB_, .Lfunc_end107-_ZN2at6native12_GLOBAL__N_135GammaBetaBackwardCUDAKernelTemplateIN3c108BFloat16EfLj32ELj1ELj32ELb1ELb0ELb0EEEvllPKT_S7_PKT0_SA_PS5_SB_
                                        ; -- End function
	.section	.AMDGPU.csdata,"",@progbits
; Kernel info:
; codeLenInByte = 29460
; NumSgprs: 38
; NumVgprs: 256
; ScratchSize: 312
; MemoryBound: 0
; FloatMode: 240
; IeeeMode: 1
; LDSByteSize: 0 bytes/workgroup (compile time only)
; SGPRBlocks: 4
; VGPRBlocks: 31
; NumSGPRsForWavesPerEU: 38
; NumVGPRsForWavesPerEU: 256
; Occupancy: 5
; WaveLimiterHint : 0
; COMPUTE_PGM_RSRC2:SCRATCH_EN: 1
; COMPUTE_PGM_RSRC2:USER_SGPR: 14
; COMPUTE_PGM_RSRC2:TRAP_HANDLER: 0
; COMPUTE_PGM_RSRC2:TGID_X_EN: 1
; COMPUTE_PGM_RSRC2:TGID_Y_EN: 1
; COMPUTE_PGM_RSRC2:TGID_Z_EN: 0
; COMPUTE_PGM_RSRC2:TIDIG_COMP_CNT: 1
	.section	.text._ZN2at6native12_GLOBAL__N_135GammaBetaBackwardCUDAKernelTemplateIN3c108BFloat16EfLj32ELj1ELj8ELb1ELb1ELb0EEEvllPKT_S7_PKT0_SA_PS5_SB_,"axG",@progbits,_ZN2at6native12_GLOBAL__N_135GammaBetaBackwardCUDAKernelTemplateIN3c108BFloat16EfLj32ELj1ELj8ELb1ELb1ELb0EEEvllPKT_S7_PKT0_SA_PS5_SB_,comdat
	.globl	_ZN2at6native12_GLOBAL__N_135GammaBetaBackwardCUDAKernelTemplateIN3c108BFloat16EfLj32ELj1ELj8ELb1ELb1ELb0EEEvllPKT_S7_PKT0_SA_PS5_SB_ ; -- Begin function _ZN2at6native12_GLOBAL__N_135GammaBetaBackwardCUDAKernelTemplateIN3c108BFloat16EfLj32ELj1ELj8ELb1ELb1ELb0EEEvllPKT_S7_PKT0_SA_PS5_SB_
	.p2align	8
	.type	_ZN2at6native12_GLOBAL__N_135GammaBetaBackwardCUDAKernelTemplateIN3c108BFloat16EfLj32ELj1ELj8ELb1ELb1ELb0EEEvllPKT_S7_PKT0_SA_PS5_SB_,@function
_ZN2at6native12_GLOBAL__N_135GammaBetaBackwardCUDAKernelTemplateIN3c108BFloat16EfLj32ELj1ELj8ELb1ELb1ELb0EEEvllPKT_S7_PKT0_SA_PS5_SB_: ; @_ZN2at6native12_GLOBAL__N_135GammaBetaBackwardCUDAKernelTemplateIN3c108BFloat16EfLj32ELj1ELj8ELb1ELb1ELb0EEEvllPKT_S7_PKT0_SA_PS5_SB_
; %bb.0:
	s_load_b128 s[16:19], s[0:1], 0x0
	s_mov_b32 s13, 0
	s_lshl_b32 s12, s15, 3
	v_bfe_u32 v6, v0, 10, 10
	s_mov_b32 s2, s15
	s_waitcnt lgkmcnt(0)
	v_cmp_lt_i64_e64 s3, s[12:13], s[16:17]
	s_delay_alu instid0(VALU_DEP_1)
	s_and_b32 vcc_lo, exec_lo, s3
	s_cbranch_vccnz .LBB108_2
; %bb.1:
	v_bfe_u32 v1, v0, 10, 10
	s_add_u32 s24, s0, 64
	s_addc_u32 s25, s1, 0
	s_mov_b32 s4, 0
	s_mov_b32 s3, s13
	s_branch .LBB108_3
.LBB108_2:
	s_mov_b32 s3, -1
                                        ; implicit-def: $sgpr4
                                        ; implicit-def: $sgpr24_sgpr25
                                        ; implicit-def: $vgpr1
.LBB108_3:
	s_load_b128 s[20:23], s[0:1], 0x30
	v_mov_b32_e32 v9, s4
	v_and_b32_e32 v7, 0x3ff, v0
	v_mov_b32_e32 v11, s4
	s_and_not1_b32 vcc_lo, exec_lo, s3
	s_cbranch_vccnz .LBB108_11
; %bb.4:
	s_clause 0x2
	s_load_b32 s3, s[0:1], 0x4c
	s_load_b32 s15, s[0:1], 0x44
	s_load_b256 s[4:11], s[0:1], 0x10
	v_dual_mov_b32 v1, 0 :: v_dual_lshlrev_b32 v0, 3, v6
	s_add_u32 s24, s0, 64
	s_addc_u32 s25, s1, 0
	v_dual_mov_b32 v8, 8 :: v_dual_mov_b32 v13, 16
	s_delay_alu instid0(VALU_DEP_2) | instskip(NEXT) | instid1(VALU_DEP_1)
	v_add_co_u32 v2, s0, v0, s12
	v_add_co_ci_u32_e64 v3, null, 0, 0, s0
	v_lshl_add_u32 v0, s14, 5, v7
	s_delay_alu instid0(VALU_DEP_3) | instskip(SKIP_1) | instid1(VALU_DEP_4)
	v_mul_lo_u32 v9, s19, v2
	v_mad_u64_u32 v[4:5], null, s18, v2, 0
	v_mul_lo_u32 v11, s18, v3
	s_delay_alu instid0(VALU_DEP_4)
	v_lshlrev_b64 v[17:18], 1, v[0:1]
	v_dual_mov_b32 v10, 4 :: v_dual_mov_b32 v15, 24
	s_waitcnt lgkmcnt(0)
	s_and_b32 s0, s3, 0xffff
	s_lshl_b32 s26, s15, 3
	v_mad_u32_u24 v16, v6, s0, v7
	v_mov_b32_e32 v12, 12
	v_add3_u32 v5, v5, v11, v9
	s_mul_i32 s1, s19, s26
	s_mul_hi_u32 s3, s18, s26
	v_dual_mov_b32 v14, 20 :: v_dual_and_b32 v21, 31, v16
	v_mov_b32_e32 v11, 0
	v_lshlrev_b64 v[19:20], 1, v[4:5]
	v_dual_mov_b32 v16, 28 :: v_dual_mov_b32 v9, 0
	s_delay_alu instid0(VALU_DEP_4) | instskip(SKIP_1) | instid1(VALU_DEP_4)
	v_add_co_u32 v2, vcc_lo, v2, v21
	v_add_co_ci_u32_e32 v3, vcc_lo, 0, v3, vcc_lo
	v_add_co_u32 v0, vcc_lo, v19, v17
	v_cmp_gt_u32_e64 s0, 8, v21
	s_delay_alu instid0(VALU_DEP_3)
	v_lshlrev_b64 v[4:5], 2, v[2:3]
	v_add_co_ci_u32_e32 v17, vcc_lo, v20, v18, vcc_lo
	s_mov_b32 s27, 0
	s_add_i32 s31, s3, s1
	s_mul_i32 s30, s18, s26
	s_lshl_b64 s[28:29], s[26:27], 2
	s_lshl_b64 s[30:31], s[30:31], 1
	;; [unrolled: 1-line block ×3, first 2 shown]
	s_branch .LBB108_7
.LBB108_5:                              ;   in Loop: Header=BB108_7 Depth=1
	s_or_b32 exec_lo, exec_lo, s3
.LBB108_6:                              ;   in Loop: Header=BB108_7 Depth=1
	s_delay_alu instid0(SALU_CYCLE_1) | instskip(SKIP_4) | instid1(VALU_DEP_4)
	s_or_b32 exec_lo, exec_lo, s1
	v_add_co_u32 v20, vcc_lo, s4, v0
	v_add_co_ci_u32_e32 v21, vcc_lo, s5, v17, vcc_lo
	v_add_co_u32 v22, vcc_lo, s6, v0
	v_add_co_ci_u32_e32 v23, vcc_lo, s7, v17, vcc_lo
	v_add_co_u32 v24, vcc_lo, v20, s34
	s_delay_alu instid0(VALU_DEP_4) | instskip(NEXT) | instid1(VALU_DEP_4)
	v_add_co_ci_u32_e32 v25, vcc_lo, s35, v21, vcc_lo
	v_add_co_u32 v26, vcc_lo, v22, s34
	s_delay_alu instid0(VALU_DEP_4) | instskip(NEXT) | instid1(VALU_DEP_4)
	v_add_co_ci_u32_e32 v27, vcc_lo, s35, v23, vcc_lo
	v_add_co_u32 v28, vcc_lo, v24, s34
	s_delay_alu instid0(VALU_DEP_4)
	v_add_co_ci_u32_e32 v29, vcc_lo, s35, v25, vcc_lo
	global_load_u16 v30, v[20:21], off
	global_load_u16 v31, v[22:23], off
	global_load_u16 v32, v[24:25], off
	global_load_u16 v33, v[26:27], off
	global_load_u16 v34, v[28:29], off
	v_add_co_u32 v20, vcc_lo, v26, s34
	v_add_co_ci_u32_e32 v21, vcc_lo, s35, v27, vcc_lo
	v_add_co_u32 v22, vcc_lo, v28, s34
	v_add_co_ci_u32_e32 v23, vcc_lo, s35, v29, vcc_lo
	s_delay_alu instid0(VALU_DEP_4) | instskip(NEXT) | instid1(VALU_DEP_4)
	v_add_co_u32 v24, vcc_lo, v20, s34
	v_add_co_ci_u32_e32 v25, vcc_lo, s35, v21, vcc_lo
	s_delay_alu instid0(VALU_DEP_4) | instskip(NEXT) | instid1(VALU_DEP_4)
	;; [unrolled: 3-line block ×3, first 2 shown]
	v_add_co_u32 v28, vcc_lo, v24, s34
	v_add_co_ci_u32_e32 v29, vcc_lo, s35, v25, vcc_lo
	global_load_u16 v35, v[20:21], off
	global_load_u16 v36, v[22:23], off
	;; [unrolled: 1-line block ×5, first 2 shown]
	v_add_co_u32 v20, vcc_lo, v26, s34
	v_add_co_ci_u32_e32 v21, vcc_lo, s35, v27, vcc_lo
	v_add_co_u32 v22, vcc_lo, v28, s34
	v_add_co_ci_u32_e32 v23, vcc_lo, s35, v29, vcc_lo
	s_delay_alu instid0(VALU_DEP_4) | instskip(NEXT) | instid1(VALU_DEP_4)
	v_add_co_u32 v24, vcc_lo, v20, s34
	v_add_co_ci_u32_e32 v25, vcc_lo, s35, v21, vcc_lo
	s_delay_alu instid0(VALU_DEP_4) | instskip(NEXT) | instid1(VALU_DEP_4)
	v_add_co_u32 v26, vcc_lo, v22, s34
	v_add_co_ci_u32_e32 v27, vcc_lo, s35, v23, vcc_lo
	global_load_u16 v28, v[20:21], off
	global_load_u16 v29, v[22:23], off
	;; [unrolled: 1-line block ×4, first 2 shown]
	v_add_co_u32 v20, vcc_lo, v26, s34
	v_add_co_ci_u32_e32 v21, vcc_lo, s35, v27, vcc_lo
	v_add_co_u32 v22, vcc_lo, v24, s34
	v_add_co_ci_u32_e32 v23, vcc_lo, s35, v25, vcc_lo
	global_load_u16 v20, v[20:21], off
	global_load_u16 v21, v[22:23], off
	s_waitcnt vmcnt(17)
	ds_bpermute_b32 v25, v10, v18
	ds_bpermute_b32 v22, v1, v18
	s_waitcnt vmcnt(16)
	ds_bpermute_b32 v23, v1, v19
	ds_bpermute_b32 v24, v10, v19
	;; [unrolled: 1-line block ×14, first 2 shown]
	v_add_co_u32 v4, vcc_lo, v4, s28
	s_add_u32 s12, s12, s26
	v_add_co_ci_u32_e32 v5, vcc_lo, s29, v5, vcc_lo
	s_addc_u32 s13, s13, 0
	v_add_co_u32 v2, vcc_lo, v2, s26
	v_add_co_ci_u32_e32 v3, vcc_lo, 0, v3, vcc_lo
	v_cmp_lt_i64_e64 s1, s[12:13], s[16:17]
	v_add_co_u32 v0, vcc_lo, v0, s30
	v_add_co_ci_u32_e32 v17, vcc_lo, s31, v17, vcc_lo
	s_delay_alu instid0(VALU_DEP_3) | instskip(SKIP_3) | instid1(VALU_DEP_1)
	s_and_b32 vcc_lo, exec_lo, s1
	s_waitcnt vmcnt(12)
	v_lshlrev_b32_e32 v33, 16, v33
	s_waitcnt lgkmcnt(15)
	v_dual_sub_f32 v25, v33, v25 :: v_dual_lshlrev_b32 v30, 16, v30
	v_lshlrev_b32_e32 v31, 16, v31
	s_delay_alu instid0(VALU_DEP_2) | instskip(SKIP_1) | instid1(VALU_DEP_2)
	v_add_f32_e32 v11, v11, v30
	s_waitcnt lgkmcnt(14)
	v_sub_f32_e32 v22, v31, v22
	s_delay_alu instid0(VALU_DEP_1) | instskip(SKIP_1) | instid1(VALU_DEP_1)
	v_mul_f32_e32 v22, v22, v30
	s_waitcnt vmcnt(11) lgkmcnt(13)
	v_dual_fmac_f32 v9, v22, v23 :: v_dual_lshlrev_b32 v30, 16, v34
	v_lshlrev_b32_e32 v31, 16, v32
	s_delay_alu instid0(VALU_DEP_1) | instskip(SKIP_1) | instid1(VALU_DEP_1)
	v_mul_f32_e32 v22, v25, v31
	s_waitcnt vmcnt(10) lgkmcnt(12)
	v_dual_fmac_f32 v9, v22, v24 :: v_dual_lshlrev_b32 v32, 16, v35
	s_waitcnt lgkmcnt(11)
	s_delay_alu instid0(VALU_DEP_1) | instskip(SKIP_3) | instid1(VALU_DEP_2)
	v_sub_f32_e32 v23, v32, v27
	s_waitcnt vmcnt(9)
	v_lshlrev_b32_e32 v27, 16, v36
	s_waitcnt vmcnt(8)
	v_dual_mul_f32 v22, v23, v30 :: v_dual_lshlrev_b32 v25, 16, v37
	v_add_f32_e32 v11, v11, v31
	s_waitcnt lgkmcnt(9)
	s_delay_alu instid0(VALU_DEP_2) | instskip(SKIP_3) | instid1(VALU_DEP_3)
	v_sub_f32_e32 v23, v25, v43
	s_waitcnt vmcnt(5)
	v_dual_fmac_f32 v9, v22, v26 :: v_dual_lshlrev_b32 v26, 16, v28
	v_dual_add_f32 v11, v11, v30 :: v_dual_lshlrev_b32 v24, 16, v39
	v_mul_f32_e32 v22, v23, v27
	s_waitcnt vmcnt(1) lgkmcnt(8)
	s_delay_alu instid0(VALU_DEP_2)
	v_dual_sub_f32 v23, v24, v45 :: v_dual_lshlrev_b32 v20, 16, v20
	v_lshlrev_b32_e32 v24, 16, v29
	s_waitcnt vmcnt(0)
	v_lshlrev_b32_e32 v21, 16, v21
	s_waitcnt lgkmcnt(4)
	v_fmac_f32_e32 v9, v22, v42
	v_sub_f32_e32 v18, v20, v18
	s_delay_alu instid0(VALU_DEP_1) | instskip(NEXT) | instid1(VALU_DEP_1)
	v_dual_mul_f32 v18, v18, v21 :: v_dual_lshlrev_b32 v25, 16, v38
	v_mul_f32_e32 v22, v23, v25
	v_add_f32_e32 v11, v11, v27
	v_dual_sub_f32 v23, v24, v47 :: v_dual_lshlrev_b32 v24, 16, v41
	s_waitcnt lgkmcnt(3)
	s_delay_alu instid0(VALU_DEP_3) | instskip(NEXT) | instid1(VALU_DEP_3)
	v_fmac_f32_e32 v9, v22, v44
	v_add_f32_e32 v11, v11, v25
	s_delay_alu instid0(VALU_DEP_3) | instskip(SKIP_1) | instid1(VALU_DEP_3)
	v_dual_mul_f32 v22, v23, v26 :: v_dual_lshlrev_b32 v25, 16, v40
	v_sub_f32_e32 v23, v24, v49
	v_add_f32_e32 v11, v11, v26
	s_waitcnt lgkmcnt(2)
	s_delay_alu instid0(VALU_DEP_2) | instskip(NEXT) | instid1(VALU_DEP_2)
	v_dual_fmac_f32 v9, v22, v46 :: v_dual_mul_f32 v22, v23, v25
	v_add_f32_e32 v11, v11, v25
	s_waitcnt lgkmcnt(1)
	s_delay_alu instid0(VALU_DEP_2) | instskip(NEXT) | instid1(VALU_DEP_2)
	v_fmac_f32_e32 v9, v22, v48
	v_add_f32_e32 v11, v11, v21
	s_waitcnt lgkmcnt(0)
	s_delay_alu instid0(VALU_DEP_2)
	v_fmac_f32_e32 v9, v18, v19
	s_cbranch_vccz .LBB108_10
.LBB108_7:                              ; =>This Inner Loop Header: Depth=1
	v_dual_mov_b32 v19, 0 :: v_dual_mov_b32 v18, 0
	s_and_saveexec_b32 s1, s0
	s_cbranch_execz .LBB108_6
; %bb.8:                                ;   in Loop: Header=BB108_7 Depth=1
	v_dual_mov_b32 v18, 0 :: v_dual_mov_b32 v19, 0
	s_mov_b32 s3, exec_lo
	v_cmpx_gt_i64_e64 s[16:17], v[2:3]
	s_cbranch_execz .LBB108_5
; %bb.9:                                ;   in Loop: Header=BB108_7 Depth=1
	v_add_co_u32 v18, vcc_lo, s8, v4
	v_add_co_ci_u32_e32 v19, vcc_lo, s9, v5, vcc_lo
	v_add_co_u32 v20, vcc_lo, s10, v4
	v_add_co_ci_u32_e32 v21, vcc_lo, s11, v5, vcc_lo
	global_load_b32 v18, v[18:19], off
	global_load_b32 v19, v[20:21], off
	s_branch .LBB108_5
.LBB108_10:
	v_mov_b32_e32 v1, v6
.LBB108_11:
	s_load_b32 s0, s[24:25], 0xc
	v_mov_b32_e32 v2, 0
	s_mov_b32 s15, 0
	s_waitcnt lgkmcnt(0)
	s_lshr_b32 s0, s0, 16
	s_delay_alu instid0(VALU_DEP_1) | instid1(SALU_CYCLE_1)
	v_mad_u64_u32 v[3:4], null, s0, s2, v[1:2]
	s_lshl_b64 s[0:1], s[14:15], 5
	s_cmp_eq_u64 s[20:21], 0
	v_add_co_u32 v0, s0, s0, v7
	s_delay_alu instid0(VALU_DEP_1) | instskip(NEXT) | instid1(VALU_DEP_3)
	v_add_co_ci_u32_e64 v1, null, s1, 0, s0
	v_mul_lo_u32 v2, v4, s18
	s_delay_alu instid0(VALU_DEP_4) | instskip(NEXT) | instid1(VALU_DEP_3)
	v_mul_lo_u32 v4, v3, s19
	v_lshlrev_b64 v[0:1], 1, v[0:1]
	s_cbranch_scc1 .LBB108_13
; %bb.12:
	v_mad_u64_u32 v[5:6], null, v3, s18, 0
	v_bfe_u32 v7, v9, 16, 1
	s_delay_alu instid0(VALU_DEP_1) | instskip(NEXT) | instid1(VALU_DEP_3)
	v_add3_u32 v7, v9, v7, 0x7fff
	v_add3_u32 v6, v6, v4, v2
	s_delay_alu instid0(VALU_DEP_2) | instskip(NEXT) | instid1(VALU_DEP_2)
	v_lshrrev_b32_e32 v7, 16, v7
	v_lshlrev_b64 v[5:6], 1, v[5:6]
	s_delay_alu instid0(VALU_DEP_1) | instskip(NEXT) | instid1(VALU_DEP_2)
	v_add_co_u32 v5, vcc_lo, s20, v5
	v_add_co_ci_u32_e32 v6, vcc_lo, s21, v6, vcc_lo
	v_cmp_o_f32_e32 vcc_lo, v9, v9
	v_cndmask_b32_e32 v7, 0x7fc0, v7, vcc_lo
	s_delay_alu instid0(VALU_DEP_4) | instskip(NEXT) | instid1(VALU_DEP_4)
	v_add_co_u32 v5, vcc_lo, v5, v0
	v_add_co_ci_u32_e32 v6, vcc_lo, v6, v1, vcc_lo
	global_store_b16 v[5:6], v7, off
.LBB108_13:
	s_cmp_eq_u64 s[22:23], 0
	s_cbranch_scc1 .LBB108_15
; %bb.14:
	v_mad_u64_u32 v[5:6], null, v3, s18, 0
	v_bfe_u32 v3, v11, 16, 1
	s_delay_alu instid0(VALU_DEP_2) | instskip(NEXT) | instid1(VALU_DEP_2)
	v_add3_u32 v6, v6, v4, v2
	v_add3_u32 v4, v11, v3, 0x7fff
	s_delay_alu instid0(VALU_DEP_2) | instskip(NEXT) | instid1(VALU_DEP_2)
	v_lshlrev_b64 v[2:3], 1, v[5:6]
	v_lshrrev_b32_e32 v4, 16, v4
	s_delay_alu instid0(VALU_DEP_2) | instskip(NEXT) | instid1(VALU_DEP_3)
	v_add_co_u32 v2, vcc_lo, s22, v2
	v_add_co_ci_u32_e32 v3, vcc_lo, s23, v3, vcc_lo
	v_cmp_o_f32_e32 vcc_lo, v11, v11
	s_delay_alu instid0(VALU_DEP_4) | instskip(NEXT) | instid1(VALU_DEP_4)
	v_cndmask_b32_e32 v4, 0x7fc0, v4, vcc_lo
	v_add_co_u32 v0, vcc_lo, v2, v0
	s_delay_alu instid0(VALU_DEP_4)
	v_add_co_ci_u32_e32 v1, vcc_lo, v3, v1, vcc_lo
	global_store_b16 v[0:1], v4, off
.LBB108_15:
	s_nop 0
	s_sendmsg sendmsg(MSG_DEALLOC_VGPRS)
	s_endpgm
	.section	.rodata,"a",@progbits
	.p2align	6, 0x0
	.amdhsa_kernel _ZN2at6native12_GLOBAL__N_135GammaBetaBackwardCUDAKernelTemplateIN3c108BFloat16EfLj32ELj1ELj8ELb1ELb1ELb0EEEvllPKT_S7_PKT0_SA_PS5_SB_
		.amdhsa_group_segment_fixed_size 0
		.amdhsa_private_segment_fixed_size 0
		.amdhsa_kernarg_size 320
		.amdhsa_user_sgpr_count 14
		.amdhsa_user_sgpr_dispatch_ptr 0
		.amdhsa_user_sgpr_queue_ptr 0
		.amdhsa_user_sgpr_kernarg_segment_ptr 1
		.amdhsa_user_sgpr_dispatch_id 0
		.amdhsa_user_sgpr_private_segment_size 0
		.amdhsa_wavefront_size32 1
		.amdhsa_uses_dynamic_stack 0
		.amdhsa_enable_private_segment 0
		.amdhsa_system_sgpr_workgroup_id_x 1
		.amdhsa_system_sgpr_workgroup_id_y 1
		.amdhsa_system_sgpr_workgroup_id_z 0
		.amdhsa_system_sgpr_workgroup_info 0
		.amdhsa_system_vgpr_workitem_id 1
		.amdhsa_next_free_vgpr 50
		.amdhsa_next_free_sgpr 36
		.amdhsa_reserve_vcc 1
		.amdhsa_float_round_mode_32 0
		.amdhsa_float_round_mode_16_64 0
		.amdhsa_float_denorm_mode_32 3
		.amdhsa_float_denorm_mode_16_64 3
		.amdhsa_dx10_clamp 1
		.amdhsa_ieee_mode 1
		.amdhsa_fp16_overflow 0
		.amdhsa_workgroup_processor_mode 1
		.amdhsa_memory_ordered 1
		.amdhsa_forward_progress 0
		.amdhsa_shared_vgpr_count 0
		.amdhsa_exception_fp_ieee_invalid_op 0
		.amdhsa_exception_fp_denorm_src 0
		.amdhsa_exception_fp_ieee_div_zero 0
		.amdhsa_exception_fp_ieee_overflow 0
		.amdhsa_exception_fp_ieee_underflow 0
		.amdhsa_exception_fp_ieee_inexact 0
		.amdhsa_exception_int_div_zero 0
	.end_amdhsa_kernel
	.section	.text._ZN2at6native12_GLOBAL__N_135GammaBetaBackwardCUDAKernelTemplateIN3c108BFloat16EfLj32ELj1ELj8ELb1ELb1ELb0EEEvllPKT_S7_PKT0_SA_PS5_SB_,"axG",@progbits,_ZN2at6native12_GLOBAL__N_135GammaBetaBackwardCUDAKernelTemplateIN3c108BFloat16EfLj32ELj1ELj8ELb1ELb1ELb0EEEvllPKT_S7_PKT0_SA_PS5_SB_,comdat
.Lfunc_end108:
	.size	_ZN2at6native12_GLOBAL__N_135GammaBetaBackwardCUDAKernelTemplateIN3c108BFloat16EfLj32ELj1ELj8ELb1ELb1ELb0EEEvllPKT_S7_PKT0_SA_PS5_SB_, .Lfunc_end108-_ZN2at6native12_GLOBAL__N_135GammaBetaBackwardCUDAKernelTemplateIN3c108BFloat16EfLj32ELj1ELj8ELb1ELb1ELb0EEEvllPKT_S7_PKT0_SA_PS5_SB_
                                        ; -- End function
	.section	.AMDGPU.csdata,"",@progbits
; Kernel info:
; codeLenInByte = 1688
; NumSgprs: 38
; NumVgprs: 50
; ScratchSize: 0
; MemoryBound: 0
; FloatMode: 240
; IeeeMode: 1
; LDSByteSize: 0 bytes/workgroup (compile time only)
; SGPRBlocks: 4
; VGPRBlocks: 6
; NumSGPRsForWavesPerEU: 38
; NumVGPRsForWavesPerEU: 50
; Occupancy: 16
; WaveLimiterHint : 0
; COMPUTE_PGM_RSRC2:SCRATCH_EN: 0
; COMPUTE_PGM_RSRC2:USER_SGPR: 14
; COMPUTE_PGM_RSRC2:TRAP_HANDLER: 0
; COMPUTE_PGM_RSRC2:TGID_X_EN: 1
; COMPUTE_PGM_RSRC2:TGID_Y_EN: 1
; COMPUTE_PGM_RSRC2:TGID_Z_EN: 0
; COMPUTE_PGM_RSRC2:TIDIG_COMP_CNT: 1
	.section	.text._ZN2at6native12_GLOBAL__N_135GammaBetaBackwardCUDAKernelTemplateIN3c108BFloat16EfLj32ELj1ELj8ELb1ELb0ELb0EEEvllPKT_S7_PKT0_SA_PS5_SB_,"axG",@progbits,_ZN2at6native12_GLOBAL__N_135GammaBetaBackwardCUDAKernelTemplateIN3c108BFloat16EfLj32ELj1ELj8ELb1ELb0ELb0EEEvllPKT_S7_PKT0_SA_PS5_SB_,comdat
	.globl	_ZN2at6native12_GLOBAL__N_135GammaBetaBackwardCUDAKernelTemplateIN3c108BFloat16EfLj32ELj1ELj8ELb1ELb0ELb0EEEvllPKT_S7_PKT0_SA_PS5_SB_ ; -- Begin function _ZN2at6native12_GLOBAL__N_135GammaBetaBackwardCUDAKernelTemplateIN3c108BFloat16EfLj32ELj1ELj8ELb1ELb0ELb0EEEvllPKT_S7_PKT0_SA_PS5_SB_
	.p2align	8
	.type	_ZN2at6native12_GLOBAL__N_135GammaBetaBackwardCUDAKernelTemplateIN3c108BFloat16EfLj32ELj1ELj8ELb1ELb0ELb0EEEvllPKT_S7_PKT0_SA_PS5_SB_,@function
_ZN2at6native12_GLOBAL__N_135GammaBetaBackwardCUDAKernelTemplateIN3c108BFloat16EfLj32ELj1ELj8ELb1ELb0ELb0EEEvllPKT_S7_PKT0_SA_PS5_SB_: ; @_ZN2at6native12_GLOBAL__N_135GammaBetaBackwardCUDAKernelTemplateIN3c108BFloat16EfLj32ELj1ELj8ELb1ELb0ELb0EEEvllPKT_S7_PKT0_SA_PS5_SB_
; %bb.0:
	s_clause 0x1
	s_load_b256 s[16:23], s[0:1], 0x0
	s_load_b128 s[36:39], s[0:1], 0x20
	s_mov_b32 s2, s15
	s_mov_b32 s5, 0
	s_lshl_b32 s12, s2, 3
	s_mov_b32 s13, s5
	s_lshl_b32 s15, s14, 5
	s_delay_alu instid0(SALU_CYCLE_1) | instskip(SKIP_3) | instid1(VALU_DEP_2)
	s_or_b32 s4, s15, 31
	s_waitcnt lgkmcnt(0)
	v_cmp_lt_i64_e64 s33, s[12:13], s[16:17]
	v_cmp_ge_i64_e64 s3, s[4:5], s[18:19]
	v_cndmask_b32_e64 v1, 0, 1, s33
	s_delay_alu instid0(VALU_DEP_2) | instskip(NEXT) | instid1(VALU_DEP_1)
	s_and_b32 vcc_lo, exec_lo, s3
	v_cmp_ne_u32_e64 s3, 1, v1
	s_cbranch_vccz .LBB109_49
; %bb.1:
	v_dual_mov_b32 v6, 0 :: v_dual_mov_b32 v61, 0
	s_delay_alu instid0(VALU_DEP_2)
	s_and_b32 vcc_lo, exec_lo, s3
	s_cbranch_vccnz .LBB109_50
; %bb.2:
	v_bfe_u32 v29, v0, 10, 10
	s_load_b32 s4, s[0:1], 0x44
	v_dual_mov_b32 v2, 0 :: v_dual_and_b32 v31, 0x3ff, v0
	s_add_u32 s6, s0, 64
	s_delay_alu instid0(VALU_DEP_2) | instskip(NEXT) | instid1(VALU_DEP_2)
	v_dual_mov_b32 v61, 0 :: v_dual_lshlrev_b32 v30, 3, v29
	v_dual_mov_b32 v32, v2 :: v_dual_add_nc_u32 v1, s15, v31
	s_addc_u32 s7, s1, 0
	s_delay_alu instid0(VALU_DEP_2) | instskip(NEXT) | instid1(VALU_DEP_1)
	v_add_co_u32 v9, s3, v30, s12
	v_add_co_ci_u32_e64 v10, null, 0, 0, s3
	s_delay_alu instid0(VALU_DEP_3) | instskip(NEXT) | instid1(VALU_DEP_3)
	v_cmp_gt_i64_e64 s3, s[18:19], v[1:2]
	v_add_co_u32 v5, vcc_lo, v9, 7
	s_delay_alu instid0(VALU_DEP_3) | instskip(SKIP_1) | instid1(VALU_DEP_3)
	v_add_co_ci_u32_e32 v3, vcc_lo, 0, v10, vcc_lo
	v_add_co_u32 v8, vcc_lo, v9, 6
	v_mul_lo_u32 v6, s19, v5
	s_delay_alu instid0(VALU_DEP_3)
	v_mul_lo_u32 v7, s18, v3
	v_mad_u64_u32 v[3:4], null, s18, v5, 0
	v_add_co_ci_u32_e32 v5, vcc_lo, 0, v10, vcc_lo
	v_lshlrev_b64 v[25:26], 1, v[1:2]
	v_mul_lo_u32 v1, s19, v8
	s_waitcnt lgkmcnt(0)
	s_lshl_b32 s40, s4, 3
	v_mov_b32_e32 v66, 0
	v_add3_u32 v4, v4, v7, v6
	v_mul_lo_u32 v7, s18, v5
	v_mad_u64_u32 v[5:6], null, s18, v8, 0
	s_mul_i32 s4, s19, s40
	s_delay_alu instid0(VALU_DEP_3) | instskip(SKIP_4) | instid1(VALU_DEP_2)
	v_lshlrev_b64 v[3:4], 1, v[3:4]
	s_mul_hi_u32 s8, s18, s40
	s_mul_i32 s10, s18, s40
	s_add_i32 s11, s8, s4
	s_mov_b32 s24, 0
	v_add3_u32 v6, v6, v7, v1
	v_add_co_u32 v33, vcc_lo, s20, v3
	v_add_co_ci_u32_e32 v34, vcc_lo, s21, v4, vcc_lo
	v_add_co_u32 v1, vcc_lo, v9, 5
	v_add_co_u32 v35, s4, s22, v3
	s_delay_alu instid0(VALU_DEP_1) | instskip(SKIP_4) | instid1(VALU_DEP_3)
	v_add_co_ci_u32_e64 v36, s4, s23, v4, s4
	v_lshlrev_b64 v[3:4], 1, v[5:6]
	v_add_co_ci_u32_e32 v5, vcc_lo, 0, v10, vcc_lo
	v_add_co_u32 v12, vcc_lo, v9, 4
	v_mul_lo_u32 v11, s19, v1
	v_mul_lo_u32 v13, s18, v5
	v_mad_u64_u32 v[5:6], null, s18, v1, 0
	v_add_co_ci_u32_e32 v7, vcc_lo, 0, v10, vcc_lo
	v_mul_lo_u32 v1, s19, v12
	v_add_co_u32 v37, vcc_lo, s20, v3
	s_delay_alu instid0(VALU_DEP_3)
	v_mul_lo_u32 v14, s18, v7
	v_mad_u64_u32 v[7:8], null, s18, v12, 0
	v_add3_u32 v6, v6, v13, v11
	v_add_co_ci_u32_e32 v38, vcc_lo, s21, v4, vcc_lo
	v_add_co_u32 v39, vcc_lo, s22, v3
	v_add_co_ci_u32_e32 v40, vcc_lo, s23, v4, vcc_lo
	s_delay_alu instid0(VALU_DEP_4) | instskip(SKIP_3) | instid1(VALU_DEP_4)
	v_lshlrev_b64 v[3:4], 1, v[5:6]
	v_add3_u32 v8, v8, v14, v1
	v_add_co_u32 v1, vcc_lo, v9, 3
	v_add_co_ci_u32_e32 v11, vcc_lo, 0, v10, vcc_lo
	v_add_co_u32 v41, vcc_lo, s20, v3
	s_delay_alu instid0(VALU_DEP_4)
	v_lshlrev_b64 v[5:6], 1, v[7:8]
	v_add_co_ci_u32_e32 v42, vcc_lo, s21, v4, vcc_lo
	v_mul_lo_u32 v12, s19, v1
	v_mul_lo_u32 v11, s18, v11
	v_mad_u64_u32 v[7:8], null, s18, v1, 0
	v_add_co_u32 v43, vcc_lo, s22, v3
	v_add_co_ci_u32_e32 v44, vcc_lo, s23, v4, vcc_lo
	v_add_co_u32 v45, vcc_lo, s20, v5
	v_add_co_ci_u32_e32 v46, vcc_lo, s21, v6, vcc_lo
	v_add_co_u32 v1, vcc_lo, v9, 2
	v_add3_u32 v8, v8, v11, v12
	v_add_co_ci_u32_e32 v11, vcc_lo, 0, v10, vcc_lo
	v_add_co_u32 v47, vcc_lo, s22, v5
	v_add_co_ci_u32_e32 v48, vcc_lo, s23, v6, vcc_lo
	v_mul_lo_u32 v12, s19, v1
	s_delay_alu instid0(VALU_DEP_4)
	v_mul_lo_u32 v11, s18, v11
	v_mad_u64_u32 v[5:6], null, s18, v1, 0
	v_lshlrev_b64 v[3:4], 1, v[7:8]
	v_mul_lo_u32 v1, s19, v9
	v_mul_lo_u32 v10, s18, v10
	v_mad_u64_u32 v[7:8], null, s18, v9, 0
	s_mov_b64 s[8:9], 7
	s_delay_alu instid0(VALU_DEP_4)
	v_add_co_u32 v49, vcc_lo, s20, v3
	v_add3_u32 v6, v6, v11, v12
	v_add_co_ci_u32_e32 v50, vcc_lo, s21, v4, vcc_lo
	v_add_co_u32 v51, vcc_lo, s22, v3
	v_add3_u32 v8, v8, v10, v1
	v_add_co_ci_u32_e32 v52, vcc_lo, s23, v4, vcc_lo
	v_lshlrev_b64 v[3:4], 1, v[5:6]
	v_add_co_u32 v5, vcc_lo, v7, s18
	s_delay_alu instid0(VALU_DEP_4) | instskip(SKIP_1) | instid1(VALU_DEP_3)
	v_add_co_ci_u32_e32 v6, vcc_lo, s19, v8, vcc_lo
	s_lshl_b64 s[10:11], s[10:11], 1
	v_add_co_u32 v53, vcc_lo, s20, v3
	s_delay_alu instid0(VALU_DEP_2) | instskip(SKIP_3) | instid1(VALU_DEP_4)
	v_lshlrev_b64 v[5:6], 1, v[5:6]
	v_add_co_ci_u32_e32 v54, vcc_lo, s21, v4, vcc_lo
	v_add_co_u32 v55, vcc_lo, s22, v3
	v_add_co_ci_u32_e32 v56, vcc_lo, s23, v4, vcc_lo
	v_add_co_u32 v57, vcc_lo, s20, v5
	v_lshlrev_b64 v[3:4], 1, v[7:8]
	v_add_co_ci_u32_e32 v58, vcc_lo, s21, v6, vcc_lo
	v_add_co_u32 v59, vcc_lo, s22, v5
	v_add_co_ci_u32_e32 v60, vcc_lo, s23, v6, vcc_lo
	s_delay_alu instid0(VALU_DEP_4)
	v_add_co_u32 v62, vcc_lo, s20, v3
	v_add_co_ci_u32_e32 v63, vcc_lo, s21, v4, vcc_lo
	v_add_co_u32 v64, vcc_lo, s22, v3
	v_add_co_ci_u32_e32 v65, vcc_lo, s23, v4, vcc_lo
	s_mov_b64 s[34:35], s[12:13]
.LBB109_3:                              ; =>This Inner Loop Header: Depth=1
	s_add_u32 s26, s12, s8
	s_addc_u32 s27, 0, s9
	v_add_co_u32 v27, vcc_lo, s12, v30
	v_cmp_ge_i64_e64 s4, s[26:27], s[16:17]
	v_add_co_ci_u32_e32 v28, vcc_lo, 0, v32, vcc_lo
	s_delay_alu instid0(VALU_DEP_2)
	s_and_b32 vcc_lo, exec_lo, s4
	s_cbranch_vccz .LBB109_25
; %bb.4:                                ;   in Loop: Header=BB109_3 Depth=1
	s_load_b32 s4, s[6:7], 0xc
	v_dual_mov_b32 v67, 0 :: v_dual_mov_b32 v68, 0
	s_waitcnt lgkmcnt(0)
	s_and_b32 s4, s4, 0xffff
	s_delay_alu instid0(SALU_CYCLE_1) | instskip(SKIP_1) | instid1(VALU_DEP_1)
	v_mad_u32_u24 v1, v29, s4, v31
	s_mov_b32 s4, exec_lo
	v_and_b32_e32 v1, 31, v1
	s_delay_alu instid0(VALU_DEP_1)
	v_cmpx_gt_u32_e32 8, v1
	s_cbranch_execz .LBB109_8
; %bb.5:                                ;   in Loop: Header=BB109_3 Depth=1
	v_add_co_u32 v3, vcc_lo, v27, v1
	v_add_co_ci_u32_e32 v4, vcc_lo, 0, v28, vcc_lo
	v_dual_mov_b32 v67, 0 :: v_dual_mov_b32 v68, 0
	s_mov_b32 s25, exec_lo
	s_delay_alu instid0(VALU_DEP_2)
	v_cmpx_gt_i64_e64 s[16:17], v[3:4]
	s_cbranch_execz .LBB109_7
; %bb.6:                                ;   in Loop: Header=BB109_3 Depth=1
	v_lshlrev_b64 v[3:4], 2, v[3:4]
	s_delay_alu instid0(VALU_DEP_1) | instskip(NEXT) | instid1(VALU_DEP_2)
	v_add_co_u32 v5, vcc_lo, s36, v3
	v_add_co_ci_u32_e32 v6, vcc_lo, s37, v4, vcc_lo
	v_add_co_u32 v3, vcc_lo, s38, v3
	v_add_co_ci_u32_e32 v4, vcc_lo, s39, v4, vcc_lo
	global_load_b32 v67, v[5:6], off
	global_load_b32 v68, v[3:4], off
.LBB109_7:                              ;   in Loop: Header=BB109_3 Depth=1
	s_or_b32 exec_lo, exec_lo, s25
.LBB109_8:                              ;   in Loop: Header=BB109_3 Depth=1
	s_delay_alu instid0(SALU_CYCLE_1)
	s_or_b32 exec_lo, exec_lo, s4
	s_mov_b32 s30, s24
	s_mov_b32 s31, s24
	;; [unrolled: 1-line block ×7, first 2 shown]
	v_dual_mov_b32 v9, s24 :: v_dual_mov_b32 v10, s25
	v_dual_mov_b32 v15, s30 :: v_dual_mov_b32 v16, s31
	;; [unrolled: 1-line block ×4, first 2 shown]
	v_cmp_gt_i64_e32 vcc_lo, s[16:17], v[27:28]
	s_delay_alu instid0(VALU_DEP_4) | instskip(NEXT) | instid1(VALU_DEP_3)
	v_dual_mov_b32 v24, v16 :: v_dual_mov_b32 v23, v15
	v_dual_mov_b32 v21, v13 :: v_dual_mov_b32 v22, v14
	;; [unrolled: 1-line block ×4, first 2 shown]
	s_and_b32 s25, s3, vcc_lo
	s_delay_alu instid0(SALU_CYCLE_1)
	s_and_saveexec_b32 s4, s25
	s_cbranch_execz .LBB109_10
; %bb.9:                                ;   in Loop: Header=BB109_3 Depth=1
	v_add_co_u32 v3, vcc_lo, v62, v25
	v_add_co_ci_u32_e32 v4, vcc_lo, v63, v26, vcc_lo
	v_add_co_u32 v5, vcc_lo, v64, v25
	v_add_co_ci_u32_e32 v6, vcc_lo, v65, v26, vcc_lo
	v_mov_b32_e32 v8, v2
	global_load_u16 v1, v[3:4], off
	global_load_u16 v9, v[5:6], off
	v_mov_b32_e32 v3, v2
	v_mov_b32_e32 v4, v2
	;; [unrolled: 1-line block ×6, first 2 shown]
	s_waitcnt vmcnt(1)
	v_lshlrev_b32_e32 v1, 16, v1
	s_waitcnt vmcnt(0)
	v_lshlrev_b32_e32 v9, 16, v9
	v_dual_mov_b32 v11, v2 :: v_dual_mov_b32 v24, v8
	v_dual_mov_b32 v10, v2 :: v_dual_mov_b32 v23, v7
	;; [unrolled: 1-line block ×6, first 2 shown]
	v_mov_b32_e32 v22, v6
	v_mov_b32_e32 v18, v2
.LBB109_10:                             ;   in Loop: Header=BB109_3 Depth=1
	s_or_b32 exec_lo, exec_lo, s4
	v_add_co_u32 v3, vcc_lo, v27, 1
	v_add_co_ci_u32_e32 v4, vcc_lo, 0, v28, vcc_lo
	s_delay_alu instid0(VALU_DEP_1) | instskip(SKIP_1) | instid1(SALU_CYCLE_1)
	v_cmp_gt_i64_e32 vcc_lo, s[16:17], v[3:4]
	s_and_b32 s25, s3, vcc_lo
	s_and_saveexec_b32 s4, s25
	s_cbranch_execz .LBB109_12
; %bb.11:                               ;   in Loop: Header=BB109_3 Depth=1
	v_add_co_u32 v3, vcc_lo, v57, v25
	v_add_co_ci_u32_e32 v4, vcc_lo, v58, v26, vcc_lo
	v_add_co_u32 v5, vcc_lo, v59, v25
	v_add_co_ci_u32_e32 v6, vcc_lo, v60, v26, vcc_lo
	global_load_u16 v1, v[3:4], off
	global_load_u16 v3, v[5:6], off
	s_waitcnt vmcnt(1)
	v_lshlrev_b32_e32 v18, 16, v1
	s_waitcnt vmcnt(0)
	v_lshlrev_b32_e32 v10, 16, v3
.LBB109_12:                             ;   in Loop: Header=BB109_3 Depth=1
	s_or_b32 exec_lo, exec_lo, s4
	v_add_co_u32 v3, vcc_lo, v27, 2
	v_add_co_ci_u32_e32 v4, vcc_lo, 0, v28, vcc_lo
	s_delay_alu instid0(VALU_DEP_1) | instskip(SKIP_1) | instid1(SALU_CYCLE_1)
	v_cmp_gt_i64_e32 vcc_lo, s[16:17], v[3:4]
	s_and_b32 s25, s3, vcc_lo
	s_and_saveexec_b32 s4, s25
	s_cbranch_execz .LBB109_14
; %bb.13:                               ;   in Loop: Header=BB109_3 Depth=1
	v_add_co_u32 v3, vcc_lo, v53, v25
	v_add_co_ci_u32_e32 v4, vcc_lo, v54, v26, vcc_lo
	v_add_co_u32 v5, vcc_lo, v55, v25
	v_add_co_ci_u32_e32 v6, vcc_lo, v56, v26, vcc_lo
	global_load_u16 v1, v[3:4], off
	global_load_u16 v3, v[5:6], off
	s_waitcnt vmcnt(1)
	v_lshlrev_b32_e32 v19, 16, v1
	s_waitcnt vmcnt(0)
	v_lshlrev_b32_e32 v11, 16, v3
.LBB109_14:                             ;   in Loop: Header=BB109_3 Depth=1
	;; [unrolled: 20-line block ×7, first 2 shown]
	s_or_b32 exec_lo, exec_lo, s4
	s_waitcnt vmcnt(1)
	ds_bpermute_b32 v1, v2, v67
	ds_bpermute_b32 v3, v2, v67 offset:4
	ds_bpermute_b32 v4, v2, v67 offset:8
	s_waitcnt vmcnt(0)
	ds_bpermute_b32 v5, v2, v68
	ds_bpermute_b32 v7, v2, v67 offset:12
	ds_bpermute_b32 v8, v2, v68 offset:4
	;; [unrolled: 1-line block ×6, first 2 shown]
	s_waitcnt lgkmcnt(9)
	v_sub_f32_e32 v1, v9, v1
	s_waitcnt lgkmcnt(7)
	v_dual_sub_f32 v3, v10, v3 :: v_dual_sub_f32 v4, v11, v4
	v_add_f32_e32 v9, v61, v17
	ds_bpermute_b32 v10, v2, v68 offset:16
	ds_bpermute_b32 v11, v2, v68 offset:24
	v_dual_mul_f32 v4, v19, v4 :: v_dual_mul_f32 v3, v18, v3
	v_mul_f32_e32 v1, v17, v1
	ds_bpermute_b32 v17, v2, v67 offset:24
	s_waitcnt lgkmcnt(9)
	v_fma_f32 v6, v1, v5, v66
	ds_bpermute_b32 v5, v2, v68 offset:20
	ds_bpermute_b32 v1, v2, v68 offset:28
	s_waitcnt lgkmcnt(9)
	v_fmac_f32_e32 v6, v3, v8
	s_waitcnt lgkmcnt(8)
	v_dual_sub_f32 v8, v13, v69 :: v_dual_sub_f32 v7, v12, v7
	s_waitcnt lgkmcnt(7)
	s_delay_alu instid0(VALU_DEP_2) | instskip(NEXT) | instid1(VALU_DEP_2)
	v_fmac_f32_e32 v6, v4, v70
	v_dual_mul_f32 v8, v21, v8 :: v_dual_mul_f32 v7, v20, v7
	v_add_f32_e32 v3, v18, v9
	s_waitcnt lgkmcnt(5)
	s_delay_alu instid0(VALU_DEP_2) | instskip(NEXT) | instid1(VALU_DEP_2)
	v_dual_sub_f32 v9, v14, v72 :: v_dual_fmac_f32 v6, v7, v71
	v_add_f32_e32 v4, v19, v3
	ds_bpermute_b32 v3, v2, v67 offset:28
	s_waitcnt lgkmcnt(3)
	v_sub_f32_e32 v7, v15, v17
	v_dual_mul_f32 v9, v22, v9 :: v_dual_fmac_f32 v6, v8, v10
	s_delay_alu instid0(VALU_DEP_2) | instskip(SKIP_1) | instid1(VALU_DEP_2)
	v_dual_add_f32 v4, v20, v4 :: v_dual_mul_f32 v7, v23, v7
	s_waitcnt lgkmcnt(2)
	v_fmac_f32_e32 v6, v9, v5
	s_delay_alu instid0(VALU_DEP_2) | instskip(NEXT) | instid1(VALU_DEP_2)
	v_add_f32_e32 v4, v21, v4
	v_fmac_f32_e32 v6, v7, v11
	s_delay_alu instid0(VALU_DEP_2) | instskip(NEXT) | instid1(VALU_DEP_1)
	v_add_f32_e32 v4, v22, v4
	v_add_f32_e32 v4, v23, v4
	s_branch .LBB109_40
.LBB109_25:                             ;   in Loop: Header=BB109_3 Depth=1
                                        ; implicit-def: $vgpr1
                                        ; implicit-def: $vgpr9_vgpr10_vgpr11_vgpr12_vgpr13_vgpr14_vgpr15_vgpr16
                                        ; implicit-def: $vgpr17_vgpr18_vgpr19_vgpr20_vgpr21_vgpr22_vgpr23_vgpr24
                                        ; implicit-def: $vgpr3
                                        ; implicit-def: $vgpr6
                                        ; implicit-def: $vgpr4
	s_cbranch_execz .LBB109_40
; %bb.26:                               ;   in Loop: Header=BB109_3 Depth=1
	s_load_b32 s4, s[6:7], 0x0
	v_dual_mov_b32 v67, 0 :: v_dual_mov_b32 v68, 0
	s_waitcnt lgkmcnt(0)
	s_cmp_lt_u32 s14, s4
	s_cselect_b32 s4, 12, 18
	s_delay_alu instid0(SALU_CYCLE_1)
	s_add_u32 s26, s6, s4
	s_addc_u32 s27, s7, 0
	s_mov_b32 s4, exec_lo
	global_load_u16 v1, v2, s[26:27]
	s_waitcnt vmcnt(0)
	v_mad_u32_u24 v1, v29, v1, v31
	s_delay_alu instid0(VALU_DEP_1) | instskip(NEXT) | instid1(VALU_DEP_1)
	v_and_b32_e32 v1, 31, v1
	v_cmpx_gt_u32_e32 8, v1
	s_cbranch_execz .LBB109_30
; %bb.27:                               ;   in Loop: Header=BB109_3 Depth=1
	v_add_co_u32 v3, vcc_lo, v27, v1
	v_add_co_ci_u32_e32 v4, vcc_lo, 0, v28, vcc_lo
	v_dual_mov_b32 v67, 0 :: v_dual_mov_b32 v68, 0
	s_mov_b32 s25, exec_lo
	s_delay_alu instid0(VALU_DEP_2)
	v_cmpx_gt_i64_e64 s[16:17], v[3:4]
	s_cbranch_execz .LBB109_29
; %bb.28:                               ;   in Loop: Header=BB109_3 Depth=1
	v_lshlrev_b64 v[3:4], 2, v[3:4]
	s_delay_alu instid0(VALU_DEP_1) | instskip(NEXT) | instid1(VALU_DEP_2)
	v_add_co_u32 v5, vcc_lo, s36, v3
	v_add_co_ci_u32_e32 v6, vcc_lo, s37, v4, vcc_lo
	v_add_co_u32 v3, vcc_lo, s38, v3
	v_add_co_ci_u32_e32 v4, vcc_lo, s39, v4, vcc_lo
	global_load_b32 v67, v[5:6], off
	global_load_b32 v68, v[3:4], off
.LBB109_29:                             ;   in Loop: Header=BB109_3 Depth=1
	s_or_b32 exec_lo, exec_lo, s25
.LBB109_30:                             ;   in Loop: Header=BB109_3 Depth=1
	s_delay_alu instid0(SALU_CYCLE_1)
	s_or_b32 exec_lo, exec_lo, s4
	s_mov_b32 s30, s24
	s_mov_b32 s31, s24
	;; [unrolled: 1-line block ×7, first 2 shown]
	v_dual_mov_b32 v9, s24 :: v_dual_mov_b32 v10, s25
	v_dual_mov_b32 v15, s30 :: v_dual_mov_b32 v16, s31
	;; [unrolled: 1-line block ×4, first 2 shown]
	s_delay_alu instid0(VALU_DEP_3) | instskip(NEXT) | instid1(VALU_DEP_3)
	v_dual_mov_b32 v24, v16 :: v_dual_mov_b32 v23, v15
	v_dual_mov_b32 v20, v12 :: v_dual_mov_b32 v19, v11
	s_delay_alu instid0(VALU_DEP_3)
	v_dual_mov_b32 v22, v14 :: v_dual_mov_b32 v21, v13
	v_dual_mov_b32 v18, v10 :: v_dual_mov_b32 v17, v9
	s_and_saveexec_b32 s4, s3
	s_cbranch_execnz .LBB109_42
; %bb.31:                               ;   in Loop: Header=BB109_3 Depth=1
	s_or_b32 exec_lo, exec_lo, s4
	s_and_saveexec_b32 s4, s3
	s_cbranch_execnz .LBB109_43
.LBB109_32:                             ;   in Loop: Header=BB109_3 Depth=1
	s_or_b32 exec_lo, exec_lo, s4
	s_and_saveexec_b32 s4, s3
	s_cbranch_execnz .LBB109_44
.LBB109_33:                             ;   in Loop: Header=BB109_3 Depth=1
	s_or_b32 exec_lo, exec_lo, s4
	s_and_saveexec_b32 s4, s3
	s_cbranch_execnz .LBB109_45
.LBB109_34:                             ;   in Loop: Header=BB109_3 Depth=1
	s_or_b32 exec_lo, exec_lo, s4
	s_and_saveexec_b32 s4, s3
	s_cbranch_execnz .LBB109_46
.LBB109_35:                             ;   in Loop: Header=BB109_3 Depth=1
	s_or_b32 exec_lo, exec_lo, s4
	s_and_saveexec_b32 s4, s3
	s_cbranch_execnz .LBB109_47
.LBB109_36:                             ;   in Loop: Header=BB109_3 Depth=1
	s_or_b32 exec_lo, exec_lo, s4
	s_and_saveexec_b32 s4, s3
	s_cbranch_execnz .LBB109_48
.LBB109_37:                             ;   in Loop: Header=BB109_3 Depth=1
	s_or_b32 exec_lo, exec_lo, s4
	s_and_saveexec_b32 s4, s3
	s_cbranch_execz .LBB109_39
.LBB109_38:                             ;   in Loop: Header=BB109_3 Depth=1
	v_add_co_u32 v3, vcc_lo, v33, v25
	v_add_co_ci_u32_e32 v4, vcc_lo, v34, v26, vcc_lo
	v_add_co_u32 v5, vcc_lo, v35, v25
	v_add_co_ci_u32_e32 v6, vcc_lo, v36, v26, vcc_lo
	global_load_u16 v1, v[3:4], off
	global_load_u16 v3, v[5:6], off
	s_waitcnt vmcnt(1)
	v_lshlrev_b32_e32 v24, 16, v1
	s_waitcnt vmcnt(0)
	v_lshlrev_b32_e32 v16, 16, v3
.LBB109_39:                             ;   in Loop: Header=BB109_3 Depth=1
	s_or_b32 exec_lo, exec_lo, s4
	s_waitcnt vmcnt(1)
	ds_bpermute_b32 v1, v2, v67
	ds_bpermute_b32 v3, v2, v67 offset:4
	ds_bpermute_b32 v4, v2, v67 offset:8
	s_waitcnt vmcnt(0)
	ds_bpermute_b32 v5, v2, v68
	ds_bpermute_b32 v6, v2, v67 offset:12
	ds_bpermute_b32 v7, v2, v68 offset:4
	;; [unrolled: 1-line block ×5, first 2 shown]
	s_waitcnt lgkmcnt(8)
	v_sub_f32_e32 v1, v9, v1
	s_waitcnt lgkmcnt(7)
	v_dual_sub_f32 v3, v10, v3 :: v_dual_add_f32 v10, v61, v17
	s_waitcnt lgkmcnt(6)
	v_sub_f32_e32 v4, v11, v4
	ds_bpermute_b32 v9, v2, v68 offset:12
	v_mul_f32_e32 v1, v17, v1
	ds_bpermute_b32 v17, v2, v68 offset:16
	ds_bpermute_b32 v11, v2, v68 offset:20
	v_dual_mul_f32 v4, v19, v4 :: v_dual_mul_f32 v3, v18, v3
	s_waitcnt lgkmcnt(8)
	v_fmac_f32_e32 v66, v1, v5
	ds_bpermute_b32 v5, v2, v67 offset:24
	s_waitcnt lgkmcnt(6)
	v_dual_sub_f32 v1, v12, v6 :: v_dual_sub_f32 v6, v13, v8
	s_waitcnt lgkmcnt(4)
	v_sub_f32_e32 v8, v14, v28
	v_dual_fmac_f32 v66, v3, v7 :: v_dual_add_f32 v3, v18, v10
	s_delay_alu instid0(VALU_DEP_3) | instskip(NEXT) | instid1(VALU_DEP_2)
	v_dual_mul_f32 v1, v20, v1 :: v_dual_mul_f32 v6, v21, v6
	v_fmac_f32_e32 v66, v4, v27
	ds_bpermute_b32 v4, v2, v68 offset:24
	v_add_f32_e32 v7, v19, v3
	ds_bpermute_b32 v3, v2, v67 offset:28
	v_add_f32_e32 v7, v20, v7
	s_waitcnt lgkmcnt(2)
	v_sub_f32_e32 v5, v15, v5
	v_fmac_f32_e32 v66, v1, v9
	v_mul_f32_e32 v8, v22, v8
	ds_bpermute_b32 v1, v2, v68 offset:28
	v_mul_f32_e32 v5, v23, v5
	v_fmac_f32_e32 v66, v6, v17
	v_add_f32_e32 v6, v21, v7
	s_delay_alu instid0(VALU_DEP_2) | instskip(NEXT) | instid1(VALU_DEP_2)
	v_fmac_f32_e32 v66, v8, v11
	v_add_f32_e32 v6, v22, v6
	s_waitcnt lgkmcnt(2)
	s_delay_alu instid0(VALU_DEP_2) | instskip(NEXT) | instid1(VALU_DEP_2)
	v_fmac_f32_e32 v66, v5, v4
	v_add_f32_e32 v4, v23, v6
	s_delay_alu instid0(VALU_DEP_2)
	v_mov_b32_e32 v6, v66
.LBB109_40:                             ;   in Loop: Header=BB109_3 Depth=1
	v_add_co_u32 v33, vcc_lo, v33, s10
	v_add_co_ci_u32_e32 v34, vcc_lo, s11, v34, vcc_lo
	v_add_co_u32 v35, vcc_lo, v35, s10
	v_add_co_ci_u32_e32 v36, vcc_lo, s11, v36, vcc_lo
	;; [unrolled: 2-line block ×13, first 2 shown]
	v_add_co_u32 v59, vcc_lo, v59, s10
	s_waitcnt lgkmcnt(0)
	v_sub_f32_e32 v3, v16, v3
	v_add_co_ci_u32_e32 v60, vcc_lo, s11, v60, vcc_lo
	v_add_co_u32 v30, vcc_lo, v30, s40
	s_add_u32 s34, s34, s40
	v_add_co_ci_u32_e32 v32, vcc_lo, 0, v32, vcc_lo
	v_mul_f32_e32 v3, v24, v3
	s_addc_u32 s35, s35, 0
	v_add_co_u32 v62, vcc_lo, v62, s10
	v_add_co_ci_u32_e32 v63, vcc_lo, s11, v63, vcc_lo
	v_cmp_lt_i64_e64 s4, s[34:35], s[16:17]
	v_add_co_u32 v64, vcc_lo, v64, s10
	v_dual_add_f32 v61, v4, v24 :: v_dual_fmac_f32 v6, v3, v1
	v_add_co_ci_u32_e32 v65, vcc_lo, s11, v65, vcc_lo
	s_add_u32 s8, s8, s40
	s_addc_u32 s9, s9, 0
	s_and_b32 vcc_lo, exec_lo, s4
	s_cbranch_vccz .LBB109_50
; %bb.41:                               ;   in Loop: Header=BB109_3 Depth=1
	v_mov_b32_e32 v66, v6
	s_branch .LBB109_3
.LBB109_42:                             ;   in Loop: Header=BB109_3 Depth=1
	v_add_co_u32 v3, vcc_lo, v62, v25
	v_add_co_ci_u32_e32 v4, vcc_lo, v63, v26, vcc_lo
	v_add_co_u32 v5, vcc_lo, v64, v25
	v_add_co_ci_u32_e32 v6, vcc_lo, v65, v26, vcc_lo
	v_mov_b32_e32 v8, v2
	global_load_u16 v1, v[3:4], off
	global_load_u16 v9, v[5:6], off
	v_mov_b32_e32 v3, v2
	v_mov_b32_e32 v4, v2
	;; [unrolled: 1-line block ×6, first 2 shown]
	s_waitcnt vmcnt(1)
	v_lshlrev_b32_e32 v1, 16, v1
	s_waitcnt vmcnt(0)
	v_lshlrev_b32_e32 v9, 16, v9
	v_dual_mov_b32 v11, v2 :: v_dual_mov_b32 v24, v8
	v_dual_mov_b32 v10, v2 :: v_dual_mov_b32 v23, v7
	;; [unrolled: 1-line block ×6, first 2 shown]
	v_mov_b32_e32 v22, v6
	v_mov_b32_e32 v18, v2
	s_or_b32 exec_lo, exec_lo, s4
	s_and_saveexec_b32 s4, s3
	s_cbranch_execz .LBB109_32
.LBB109_43:                             ;   in Loop: Header=BB109_3 Depth=1
	v_add_co_u32 v3, vcc_lo, v57, v25
	v_add_co_ci_u32_e32 v4, vcc_lo, v58, v26, vcc_lo
	v_add_co_u32 v5, vcc_lo, v59, v25
	v_add_co_ci_u32_e32 v6, vcc_lo, v60, v26, vcc_lo
	global_load_u16 v1, v[3:4], off
	global_load_u16 v3, v[5:6], off
	s_waitcnt vmcnt(1)
	v_lshlrev_b32_e32 v18, 16, v1
	s_waitcnt vmcnt(0)
	v_lshlrev_b32_e32 v10, 16, v3
	s_or_b32 exec_lo, exec_lo, s4
	s_and_saveexec_b32 s4, s3
	s_cbranch_execz .LBB109_33
.LBB109_44:                             ;   in Loop: Header=BB109_3 Depth=1
	v_add_co_u32 v3, vcc_lo, v53, v25
	v_add_co_ci_u32_e32 v4, vcc_lo, v54, v26, vcc_lo
	v_add_co_u32 v5, vcc_lo, v55, v25
	v_add_co_ci_u32_e32 v6, vcc_lo, v56, v26, vcc_lo
	global_load_u16 v1, v[3:4], off
	global_load_u16 v3, v[5:6], off
	s_waitcnt vmcnt(1)
	v_lshlrev_b32_e32 v19, 16, v1
	s_waitcnt vmcnt(0)
	v_lshlrev_b32_e32 v11, 16, v3
	s_or_b32 exec_lo, exec_lo, s4
	s_and_saveexec_b32 s4, s3
	s_cbranch_execz .LBB109_34
.LBB109_45:                             ;   in Loop: Header=BB109_3 Depth=1
	v_add_co_u32 v3, vcc_lo, v49, v25
	v_add_co_ci_u32_e32 v4, vcc_lo, v50, v26, vcc_lo
	v_add_co_u32 v5, vcc_lo, v51, v25
	v_add_co_ci_u32_e32 v6, vcc_lo, v52, v26, vcc_lo
	global_load_u16 v1, v[3:4], off
	global_load_u16 v3, v[5:6], off
	s_waitcnt vmcnt(1)
	v_lshlrev_b32_e32 v20, 16, v1
	s_waitcnt vmcnt(0)
	v_lshlrev_b32_e32 v12, 16, v3
	s_or_b32 exec_lo, exec_lo, s4
	s_and_saveexec_b32 s4, s3
	s_cbranch_execz .LBB109_35
.LBB109_46:                             ;   in Loop: Header=BB109_3 Depth=1
	v_add_co_u32 v3, vcc_lo, v45, v25
	v_add_co_ci_u32_e32 v4, vcc_lo, v46, v26, vcc_lo
	v_add_co_u32 v5, vcc_lo, v47, v25
	v_add_co_ci_u32_e32 v6, vcc_lo, v48, v26, vcc_lo
	global_load_u16 v1, v[3:4], off
	global_load_u16 v3, v[5:6], off
	s_waitcnt vmcnt(1)
	v_lshlrev_b32_e32 v21, 16, v1
	s_waitcnt vmcnt(0)
	v_lshlrev_b32_e32 v13, 16, v3
	s_or_b32 exec_lo, exec_lo, s4
	s_and_saveexec_b32 s4, s3
	s_cbranch_execz .LBB109_36
.LBB109_47:                             ;   in Loop: Header=BB109_3 Depth=1
	v_add_co_u32 v3, vcc_lo, v41, v25
	v_add_co_ci_u32_e32 v4, vcc_lo, v42, v26, vcc_lo
	v_add_co_u32 v5, vcc_lo, v43, v25
	v_add_co_ci_u32_e32 v6, vcc_lo, v44, v26, vcc_lo
	global_load_u16 v1, v[3:4], off
	global_load_u16 v3, v[5:6], off
	s_waitcnt vmcnt(1)
	v_lshlrev_b32_e32 v22, 16, v1
	s_waitcnt vmcnt(0)
	v_lshlrev_b32_e32 v14, 16, v3
	s_or_b32 exec_lo, exec_lo, s4
	s_and_saveexec_b32 s4, s3
	s_cbranch_execz .LBB109_37
.LBB109_48:                             ;   in Loop: Header=BB109_3 Depth=1
	v_add_co_u32 v3, vcc_lo, v37, v25
	v_add_co_ci_u32_e32 v4, vcc_lo, v38, v26, vcc_lo
	v_add_co_u32 v5, vcc_lo, v39, v25
	v_add_co_ci_u32_e32 v6, vcc_lo, v40, v26, vcc_lo
	global_load_u16 v1, v[3:4], off
	global_load_u16 v3, v[5:6], off
	s_waitcnt vmcnt(1)
	v_lshlrev_b32_e32 v23, 16, v1
	s_waitcnt vmcnt(0)
	v_lshlrev_b32_e32 v15, 16, v3
	s_or_b32 exec_lo, exec_lo, s4
	s_and_saveexec_b32 s4, s3
	s_cbranch_execnz .LBB109_38
	s_branch .LBB109_39
.LBB109_49:
	s_mov_b32 s5, -1
                                        ; implicit-def: $vgpr6
                                        ; implicit-def: $vgpr61
.LBB109_50:
	s_delay_alu instid0(SALU_CYCLE_1)
	s_and_not1_b32 vcc_lo, exec_lo, s5
	s_cbranch_vccnz .LBB109_83
; %bb.51:
	v_dual_mov_b32 v6, 0 :: v_dual_mov_b32 v61, 0
	s_and_not1_b32 vcc_lo, exec_lo, s33
	s_mov_b32 s4, 0
	s_cbranch_vccnz .LBB109_83
; %bb.52:
	v_bfe_u32 v57, v0, 10, 10
	v_mov_b32_e32 v2, 0
	s_add_u32 s24, s0, 64
	s_addc_u32 s25, s1, 0
	s_lshl_b64 s[6:7], s[12:13], 1
	v_lshlrev_b32_e32 v3, 4, v57
	s_load_b32 s3, s[0:1], 0x44
	v_dual_mov_b32 v95, 0 :: v_dual_and_b32 v58, 0x3ff, v0
	v_mov_b32_e32 v60, v2
	s_delay_alu instid0(VALU_DEP_3) | instskip(NEXT) | instid1(VALU_DEP_1)
	v_add_co_u32 v3, s5, v3, s6
	v_add_co_ci_u32_e64 v4, null, 0, s7, s5
	s_delay_alu instid0(VALU_DEP_4) | instskip(NEXT) | instid1(VALU_DEP_3)
	v_add_nc_u32_e32 v1, s15, v58
	v_add_co_u32 v7, vcc_lo, v3, 2
	s_delay_alu instid0(VALU_DEP_3) | instskip(NEXT) | instid1(VALU_DEP_3)
	v_add_co_ci_u32_e32 v5, vcc_lo, 0, v4, vcc_lo
	v_lshlrev_b64 v[27:28], 1, v[1:2]
	v_add_co_u32 v1, vcc_lo, v3, 4
	s_delay_alu instid0(VALU_DEP_3) | instskip(SKIP_3) | instid1(VALU_DEP_3)
	v_mul_lo_u32 v8, s18, v5
	v_add_co_ci_u32_e32 v5, vcc_lo, 0, v4, vcc_lo
	v_add_co_u32 v11, vcc_lo, v3, 6
	v_dual_mov_b32 v94, 0 :: v_dual_lshlrev_b32 v59, 3, v57
	v_mul_lo_u32 v10, s18, v5
	v_add_co_ci_u32_e32 v5, vcc_lo, 0, v4, vcc_lo
	v_add_co_u32 v13, vcc_lo, v3, 8
	s_waitcnt lgkmcnt(0)
	s_lshl_b32 s15, s3, 3
	v_add_co_ci_u32_e32 v6, vcc_lo, 0, v4, vcc_lo
	v_add_co_u32 v17, vcc_lo, v3, 10
	s_mul_i32 s3, s19, s15
	s_mul_hi_u32 s5, s18, s15
	v_mul_lo_u32 v14, s18, v5
	v_add_co_ci_u32_e32 v5, vcc_lo, 0, v4, vcc_lo
	s_add_i32 s7, s5, s3
	v_add_co_u32 v19, vcc_lo, v3, 12
	v_add_co_u32 v24, s3, v59, s12
	v_mul_lo_u32 v16, s18, v6
	v_add_co_ci_u32_e32 v6, vcc_lo, 0, v4, vcc_lo
	v_add_co_ci_u32_e64 v55, null, 0, 0, s3
	v_add_co_u32 v56, vcc_lo, v3, 14
	v_mul_lo_u32 v20, s18, v5
	s_delay_alu instid0(VALU_DEP_4) | instskip(SKIP_4) | instid1(VALU_DEP_4)
	v_mul_lo_u32 v22, s18, v6
	v_add_co_ci_u32_e32 v5, vcc_lo, 0, v4, vcc_lo
	v_mul_lo_u32 v6, s19, v24
	v_mul_lo_u32 v41, s18, v55
	v_mad_u64_u32 v[3:4], null, s18, v24, 0
	v_mul_lo_u32 v61, s18, v5
	v_mad_u64_u32 v[25:26], null, s18, v7, s[20:21]
	;; [unrolled: 2-line block ×3, first 2 shown]
	v_add3_u32 v4, v4, v41, v6
	v_mul_lo_u32 v12, s19, v1
	v_mad_u64_u32 v[41:42], null, s18, v7, s[22:23]
	v_mad_u64_u32 v[43:44], null, s18, v1, s[22:23]
	s_delay_alu instid0(VALU_DEP_4) | instskip(SKIP_3) | instid1(VALU_DEP_4)
	v_lshlrev_b64 v[5:6], 1, v[3:4]
	v_mad_u64_u32 v[31:32], null, s18, v11, s[20:21]
	v_mul_lo_u32 v15, s19, v11
	v_mad_u64_u32 v[45:46], null, s18, v11, s[22:23]
	v_add_co_u32 v62, vcc_lo, s20, v5
	v_add_co_ci_u32_e32 v63, vcc_lo, s21, v6, vcc_lo
	v_add_co_u32 v1, vcc_lo, v24, 7
	v_add_co_ci_u32_e32 v7, vcc_lo, 0, v55, vcc_lo
	v_mad_u64_u32 v[33:34], null, s18, v13, s[20:21]
	v_mul_lo_u32 v18, s19, v13
	v_mad_u64_u32 v[47:48], null, s18, v13, s[22:23]
	v_add_co_u32 v13, vcc_lo, v24, 6
	v_add3_u32 v26, v9, v26, v8
	v_add3_u32 v30, v12, v30, v10
	;; [unrolled: 1-line block ×4, first 2 shown]
	v_mul_lo_u32 v11, s19, v1
	v_mul_lo_u32 v12, s18, v7
	v_mad_u64_u32 v[7:8], null, s18, v1, 0
	v_add_co_ci_u32_e32 v9, vcc_lo, 0, v55, vcc_lo
	v_mad_u64_u32 v[39:40], null, s18, v56, s[20:21]
	v_mul_lo_u32 v64, s19, v56
	v_mad_u64_u32 v[53:54], null, s18, v56, s[22:23]
	v_add3_u32 v32, v15, v32, v14
	v_add3_u32 v46, v15, v46, v14
	v_mul_lo_u32 v1, s19, v13
	v_mul_lo_u32 v14, s18, v9
	v_mad_u64_u32 v[9:10], null, s18, v13, 0
	v_add3_u32 v8, v8, v12, v11
	v_add3_u32 v40, v64, v40, v61
	;; [unrolled: 1-line block ×3, first 2 shown]
	v_add_co_u32 v64, vcc_lo, s22, v5
	v_add_co_ci_u32_e32 v65, vcc_lo, s23, v6, vcc_lo
	v_lshlrev_b64 v[5:6], 1, v[7:8]
	v_add3_u32 v10, v10, v14, v1
	v_add_co_u32 v1, vcc_lo, v24, 5
	v_add_co_ci_u32_e32 v11, vcc_lo, 0, v55, vcc_lo
	s_delay_alu instid0(VALU_DEP_4) | instskip(NEXT) | instid1(VALU_DEP_4)
	v_add_co_u32 v66, vcc_lo, s20, v5
	v_lshlrev_b64 v[7:8], 1, v[9:10]
	v_add_co_ci_u32_e32 v67, vcc_lo, s21, v6, vcc_lo
	v_mul_lo_u32 v12, s19, v1
	v_mul_lo_u32 v11, s18, v11
	v_mad_u64_u32 v[9:10], null, s18, v1, 0
	v_add_co_u32 v68, vcc_lo, s22, v5
	v_add_co_ci_u32_e32 v69, vcc_lo, s23, v6, vcc_lo
	v_add_co_u32 v70, vcc_lo, s20, v7
	v_add_co_ci_u32_e32 v71, vcc_lo, s21, v8, vcc_lo
	v_add_co_u32 v1, vcc_lo, v24, 4
	v_add3_u32 v10, v10, v11, v12
	v_add_co_u32 v72, s3, s22, v7
	v_add_co_ci_u32_e32 v7, vcc_lo, 0, v55, vcc_lo
	v_add_co_u32 v12, vcc_lo, v24, 3
	s_delay_alu instid0(VALU_DEP_4)
	v_lshlrev_b64 v[5:6], 1, v[9:10]
	v_add_co_ci_u32_e32 v9, vcc_lo, 0, v55, vcc_lo
	v_add_co_ci_u32_e64 v73, s3, s23, v8, s3
	v_mul_lo_u32 v11, s19, v1
	v_mul_lo_u32 v13, s18, v7
	v_mad_u64_u32 v[7:8], null, s18, v1, 0
	v_mul_lo_u32 v1, s19, v12
	v_mul_lo_u32 v14, s18, v9
	v_mad_u64_u32 v[9:10], null, s18, v12, 0
	v_add_co_u32 v74, vcc_lo, s20, v5
	v_add_co_ci_u32_e32 v75, vcc_lo, s21, v6, vcc_lo
	v_add3_u32 v8, v8, v13, v11
	v_add_co_u32 v76, vcc_lo, s22, v5
	v_add_co_ci_u32_e32 v77, vcc_lo, s23, v6, vcc_lo
	v_add3_u32 v10, v10, v14, v1
	v_add_co_u32 v1, vcc_lo, v24, 2
	v_lshlrev_b64 v[5:6], 1, v[7:8]
	v_add_co_ci_u32_e32 v11, vcc_lo, 0, v55, vcc_lo
	s_delay_alu instid0(VALU_DEP_4) | instskip(NEXT) | instid1(VALU_DEP_4)
	v_lshlrev_b64 v[7:8], 1, v[9:10]
	v_mul_lo_u32 v12, s19, v1
	v_mad_u64_u32 v[9:10], null, s18, v1, 0
	v_add_co_u32 v78, vcc_lo, s20, v5
	v_mul_lo_u32 v11, s18, v11
	v_add_co_ci_u32_e32 v79, vcc_lo, s21, v6, vcc_lo
	v_add_co_u32 v80, vcc_lo, s22, v5
	v_add_co_ci_u32_e32 v81, vcc_lo, s23, v6, vcc_lo
	v_add_co_u32 v82, vcc_lo, s20, v7
	v_add_co_ci_u32_e32 v83, vcc_lo, s21, v8, vcc_lo
	v_add3_u32 v10, v10, v11, v12
	v_add_co_u32 v84, vcc_lo, s22, v7
	v_add_co_ci_u32_e32 v85, vcc_lo, s23, v8, vcc_lo
	v_add_co_u32 v3, vcc_lo, v3, s18
	s_delay_alu instid0(VALU_DEP_4) | instskip(SKIP_3) | instid1(VALU_DEP_4)
	v_lshlrev_b64 v[5:6], 1, v[9:10]
	v_add_co_ci_u32_e32 v4, vcc_lo, s19, v4, vcc_lo
	v_mad_u64_u32 v[35:36], null, s18, v17, s[20:21]
	v_mul_lo_u32 v21, s19, v17
	v_add_co_u32 v86, vcc_lo, s20, v5
	s_delay_alu instid0(VALU_DEP_4)
	v_lshlrev_b64 v[3:4], 1, v[3:4]
	v_add_co_ci_u32_e32 v87, vcc_lo, s21, v6, vcc_lo
	v_mad_u64_u32 v[37:38], null, s18, v19, s[20:21]
	v_mul_lo_u32 v23, s19, v19
	v_mad_u64_u32 v[49:50], null, s18, v17, s[22:23]
	v_mad_u64_u32 v[51:52], null, s18, v19, s[22:23]
	v_add_co_u32 v88, vcc_lo, s22, v5
	v_add_co_ci_u32_e32 v89, vcc_lo, s23, v6, vcc_lo
	v_add_co_u32 v90, vcc_lo, s20, v3
	v_add_co_ci_u32_e32 v91, vcc_lo, s21, v4, vcc_lo
	v_add_co_u32 v92, vcc_lo, s22, v3
	v_add3_u32 v34, v18, v34, v16
	v_add3_u32 v36, v21, v36, v20
	;; [unrolled: 1-line block ×6, first 2 shown]
	v_add_co_ci_u32_e32 v93, vcc_lo, s23, v4, vcc_lo
	s_mul_i32 s6, s18, s15
	s_mov_b64 s[22:23], 7
	s_lshl_b64 s[20:21], s[6:7], 1
	s_mov_b64 s[26:27], s[12:13]
.LBB109_53:                             ; =>This Inner Loop Header: Depth=1
	s_add_u32 s6, s12, s22
	s_addc_u32 s7, 0, s23
	v_add_co_u32 v55, vcc_lo, s12, v59
	v_cmp_ge_i64_e64 s3, s[6:7], s[16:17]
	v_add_co_ci_u32_e32 v56, vcc_lo, 0, v60, vcc_lo
	s_delay_alu instid0(VALU_DEP_2)
	s_and_b32 vcc_lo, exec_lo, s3
	s_cbranch_vccz .LBB109_75
; %bb.54:                               ;   in Loop: Header=BB109_53 Depth=1
	s_load_b32 s3, s[24:25], 0xc
	v_dual_mov_b32 v61, 0 :: v_dual_mov_b32 v96, 0
	s_waitcnt lgkmcnt(0)
	s_and_b32 s3, s3, 0xffff
	s_delay_alu instid0(SALU_CYCLE_1) | instskip(SKIP_1) | instid1(VALU_DEP_1)
	v_mad_u32_u24 v1, v57, s3, v58
	s_mov_b32 s3, exec_lo
	v_and_b32_e32 v1, 31, v1
	s_delay_alu instid0(VALU_DEP_1)
	v_cmpx_gt_u32_e32 8, v1
	s_cbranch_execz .LBB109_58
; %bb.55:                               ;   in Loop: Header=BB109_53 Depth=1
	v_add_co_u32 v3, vcc_lo, v55, v1
	v_add_co_ci_u32_e32 v4, vcc_lo, 0, v56, vcc_lo
	v_dual_mov_b32 v96, 0 :: v_dual_mov_b32 v61, 0
	s_mov_b32 s5, exec_lo
	s_delay_alu instid0(VALU_DEP_2)
	v_cmpx_gt_i64_e64 s[16:17], v[3:4]
	s_cbranch_execz .LBB109_57
; %bb.56:                               ;   in Loop: Header=BB109_53 Depth=1
	v_lshlrev_b64 v[3:4], 2, v[3:4]
	s_delay_alu instid0(VALU_DEP_1) | instskip(NEXT) | instid1(VALU_DEP_2)
	v_add_co_u32 v5, vcc_lo, s36, v3
	v_add_co_ci_u32_e32 v6, vcc_lo, s37, v4, vcc_lo
	v_add_co_u32 v3, vcc_lo, s38, v3
	v_add_co_ci_u32_e32 v4, vcc_lo, s39, v4, vcc_lo
	global_load_b32 v96, v[5:6], off
	global_load_b32 v61, v[3:4], off
.LBB109_57:                             ;   in Loop: Header=BB109_53 Depth=1
	s_or_b32 exec_lo, exec_lo, s5
.LBB109_58:                             ;   in Loop: Header=BB109_53 Depth=1
	s_delay_alu instid0(SALU_CYCLE_1)
	s_or_b32 exec_lo, exec_lo, s3
	s_mov_b32 s11, s4
	s_mov_b32 s5, s4
	;; [unrolled: 1-line block ×7, first 2 shown]
	s_delay_alu instid0(SALU_CYCLE_1) | instskip(SKIP_3) | instid1(VALU_DEP_4)
	v_dual_mov_b32 v16, s11 :: v_dual_mov_b32 v15, s10
	v_dual_mov_b32 v14, s9 :: v_dual_mov_b32 v13, s8
	v_dual_mov_b32 v12, s7 :: v_dual_mov_b32 v11, s6
	v_dual_mov_b32 v10, s5 :: v_dual_mov_b32 v9, s4
	v_dual_mov_b32 v24, v16 :: v_dual_mov_b32 v23, v15
	s_delay_alu instid0(VALU_DEP_4) | instskip(NEXT) | instid1(VALU_DEP_4)
	v_dual_mov_b32 v22, v14 :: v_dual_mov_b32 v21, v13
	v_dual_mov_b32 v20, v12 :: v_dual_mov_b32 v19, v11
	s_delay_alu instid0(VALU_DEP_4)
	v_dual_mov_b32 v18, v10 :: v_dual_mov_b32 v17, v9
	s_mov_b32 s3, exec_lo
	v_cmpx_gt_i64_e64 s[16:17], v[55:56]
	s_cbranch_execz .LBB109_60
; %bb.59:                               ;   in Loop: Header=BB109_53 Depth=1
	v_add_co_u32 v3, vcc_lo, v62, v27
	v_add_co_ci_u32_e32 v4, vcc_lo, v63, v28, vcc_lo
	v_add_co_u32 v5, vcc_lo, v64, v27
	v_add_co_ci_u32_e32 v6, vcc_lo, v65, v28, vcc_lo
	v_mov_b32_e32 v8, v2
	global_load_u16 v1, v[3:4], off
	global_load_u16 v9, v[5:6], off
	v_mov_b32_e32 v3, v2
	v_mov_b32_e32 v4, v2
	;; [unrolled: 1-line block ×6, first 2 shown]
	s_waitcnt vmcnt(1)
	v_lshlrev_b32_e32 v1, 16, v1
	s_waitcnt vmcnt(0)
	v_lshlrev_b32_e32 v9, 16, v9
	v_dual_mov_b32 v11, v2 :: v_dual_mov_b32 v24, v8
	v_dual_mov_b32 v10, v2 :: v_dual_mov_b32 v23, v7
	;; [unrolled: 1-line block ×6, first 2 shown]
	v_mov_b32_e32 v22, v6
	v_mov_b32_e32 v18, v2
.LBB109_60:                             ;   in Loop: Header=BB109_53 Depth=1
	s_or_b32 exec_lo, exec_lo, s3
	v_add_co_u32 v3, vcc_lo, v55, 1
	v_add_co_ci_u32_e32 v4, vcc_lo, 0, v56, vcc_lo
	s_mov_b32 s3, exec_lo
	s_delay_alu instid0(VALU_DEP_1)
	v_cmpx_gt_i64_e64 s[16:17], v[3:4]
	s_cbranch_execz .LBB109_62
; %bb.61:                               ;   in Loop: Header=BB109_53 Depth=1
	v_add_co_u32 v3, vcc_lo, v90, v27
	v_add_co_ci_u32_e32 v4, vcc_lo, v91, v28, vcc_lo
	v_add_co_u32 v5, vcc_lo, v92, v27
	v_add_co_ci_u32_e32 v6, vcc_lo, v93, v28, vcc_lo
	global_load_u16 v1, v[3:4], off
	global_load_u16 v3, v[5:6], off
	s_waitcnt vmcnt(1)
	v_lshlrev_b32_e32 v18, 16, v1
	s_waitcnt vmcnt(0)
	v_lshlrev_b32_e32 v10, 16, v3
.LBB109_62:                             ;   in Loop: Header=BB109_53 Depth=1
	s_or_b32 exec_lo, exec_lo, s3
	v_add_co_u32 v3, vcc_lo, v55, 2
	v_add_co_ci_u32_e32 v4, vcc_lo, 0, v56, vcc_lo
	s_mov_b32 s3, exec_lo
	s_delay_alu instid0(VALU_DEP_1)
	v_cmpx_gt_i64_e64 s[16:17], v[3:4]
	s_cbranch_execz .LBB109_64
; %bb.63:                               ;   in Loop: Header=BB109_53 Depth=1
	v_add_co_u32 v3, vcc_lo, v86, v27
	v_add_co_ci_u32_e32 v4, vcc_lo, v87, v28, vcc_lo
	v_add_co_u32 v5, vcc_lo, v88, v27
	v_add_co_ci_u32_e32 v6, vcc_lo, v89, v28, vcc_lo
	global_load_u16 v1, v[3:4], off
	global_load_u16 v3, v[5:6], off
	s_waitcnt vmcnt(1)
	v_lshlrev_b32_e32 v19, 16, v1
	s_waitcnt vmcnt(0)
	v_lshlrev_b32_e32 v11, 16, v3
.LBB109_64:                             ;   in Loop: Header=BB109_53 Depth=1
	;; [unrolled: 19-line block ×7, first 2 shown]
	s_or_b32 exec_lo, exec_lo, s3
	s_waitcnt vmcnt(1)
	ds_bpermute_b32 v1, v2, v96
	ds_bpermute_b32 v3, v2, v96 offset:4
	ds_bpermute_b32 v4, v2, v96 offset:8
	s_waitcnt vmcnt(0)
	ds_bpermute_b32 v5, v2, v61
	ds_bpermute_b32 v8, v2, v61 offset:4
	ds_bpermute_b32 v100, v2, v96 offset:20
	;; [unrolled: 1-line block ×6, first 2 shown]
	s_waitcnt lgkmcnt(7)
	v_dual_sub_f32 v1, v9, v1 :: v_dual_sub_f32 v4, v11, v4
	v_sub_f32_e32 v3, v10, v3
	ds_bpermute_b32 v10, v2, v61 offset:16
	s_waitcnt lgkmcnt(5)
	v_sub_f32_e32 v11, v14, v100
	v_dual_mul_f32 v4, v19, v4 :: v_dual_mul_f32 v3, v18, v3
	v_mul_f32_e32 v1, v17, v1
	s_delay_alu instid0(VALU_DEP_3) | instskip(NEXT) | instid1(VALU_DEP_2)
	v_mul_f32_e32 v11, v22, v11
	v_fma_f32 v6, v1, v5, v94
	ds_bpermute_b32 v1, v2, v61 offset:20
	s_waitcnt lgkmcnt(5)
	v_sub_f32_e32 v7, v12, v7
	ds_bpermute_b32 v5, v2, v96 offset:28
	v_fmac_f32_e32 v6, v3, v8
	v_add_f32_e32 v9, v95, v17
	ds_bpermute_b32 v17, v2, v96 offset:24
	ds_bpermute_b32 v8, v2, v61 offset:24
	s_waitcnt lgkmcnt(7)
	v_fmac_f32_e32 v6, v4, v98
	ds_bpermute_b32 v4, v2, v61 offset:28
	v_mul_f32_e32 v7, v20, v7
	s_waitcnt lgkmcnt(7)
	s_delay_alu instid0(VALU_DEP_1) | instskip(NEXT) | instid1(VALU_DEP_1)
	v_dual_add_f32 v3, v18, v9 :: v_dual_fmac_f32 v6, v7, v99
	v_add_f32_e32 v3, v19, v3
	s_delay_alu instid0(VALU_DEP_1)
	v_add_f32_e32 v3, v20, v3
	s_waitcnt lgkmcnt(3)
	v_sub_f32_e32 v5, v16, v5
	s_waitcnt lgkmcnt(2)
	v_sub_f32_e32 v7, v15, v17
	v_add_f32_e32 v3, v21, v3
	s_delay_alu instid0(VALU_DEP_2) | instskip(SKIP_1) | instid1(VALU_DEP_1)
	v_mul_f32_e32 v7, v23, v7
	v_sub_f32_e32 v9, v13, v97
	v_mul_f32_e32 v9, v21, v9
	s_delay_alu instid0(VALU_DEP_1) | instskip(NEXT) | instid1(VALU_DEP_1)
	v_fmac_f32_e32 v6, v9, v10
	v_dual_fmac_f32 v6, v11, v1 :: v_dual_add_f32 v1, v22, v3
	s_waitcnt lgkmcnt(1)
	s_delay_alu instid0(VALU_DEP_1) | instskip(NEXT) | instid1(VALU_DEP_2)
	v_dual_mul_f32 v3, v24, v5 :: v_dual_fmac_f32 v6, v7, v8
	v_add_f32_e32 v1, v23, v1
	s_waitcnt lgkmcnt(0)
	s_delay_alu instid0(VALU_DEP_1)
	v_dual_fmac_f32 v6, v3, v4 :: v_dual_add_f32 v61, v24, v1
	s_branch .LBB109_81
.LBB109_75:                             ;   in Loop: Header=BB109_53 Depth=1
                                        ; implicit-def: $vgpr61
                                        ; implicit-def: $vgpr6
	s_cbranch_execz .LBB109_81
; %bb.76:                               ;   in Loop: Header=BB109_53 Depth=1
	s_load_b32 s3, s[24:25], 0x0
	v_mov_b32_e32 v5, 0
	s_waitcnt lgkmcnt(0)
	s_cmp_lt_u32 s14, s3
	s_cselect_b32 s3, 12, 18
	s_delay_alu instid0(SALU_CYCLE_1)
	s_add_u32 s6, s24, s3
	s_addc_u32 s7, s25, 0
	s_mov_b32 s3, exec_lo
	global_load_u16 v1, v2, s[6:7]
	s_waitcnt vmcnt(0)
	v_mad_u32_u24 v1, v57, v1, v58
	s_delay_alu instid0(VALU_DEP_1) | instskip(SKIP_1) | instid1(VALU_DEP_2)
	v_and_b32_e32 v3, 31, v1
	v_mov_b32_e32 v1, 0
	v_cmpx_gt_u32_e32 8, v3
	s_cbranch_execz .LBB109_80
; %bb.77:                               ;   in Loop: Header=BB109_53 Depth=1
	v_add_co_u32 v3, vcc_lo, v55, v3
	v_add_co_ci_u32_e32 v4, vcc_lo, 0, v56, vcc_lo
	v_mov_b32_e32 v1, 0
	v_mov_b32_e32 v5, 0
	s_mov_b32 s5, exec_lo
	s_delay_alu instid0(VALU_DEP_3)
	v_cmpx_gt_i64_e64 s[16:17], v[3:4]
	s_cbranch_execz .LBB109_79
; %bb.78:                               ;   in Loop: Header=BB109_53 Depth=1
	v_lshlrev_b64 v[3:4], 2, v[3:4]
	s_delay_alu instid0(VALU_DEP_1) | instskip(NEXT) | instid1(VALU_DEP_2)
	v_add_co_u32 v5, vcc_lo, s36, v3
	v_add_co_ci_u32_e32 v6, vcc_lo, s37, v4, vcc_lo
	v_add_co_u32 v3, vcc_lo, s38, v3
	v_add_co_ci_u32_e32 v4, vcc_lo, s39, v4, vcc_lo
	global_load_b32 v1, v[5:6], off
	global_load_b32 v5, v[3:4], off
.LBB109_79:                             ;   in Loop: Header=BB109_53 Depth=1
	s_or_b32 exec_lo, exec_lo, s5
.LBB109_80:                             ;   in Loop: Header=BB109_53 Depth=1
	s_delay_alu instid0(SALU_CYCLE_1)
	s_or_b32 exec_lo, exec_lo, s3
	v_add_co_u32 v3, vcc_lo, v62, v27
	v_add_co_ci_u32_e32 v4, vcc_lo, v63, v28, vcc_lo
	s_waitcnt vmcnt(1)
	ds_bpermute_b32 v21, v2, v1
	global_load_u16 v3, v[3:4], off
	s_waitcnt vmcnt(0)
	v_lshlrev_b32_e32 v6, 16, v3
	v_add_co_u32 v3, vcc_lo, v64, v27
	v_add_co_ci_u32_e32 v4, vcc_lo, v65, v28, vcc_lo
	global_load_u16 v3, v[3:4], off
	s_waitcnt vmcnt(0)
	v_lshlrev_b32_e32 v7, 16, v3
	v_add_co_u32 v3, vcc_lo, v25, v27
	v_add_co_ci_u32_e32 v4, vcc_lo, v26, v28, vcc_lo
	s_waitcnt lgkmcnt(0)
	s_delay_alu instid0(VALU_DEP_3)
	v_sub_f32_e32 v7, v7, v21
	global_load_u16 v3, v[3:4], off
	s_waitcnt vmcnt(0)
	v_dual_mul_f32 v7, v7, v6 :: v_dual_lshlrev_b32 v8, 16, v3
	v_add_co_u32 v3, vcc_lo, v41, v27
	v_add_co_ci_u32_e32 v4, vcc_lo, v42, v28, vcc_lo
	global_load_u16 v3, v[3:4], off
	s_waitcnt vmcnt(0)
	v_lshlrev_b32_e32 v9, 16, v3
	v_add_co_u32 v3, vcc_lo, v29, v27
	v_add_co_ci_u32_e32 v4, vcc_lo, v30, v28, vcc_lo
	global_load_u16 v3, v[3:4], off
	s_waitcnt vmcnt(0)
	v_lshlrev_b32_e32 v10, 16, v3
	;; [unrolled: 5-line block ×12, first 2 shown]
	v_add_co_u32 v3, vcc_lo, v53, v27
	v_add_co_ci_u32_e32 v4, vcc_lo, v54, v28, vcc_lo
	global_load_u16 v3, v[3:4], off
	ds_bpermute_b32 v4, v2, v5
	s_waitcnt lgkmcnt(0)
	v_fmac_f32_e32 v94, v7, v4
	ds_bpermute_b32 v7, v2, v1 offset:4
	v_add_f32_e32 v4, v95, v6
	ds_bpermute_b32 v6, v2, v5 offset:4
	s_waitcnt lgkmcnt(1)
	v_dual_add_f32 v4, v4, v8 :: v_dual_sub_f32 v7, v9, v7
	s_delay_alu instid0(VALU_DEP_1) | instskip(SKIP_1) | instid1(VALU_DEP_1)
	v_dual_mul_f32 v7, v7, v8 :: v_dual_add_f32 v4, v4, v10
	s_waitcnt lgkmcnt(0)
	v_fmac_f32_e32 v94, v7, v6
	ds_bpermute_b32 v7, v2, v1 offset:8
	ds_bpermute_b32 v6, v2, v5 offset:8
	s_waitcnt lgkmcnt(1)
	v_sub_f32_e32 v7, v11, v7
	s_delay_alu instid0(VALU_DEP_1) | instskip(SKIP_1) | instid1(VALU_DEP_1)
	v_dual_mul_f32 v7, v7, v10 :: v_dual_add_f32 v4, v4, v12
	s_waitcnt lgkmcnt(0)
	v_fmac_f32_e32 v94, v7, v6
	ds_bpermute_b32 v7, v2, v1 offset:12
	ds_bpermute_b32 v6, v2, v5 offset:12
	s_waitcnt lgkmcnt(1)
	v_sub_f32_e32 v7, v13, v7
	;; [unrolled: 8-line block ×4, first 2 shown]
	s_delay_alu instid0(VALU_DEP_1) | instskip(SKIP_1) | instid1(VALU_DEP_1)
	v_dual_mul_f32 v7, v7, v16 :: v_dual_add_f32 v4, v4, v18
	s_waitcnt lgkmcnt(0)
	v_fmac_f32_e32 v94, v7, v6
	ds_bpermute_b32 v7, v2, v1 offset:24
	ds_bpermute_b32 v1, v2, v1 offset:28
	;; [unrolled: 1-line block ×4, first 2 shown]
	s_waitcnt lgkmcnt(3)
	v_sub_f32_e32 v7, v19, v7
	s_delay_alu instid0(VALU_DEP_1) | instskip(SKIP_4) | instid1(VALU_DEP_1)
	v_mul_f32_e32 v7, v7, v18
	v_add_f32_e32 v61, v4, v20
	s_waitcnt vmcnt(0)
	v_lshlrev_b32_e32 v3, 16, v3
	s_waitcnt lgkmcnt(2)
	v_sub_f32_e32 v1, v3, v1
	s_waitcnt lgkmcnt(1)
	s_delay_alu instid0(VALU_DEP_1) | instskip(SKIP_1) | instid1(VALU_DEP_1)
	v_dual_mul_f32 v1, v1, v20 :: v_dual_fmac_f32 v94, v7, v6
	s_waitcnt lgkmcnt(0)
	v_fmac_f32_e32 v94, v1, v5
	s_delay_alu instid0(VALU_DEP_1)
	v_mov_b32_e32 v6, v94
.LBB109_81:                             ;   in Loop: Header=BB109_53 Depth=1
	v_add_co_u32 v59, vcc_lo, v59, s15
	v_add_co_ci_u32_e32 v60, vcc_lo, 0, v60, vcc_lo
	v_add_co_u32 v25, vcc_lo, v25, s20
	v_add_co_ci_u32_e32 v26, vcc_lo, s21, v26, vcc_lo
	;; [unrolled: 2-line block ×28, first 2 shown]
	v_add_co_u32 v88, vcc_lo, v88, s20
	s_add_u32 s26, s26, s15
	v_add_co_ci_u32_e32 v89, vcc_lo, s21, v89, vcc_lo
	s_addc_u32 s27, s27, 0
	v_add_co_u32 v90, vcc_lo, v90, s20
	v_add_co_ci_u32_e32 v91, vcc_lo, s21, v91, vcc_lo
	v_cmp_ge_i64_e64 s3, s[26:27], s[16:17]
	v_add_co_u32 v92, vcc_lo, v92, s20
	v_add_co_ci_u32_e32 v93, vcc_lo, s21, v93, vcc_lo
	s_add_u32 s22, s22, s15
	s_addc_u32 s23, s23, 0
	s_delay_alu instid0(VALU_DEP_3)
	s_and_b32 vcc_lo, exec_lo, s3
	s_cbranch_vccnz .LBB109_83
; %bb.82:                               ;   in Loop: Header=BB109_53 Depth=1
	v_dual_mov_b32 v95, v61 :: v_dual_mov_b32 v94, v6
	s_branch .LBB109_53
.LBB109_83:
	v_and_b32_e32 v1, 0x3ff, v0
	s_mov_b32 s15, 0
	s_mov_b32 s3, exec_lo
	s_lshl_b64 s[4:5], s[14:15], 5
	s_delay_alu instid0(SALU_CYCLE_1) | instskip(SKIP_1) | instid1(VALU_DEP_1)
	v_mov_b32_e32 v5, s5
	v_or_b32_e32 v4, s4, v1
	v_cmpx_gt_i64_e64 s[18:19], v[4:5]
	s_cbranch_execz .LBB109_88
; %bb.84:
	s_clause 0x1
	s_load_b32 s3, s[0:1], 0x4c
	s_load_b128 s[4:7], s[0:1], 0x30
	v_bfe_u32 v0, v0, 10, 10
	v_mov_b32_e32 v1, 0
	s_waitcnt lgkmcnt(0)
	s_lshr_b32 s0, s3, 16
	s_cmp_eq_u64 s[4:5], 0
	s_delay_alu instid0(VALU_DEP_1) | instskip(SKIP_1) | instid1(VALU_DEP_2)
	v_mad_u64_u32 v[2:3], null, s0, s2, v[0:1]
	v_lshlrev_b64 v[0:1], 1, v[4:5]
	v_mul_lo_u32 v3, v3, s18
	s_delay_alu instid0(VALU_DEP_3)
	v_mul_lo_u32 v7, v2, s19
	s_cbranch_scc1 .LBB109_86
; %bb.85:
	v_mad_u64_u32 v[4:5], null, v2, s18, 0
	v_bfe_u32 v8, v6, 16, 1
	s_delay_alu instid0(VALU_DEP_1) | instskip(NEXT) | instid1(VALU_DEP_3)
	v_add3_u32 v8, v6, v8, 0x7fff
	v_add3_u32 v5, v5, v7, v3
	s_delay_alu instid0(VALU_DEP_2) | instskip(NEXT) | instid1(VALU_DEP_2)
	v_lshrrev_b32_e32 v8, 16, v8
	v_lshlrev_b64 v[4:5], 1, v[4:5]
	s_delay_alu instid0(VALU_DEP_1) | instskip(NEXT) | instid1(VALU_DEP_2)
	v_add_co_u32 v4, vcc_lo, s4, v4
	v_add_co_ci_u32_e32 v5, vcc_lo, s5, v5, vcc_lo
	v_cmp_o_f32_e32 vcc_lo, v6, v6
	v_cndmask_b32_e32 v6, 0x7fc0, v8, vcc_lo
	s_delay_alu instid0(VALU_DEP_4) | instskip(NEXT) | instid1(VALU_DEP_4)
	v_add_co_u32 v4, vcc_lo, v4, v0
	v_add_co_ci_u32_e32 v5, vcc_lo, v5, v1, vcc_lo
	global_store_b16 v[4:5], v6, off
.LBB109_86:
	s_cmp_eq_u64 s[6:7], 0
	s_cbranch_scc1 .LBB109_88
; %bb.87:
	v_mad_u64_u32 v[4:5], null, v2, s18, 0
	v_bfe_u32 v2, v61, 16, 1
	s_delay_alu instid0(VALU_DEP_1) | instskip(NEXT) | instid1(VALU_DEP_3)
	v_add3_u32 v6, v61, v2, 0x7fff
	v_add3_u32 v5, v5, v7, v3
	s_delay_alu instid0(VALU_DEP_1) | instskip(NEXT) | instid1(VALU_DEP_3)
	v_lshlrev_b64 v[2:3], 1, v[4:5]
	v_lshrrev_b32_e32 v4, 16, v6
	s_delay_alu instid0(VALU_DEP_2) | instskip(NEXT) | instid1(VALU_DEP_3)
	v_add_co_u32 v2, vcc_lo, s6, v2
	v_add_co_ci_u32_e32 v3, vcc_lo, s7, v3, vcc_lo
	v_cmp_o_f32_e32 vcc_lo, v61, v61
	s_delay_alu instid0(VALU_DEP_4) | instskip(NEXT) | instid1(VALU_DEP_4)
	v_cndmask_b32_e32 v4, 0x7fc0, v4, vcc_lo
	v_add_co_u32 v0, vcc_lo, v2, v0
	s_delay_alu instid0(VALU_DEP_4)
	v_add_co_ci_u32_e32 v1, vcc_lo, v3, v1, vcc_lo
	global_store_b16 v[0:1], v4, off
.LBB109_88:
	s_nop 0
	s_sendmsg sendmsg(MSG_DEALLOC_VGPRS)
	s_endpgm
	.section	.rodata,"a",@progbits
	.p2align	6, 0x0
	.amdhsa_kernel _ZN2at6native12_GLOBAL__N_135GammaBetaBackwardCUDAKernelTemplateIN3c108BFloat16EfLj32ELj1ELj8ELb1ELb0ELb0EEEvllPKT_S7_PKT0_SA_PS5_SB_
		.amdhsa_group_segment_fixed_size 0
		.amdhsa_private_segment_fixed_size 0
		.amdhsa_kernarg_size 320
		.amdhsa_user_sgpr_count 14
		.amdhsa_user_sgpr_dispatch_ptr 0
		.amdhsa_user_sgpr_queue_ptr 0
		.amdhsa_user_sgpr_kernarg_segment_ptr 1
		.amdhsa_user_sgpr_dispatch_id 0
		.amdhsa_user_sgpr_private_segment_size 0
		.amdhsa_wavefront_size32 1
		.amdhsa_uses_dynamic_stack 0
		.amdhsa_enable_private_segment 0
		.amdhsa_system_sgpr_workgroup_id_x 1
		.amdhsa_system_sgpr_workgroup_id_y 1
		.amdhsa_system_sgpr_workgroup_id_z 0
		.amdhsa_system_sgpr_workgroup_info 0
		.amdhsa_system_vgpr_workitem_id 1
		.amdhsa_next_free_vgpr 101
		.amdhsa_next_free_sgpr 41
		.amdhsa_reserve_vcc 1
		.amdhsa_float_round_mode_32 0
		.amdhsa_float_round_mode_16_64 0
		.amdhsa_float_denorm_mode_32 3
		.amdhsa_float_denorm_mode_16_64 3
		.amdhsa_dx10_clamp 1
		.amdhsa_ieee_mode 1
		.amdhsa_fp16_overflow 0
		.amdhsa_workgroup_processor_mode 1
		.amdhsa_memory_ordered 1
		.amdhsa_forward_progress 0
		.amdhsa_shared_vgpr_count 0
		.amdhsa_exception_fp_ieee_invalid_op 0
		.amdhsa_exception_fp_denorm_src 0
		.amdhsa_exception_fp_ieee_div_zero 0
		.amdhsa_exception_fp_ieee_overflow 0
		.amdhsa_exception_fp_ieee_underflow 0
		.amdhsa_exception_fp_ieee_inexact 0
		.amdhsa_exception_int_div_zero 0
	.end_amdhsa_kernel
	.section	.text._ZN2at6native12_GLOBAL__N_135GammaBetaBackwardCUDAKernelTemplateIN3c108BFloat16EfLj32ELj1ELj8ELb1ELb0ELb0EEEvllPKT_S7_PKT0_SA_PS5_SB_,"axG",@progbits,_ZN2at6native12_GLOBAL__N_135GammaBetaBackwardCUDAKernelTemplateIN3c108BFloat16EfLj32ELj1ELj8ELb1ELb0ELb0EEEvllPKT_S7_PKT0_SA_PS5_SB_,comdat
.Lfunc_end109:
	.size	_ZN2at6native12_GLOBAL__N_135GammaBetaBackwardCUDAKernelTemplateIN3c108BFloat16EfLj32ELj1ELj8ELb1ELb0ELb0EEEvllPKT_S7_PKT0_SA_PS5_SB_, .Lfunc_end109-_ZN2at6native12_GLOBAL__N_135GammaBetaBackwardCUDAKernelTemplateIN3c108BFloat16EfLj32ELj1ELj8ELb1ELb0ELb0EEEvllPKT_S7_PKT0_SA_PS5_SB_
                                        ; -- End function
	.section	.AMDGPU.csdata,"",@progbits
; Kernel info:
; codeLenInByte = 8308
; NumSgprs: 43
; NumVgprs: 101
; ScratchSize: 0
; MemoryBound: 0
; FloatMode: 240
; IeeeMode: 1
; LDSByteSize: 0 bytes/workgroup (compile time only)
; SGPRBlocks: 5
; VGPRBlocks: 12
; NumSGPRsForWavesPerEU: 43
; NumVGPRsForWavesPerEU: 101
; Occupancy: 12
; WaveLimiterHint : 0
; COMPUTE_PGM_RSRC2:SCRATCH_EN: 0
; COMPUTE_PGM_RSRC2:USER_SGPR: 14
; COMPUTE_PGM_RSRC2:TRAP_HANDLER: 0
; COMPUTE_PGM_RSRC2:TGID_X_EN: 1
; COMPUTE_PGM_RSRC2:TGID_Y_EN: 1
; COMPUTE_PGM_RSRC2:TGID_Z_EN: 0
; COMPUTE_PGM_RSRC2:TIDIG_COMP_CNT: 1
	.section	.text._ZN2at6native12_GLOBAL__N_135GammaBetaBackwardCUDAKernelTemplateIN3c108BFloat16EfLj32ELj8ELj64ELb0ELb1ELb0EEEvllPKT_S7_PKT0_SA_PS5_SB_,"axG",@progbits,_ZN2at6native12_GLOBAL__N_135GammaBetaBackwardCUDAKernelTemplateIN3c108BFloat16EfLj32ELj8ELj64ELb0ELb1ELb0EEEvllPKT_S7_PKT0_SA_PS5_SB_,comdat
	.globl	_ZN2at6native12_GLOBAL__N_135GammaBetaBackwardCUDAKernelTemplateIN3c108BFloat16EfLj32ELj8ELj64ELb0ELb1ELb0EEEvllPKT_S7_PKT0_SA_PS5_SB_ ; -- Begin function _ZN2at6native12_GLOBAL__N_135GammaBetaBackwardCUDAKernelTemplateIN3c108BFloat16EfLj32ELj8ELj64ELb0ELb1ELb0EEEvllPKT_S7_PKT0_SA_PS5_SB_
	.p2align	8
	.type	_ZN2at6native12_GLOBAL__N_135GammaBetaBackwardCUDAKernelTemplateIN3c108BFloat16EfLj32ELj8ELj64ELb0ELb1ELb0EEEvllPKT_S7_PKT0_SA_PS5_SB_,@function
_ZN2at6native12_GLOBAL__N_135GammaBetaBackwardCUDAKernelTemplateIN3c108BFloat16EfLj32ELj8ELj64ELb0ELb1ELb0EEEvllPKT_S7_PKT0_SA_PS5_SB_: ; @_ZN2at6native12_GLOBAL__N_135GammaBetaBackwardCUDAKernelTemplateIN3c108BFloat16EfLj32ELj8ELj64ELb0ELb1ELb0EEEvllPKT_S7_PKT0_SA_PS5_SB_
; %bb.0:
	s_load_b128 s[20:23], s[0:1], 0x0
	s_mov_b32 s3, 0
	s_lshl_b32 s2, s15, 6
	v_bfe_u32 v7, v0, 10, 10
	s_waitcnt lgkmcnt(0)
	v_cmp_lt_i64_e64 s4, s[2:3], s[20:21]
	s_delay_alu instid0(VALU_DEP_1)
	s_and_b32 vcc_lo, exec_lo, s4
	s_cbranch_vccnz .LBB110_2
; %bb.1:
	v_bfe_u32 v2, v0, 10, 10
	s_mov_b32 s5, 0
	s_mov_b32 s4, s3
	s_branch .LBB110_3
.LBB110_2:
	s_mov_b32 s4, -1
                                        ; implicit-def: $sgpr5
                                        ; implicit-def: $vgpr2
.LBB110_3:
	s_load_b128 s[16:19], s[0:1], 0x30
	v_dual_mov_b32 v13, s5 :: v_dual_and_b32 v6, 0x3ff, v0
	v_mov_b32_e32 v17, s5
	s_and_not1_b32 vcc_lo, exec_lo, s4
	s_cbranch_vccnz .LBB110_11
; %bb.4:
	s_clause 0x2
	s_load_b32 s12, s[0:1], 0x4c
	s_load_b32 s15, s[0:1], 0x44
	s_load_b256 s[4:11], s[0:1], 0x10
	v_dual_mov_b32 v1, 0 :: v_dual_lshlrev_b32 v0, 3, v7
	v_dual_mov_b32 v8, 8 :: v_dual_mov_b32 v9, 4
	v_dual_mov_b32 v10, 12 :: v_dual_mov_b32 v11, 16
	s_delay_alu instid0(VALU_DEP_3) | instskip(NEXT) | instid1(VALU_DEP_1)
	v_add_co_u32 v2, s0, v0, s2
	v_add_co_ci_u32_e64 v3, null, 0, 0, s0
	v_lshl_add_u32 v0, s14, 5, v6
	s_delay_alu instid0(VALU_DEP_3) | instskip(SKIP_1) | instid1(VALU_DEP_4)
	v_mul_lo_u32 v13, s23, v2
	v_mad_u64_u32 v[4:5], null, s22, v2, 0
	v_mul_lo_u32 v18, s22, v3
	v_dual_mov_b32 v12, 20 :: v_dual_mov_b32 v15, 28
	s_waitcnt lgkmcnt(0)
	s_and_b32 s0, s12, 0xffff
	s_lshl_b32 s12, s15, 6
	v_mad_u32_u24 v16, v7, s0, v6
	s_mul_i32 s1, s23, s12
	s_mul_hi_u32 s15, s22, s12
	v_add3_u32 v5, v5, v18, v13
	v_mov_b32_e32 v14, 24
	v_dual_mov_b32 v13, 0 :: v_dual_and_b32 v20, 31, v16
	v_lshlrev_b64 v[16:17], 1, v[0:1]
	s_delay_alu instid0(VALU_DEP_4) | instskip(SKIP_1) | instid1(VALU_DEP_3)
	v_lshlrev_b64 v[18:19], 1, v[4:5]
	s_mov_b32 s13, 0
	v_add_co_u32 v2, vcc_lo, v2, v20
	v_add_co_ci_u32_e32 v3, vcc_lo, 0, v3, vcc_lo
	s_delay_alu instid0(VALU_DEP_3) | instskip(SKIP_1) | instid1(VALU_DEP_3)
	v_add_co_u32 v0, vcc_lo, v18, v16
	v_cmp_gt_u32_e64 s0, 8, v20
	v_lshlrev_b64 v[4:5], 2, v[2:3]
	v_add_co_ci_u32_e32 v16, vcc_lo, v19, v17, vcc_lo
	v_mov_b32_e32 v17, 0
	s_add_i32 s27, s15, s1
	s_mul_i32 s26, s22, s12
	s_lshl_b64 s[24:25], s[12:13], 2
	s_lshl_b64 s[26:27], s[26:27], 1
	;; [unrolled: 1-line block ×3, first 2 shown]
	s_branch .LBB110_7
.LBB110_5:                              ;   in Loop: Header=BB110_7 Depth=1
	s_or_b32 exec_lo, exec_lo, s13
.LBB110_6:                              ;   in Loop: Header=BB110_7 Depth=1
	s_delay_alu instid0(SALU_CYCLE_1) | instskip(SKIP_4) | instid1(VALU_DEP_4)
	s_or_b32 exec_lo, exec_lo, s1
	v_add_co_u32 v20, vcc_lo, s4, v0
	v_add_co_ci_u32_e32 v21, vcc_lo, s5, v16, vcc_lo
	v_add_co_u32 v22, vcc_lo, s6, v0
	v_add_co_ci_u32_e32 v23, vcc_lo, s7, v16, vcc_lo
	v_add_co_u32 v24, vcc_lo, v20, s22
	s_delay_alu instid0(VALU_DEP_4) | instskip(NEXT) | instid1(VALU_DEP_4)
	v_add_co_ci_u32_e32 v25, vcc_lo, s23, v21, vcc_lo
	v_add_co_u32 v26, vcc_lo, v22, s22
	s_delay_alu instid0(VALU_DEP_4) | instskip(NEXT) | instid1(VALU_DEP_4)
	v_add_co_ci_u32_e32 v27, vcc_lo, s23, v23, vcc_lo
	v_add_co_u32 v28, vcc_lo, v24, s22
	s_delay_alu instid0(VALU_DEP_4)
	v_add_co_ci_u32_e32 v29, vcc_lo, s23, v25, vcc_lo
	global_load_u16 v30, v[20:21], off
	global_load_u16 v31, v[22:23], off
	;; [unrolled: 1-line block ×5, first 2 shown]
	v_add_co_u32 v20, vcc_lo, v26, s22
	v_add_co_ci_u32_e32 v21, vcc_lo, s23, v27, vcc_lo
	v_add_co_u32 v22, vcc_lo, v28, s22
	v_add_co_ci_u32_e32 v23, vcc_lo, s23, v29, vcc_lo
	s_delay_alu instid0(VALU_DEP_4) | instskip(NEXT) | instid1(VALU_DEP_4)
	v_add_co_u32 v24, vcc_lo, v20, s22
	v_add_co_ci_u32_e32 v25, vcc_lo, s23, v21, vcc_lo
	s_delay_alu instid0(VALU_DEP_4) | instskip(NEXT) | instid1(VALU_DEP_4)
	;; [unrolled: 3-line block ×3, first 2 shown]
	v_add_co_u32 v28, vcc_lo, v24, s22
	v_add_co_ci_u32_e32 v29, vcc_lo, s23, v25, vcc_lo
	global_load_u16 v35, v[20:21], off
	global_load_u16 v36, v[22:23], off
	;; [unrolled: 1-line block ×5, first 2 shown]
	v_add_co_u32 v20, vcc_lo, v26, s22
	v_add_co_ci_u32_e32 v21, vcc_lo, s23, v27, vcc_lo
	v_add_co_u32 v22, vcc_lo, v28, s22
	v_add_co_ci_u32_e32 v23, vcc_lo, s23, v29, vcc_lo
	s_delay_alu instid0(VALU_DEP_4) | instskip(NEXT) | instid1(VALU_DEP_4)
	v_add_co_u32 v24, vcc_lo, v20, s22
	v_add_co_ci_u32_e32 v25, vcc_lo, s23, v21, vcc_lo
	s_delay_alu instid0(VALU_DEP_4) | instskip(NEXT) | instid1(VALU_DEP_4)
	v_add_co_u32 v26, vcc_lo, v22, s22
	v_add_co_ci_u32_e32 v27, vcc_lo, s23, v23, vcc_lo
	global_load_u16 v28, v[20:21], off
	global_load_u16 v29, v[22:23], off
	;; [unrolled: 1-line block ×4, first 2 shown]
	v_add_co_u32 v20, vcc_lo, v26, s22
	v_add_co_ci_u32_e32 v21, vcc_lo, s23, v27, vcc_lo
	v_add_co_u32 v22, vcc_lo, v24, s22
	v_add_co_ci_u32_e32 v23, vcc_lo, s23, v25, vcc_lo
	global_load_u16 v20, v[20:21], off
	global_load_u16 v21, v[22:23], off
	s_waitcnt vmcnt(17)
	ds_bpermute_b32 v25, v9, v18
	ds_bpermute_b32 v22, v1, v18
	s_waitcnt vmcnt(16)
	ds_bpermute_b32 v23, v1, v19
	ds_bpermute_b32 v24, v9, v19
	;; [unrolled: 1-line block ×14, first 2 shown]
	v_add_co_u32 v4, vcc_lo, v4, s24
	s_add_u32 s2, s2, s12
	v_add_co_ci_u32_e32 v5, vcc_lo, s25, v5, vcc_lo
	s_addc_u32 s3, s3, 0
	v_add_co_u32 v2, vcc_lo, v2, s12
	v_add_co_ci_u32_e32 v3, vcc_lo, 0, v3, vcc_lo
	v_cmp_lt_i64_e64 s1, s[2:3], s[20:21]
	v_add_co_u32 v0, vcc_lo, v0, s26
	v_add_co_ci_u32_e32 v16, vcc_lo, s27, v16, vcc_lo
	s_delay_alu instid0(VALU_DEP_3) | instskip(SKIP_3) | instid1(VALU_DEP_1)
	s_and_b32 vcc_lo, exec_lo, s1
	s_waitcnt vmcnt(12)
	v_lshlrev_b32_e32 v33, 16, v33
	s_waitcnt lgkmcnt(15)
	v_dual_sub_f32 v25, v33, v25 :: v_dual_lshlrev_b32 v30, 16, v30
	v_lshlrev_b32_e32 v31, 16, v31
	s_delay_alu instid0(VALU_DEP_2) | instskip(SKIP_1) | instid1(VALU_DEP_2)
	v_add_f32_e32 v17, v17, v30
	s_waitcnt lgkmcnt(14)
	v_sub_f32_e32 v22, v31, v22
	s_delay_alu instid0(VALU_DEP_1) | instskip(SKIP_1) | instid1(VALU_DEP_1)
	v_mul_f32_e32 v22, v22, v30
	s_waitcnt vmcnt(11) lgkmcnt(13)
	v_dual_fmac_f32 v13, v22, v23 :: v_dual_lshlrev_b32 v30, 16, v34
	v_lshlrev_b32_e32 v31, 16, v32
	s_waitcnt vmcnt(8)
	s_delay_alu instid0(VALU_DEP_1) | instskip(SKIP_1) | instid1(VALU_DEP_1)
	v_dual_mul_f32 v22, v25, v31 :: v_dual_lshlrev_b32 v25, 16, v37
	s_waitcnt lgkmcnt(12)
	v_dual_fmac_f32 v13, v22, v24 :: v_dual_lshlrev_b32 v32, 16, v35
	s_waitcnt vmcnt(6)
	v_lshlrev_b32_e32 v24, 16, v39
	s_waitcnt lgkmcnt(11)
	s_delay_alu instid0(VALU_DEP_2) | instskip(NEXT) | instid1(VALU_DEP_1)
	v_sub_f32_e32 v23, v32, v27
	v_dual_mul_f32 v22, v23, v30 :: v_dual_add_f32 v17, v17, v31
	s_waitcnt lgkmcnt(9)
	v_sub_f32_e32 v23, v25, v43
	s_waitcnt vmcnt(5)
	s_delay_alu instid0(VALU_DEP_2) | instskip(SKIP_3) | instid1(VALU_DEP_1)
	v_dual_fmac_f32 v13, v22, v26 :: v_dual_lshlrev_b32 v26, 16, v28
	s_waitcnt vmcnt(1)
	v_lshlrev_b32_e32 v20, 16, v20
	s_waitcnt vmcnt(0) lgkmcnt(5)
	v_dual_sub_f32 v18, v20, v18 :: v_dual_lshlrev_b32 v21, 16, v21
	s_delay_alu instid0(VALU_DEP_1) | instskip(SKIP_1) | instid1(VALU_DEP_1)
	v_dual_mul_f32 v18, v18, v21 :: v_dual_lshlrev_b32 v25, 16, v38
	v_lshlrev_b32_e32 v27, 16, v36
	v_dual_add_f32 v17, v17, v30 :: v_dual_mul_f32 v22, v23, v27
	v_sub_f32_e32 v23, v24, v45
	s_waitcnt lgkmcnt(4)
	s_delay_alu instid0(VALU_DEP_2) | instskip(NEXT) | instid1(VALU_DEP_1)
	v_dual_fmac_f32 v13, v22, v42 :: v_dual_lshlrev_b32 v24, 16, v29
	v_dual_mul_f32 v22, v23, v25 :: v_dual_sub_f32 v23, v24, v47
	v_dual_add_f32 v17, v17, v27 :: v_dual_lshlrev_b32 v24, 16, v41
	s_waitcnt lgkmcnt(3)
	s_delay_alu instid0(VALU_DEP_2) | instskip(NEXT) | instid1(VALU_DEP_2)
	v_dual_fmac_f32 v13, v22, v44 :: v_dual_mul_f32 v22, v23, v26
	v_add_f32_e32 v17, v17, v25
	v_lshlrev_b32_e32 v25, 16, v40
	v_sub_f32_e32 v23, v24, v49
	s_waitcnt lgkmcnt(2)
	v_fmac_f32_e32 v13, v22, v46
	s_delay_alu instid0(VALU_DEP_2) | instskip(NEXT) | instid1(VALU_DEP_1)
	v_dual_add_f32 v17, v17, v26 :: v_dual_mul_f32 v22, v23, v25
	v_add_f32_e32 v17, v17, v25
	s_waitcnt lgkmcnt(1)
	s_delay_alu instid0(VALU_DEP_2) | instskip(NEXT) | instid1(VALU_DEP_2)
	v_fmac_f32_e32 v13, v22, v48
	v_add_f32_e32 v17, v17, v21
	s_waitcnt lgkmcnt(0)
	s_delay_alu instid0(VALU_DEP_2)
	v_fmac_f32_e32 v13, v18, v19
	s_cbranch_vccz .LBB110_10
.LBB110_7:                              ; =>This Inner Loop Header: Depth=1
	v_dual_mov_b32 v19, 0 :: v_dual_mov_b32 v18, 0
	s_and_saveexec_b32 s1, s0
	s_cbranch_execz .LBB110_6
; %bb.8:                                ;   in Loop: Header=BB110_7 Depth=1
	v_dual_mov_b32 v18, 0 :: v_dual_mov_b32 v19, 0
	s_mov_b32 s13, exec_lo
	v_cmpx_gt_i64_e64 s[20:21], v[2:3]
	s_cbranch_execz .LBB110_5
; %bb.9:                                ;   in Loop: Header=BB110_7 Depth=1
	v_add_co_u32 v18, vcc_lo, s8, v4
	v_add_co_ci_u32_e32 v19, vcc_lo, s9, v5, vcc_lo
	v_add_co_u32 v20, vcc_lo, s10, v4
	v_add_co_ci_u32_e32 v21, vcc_lo, s11, v5, vcc_lo
	global_load_b32 v18, v[18:19], off
	global_load_b32 v19, v[20:21], off
	s_branch .LBB110_5
.LBB110_10:
	v_mov_b32_e32 v2, v7
.LBB110_11:
	s_delay_alu instid0(VALU_DEP_2) | instskip(NEXT) | instid1(VALU_DEP_2)
	v_lshrrev_b32_e32 v3, 5, v6
	v_mad_u32_u24 v1, v2, 33, v6
	s_mov_b32 s15, 0
	s_mov_b32 s0, exec_lo
	s_delay_alu instid0(VALU_DEP_2) | instskip(NEXT) | instid1(VALU_DEP_2)
	v_add_nc_u32_e32 v0, v3, v2
	v_lshl_add_u32 v1, v1, 2, 0
	ds_store_b32 v1, v13
	ds_store_b32 v1, v17 offset:1056
	s_waitcnt lgkmcnt(0)
	s_barrier
	buffer_gl0_inv
	v_cmpx_gt_u32_e32 32, v0
	s_cbranch_execz .LBB110_21
; %bb.12:
	v_mbcnt_lo_u32_b32 v1, -1, 0
	s_lshl_b64 s[4:5], s[14:15], 5
	v_cmp_eq_u32_e64 s0, 0, v6
	s_cmp_lg_u64 s[16:17], 0
	s_cselect_b32 s3, -1, 0
	v_xor_b32_e32 v5, 4, v1
	v_xor_b32_e32 v8, 2, v1
	;; [unrolled: 1-line block ×3, first 2 shown]
	s_cmp_lg_u64 s[18:19], 0
	s_delay_alu instid0(VALU_DEP_3)
	v_cmp_gt_i32_e32 vcc_lo, 32, v5
	v_and_b32_e32 v4, 31, v6
	v_or_b32_e32 v6, s4, v3
	s_cselect_b32 s4, -1, 0
	v_cndmask_b32_e32 v7, v1, v5, vcc_lo
	v_cmp_gt_i32_e32 vcc_lo, 32, v8
	v_cmp_gt_u32_e64 s1, 8, v4
	v_mul_u32_u24_e32 v10, 33, v4
	v_add_co_u32 v4, s2, v6, v2
	s_delay_alu instid0(VALU_DEP_1)
	v_add_co_ci_u32_e64 v5, null, s5, 0, s2
	v_cndmask_b32_e32 v6, v1, v8, vcc_lo
	v_cmp_gt_i32_e32 vcc_lo, 32, v9
	v_add3_u32 v10, v10, v2, v3
	v_cndmask_b32_e32 v1, v1, v9, vcc_lo
	v_lshlrev_b64 v[8:9], 1, v[4:5]
	v_lshlrev_b32_e32 v4, 2, v7
	v_add_nc_u32_e32 v7, -8, v0
	v_lshlrev_b32_e32 v5, 2, v6
	v_lshlrev_b32_e32 v6, 2, v1
	v_add_co_u32 v0, vcc_lo, s18, v8
	v_add_co_ci_u32_e32 v1, vcc_lo, s19, v9, vcc_lo
	v_add_co_u32 v2, vcc_lo, s16, v8
	v_add_co_ci_u32_e32 v3, vcc_lo, s17, v9, vcc_lo
	v_lshl_add_u32 v8, v10, 2, 0
                                        ; implicit-def: $vgpr9
                                        ; implicit-def: $vgpr10
	s_branch .LBB110_14
.LBB110_13:                             ;   in Loop: Header=BB110_14 Depth=1
	s_or_b32 exec_lo, exec_lo, s2
	v_add_nc_u32_e32 v7, 8, v7
	v_add_co_u32 v0, vcc_lo, v0, 16
	v_add_co_ci_u32_e32 v1, vcc_lo, 0, v1, vcc_lo
	s_delay_alu instid0(VALU_DEP_3) | instskip(SKIP_1) | instid1(VALU_DEP_1)
	v_cmp_lt_u32_e32 vcc_lo, 23, v7
	v_add_co_u32 v2, s2, v2, 16
	v_add_co_ci_u32_e64 v3, s2, 0, v3, s2
	v_add_nc_u32_e32 v8, 32, v8
	s_or_b32 s15, vcc_lo, s15
	s_delay_alu instid0(SALU_CYCLE_1)
	s_and_not1_b32 exec_lo, exec_lo, s15
	s_cbranch_execz .LBB110_21
.LBB110_14:                             ; =>This Inner Loop Header: Depth=1
	s_and_saveexec_b32 s2, s1
	s_cbranch_execz .LBB110_16
; %bb.15:                               ;   in Loop: Header=BB110_14 Depth=1
	ds_load_b32 v9, v8
	ds_load_b32 v10, v8 offset:1056
.LBB110_16:                             ;   in Loop: Header=BB110_14 Depth=1
	s_or_b32 exec_lo, exec_lo, s2
	s_waitcnt lgkmcnt(1)
	ds_bpermute_b32 v11, v4, v9
	s_waitcnt lgkmcnt(1)
	ds_bpermute_b32 v12, v4, v10
	s_waitcnt lgkmcnt(0)
	v_dual_add_f32 v9, v9, v11 :: v_dual_add_f32 v10, v10, v12
	ds_bpermute_b32 v11, v5, v9
	ds_bpermute_b32 v12, v5, v10
	s_waitcnt lgkmcnt(0)
	v_dual_add_f32 v9, v9, v11 :: v_dual_add_f32 v10, v10, v12
	ds_bpermute_b32 v11, v6, v9
	ds_bpermute_b32 v12, v6, v10
	s_waitcnt lgkmcnt(0)
	v_dual_add_f32 v9, v9, v11 :: v_dual_add_f32 v10, v10, v12
	s_and_saveexec_b32 s2, s0
	s_cbranch_execz .LBB110_13
; %bb.17:                               ;   in Loop: Header=BB110_14 Depth=1
	s_and_not1_b32 vcc_lo, exec_lo, s3
	s_cbranch_vccnz .LBB110_19
; %bb.18:                               ;   in Loop: Header=BB110_14 Depth=1
	v_bfe_u32 v11, v9, 16, 1
	v_cmp_o_f32_e32 vcc_lo, v9, v9
	s_delay_alu instid0(VALU_DEP_2) | instskip(NEXT) | instid1(VALU_DEP_1)
	v_add3_u32 v11, v9, v11, 0x7fff
	v_lshrrev_b32_e32 v11, 16, v11
	s_delay_alu instid0(VALU_DEP_1)
	v_cndmask_b32_e32 v11, 0x7fc0, v11, vcc_lo
	global_store_b16 v[2:3], v11, off
.LBB110_19:                             ;   in Loop: Header=BB110_14 Depth=1
	s_and_not1_b32 vcc_lo, exec_lo, s4
	s_cbranch_vccnz .LBB110_13
; %bb.20:                               ;   in Loop: Header=BB110_14 Depth=1
	v_bfe_u32 v11, v10, 16, 1
	v_cmp_o_f32_e32 vcc_lo, v10, v10
	s_delay_alu instid0(VALU_DEP_2) | instskip(NEXT) | instid1(VALU_DEP_1)
	v_add3_u32 v11, v10, v11, 0x7fff
	v_lshrrev_b32_e32 v11, 16, v11
	s_delay_alu instid0(VALU_DEP_1)
	v_cndmask_b32_e32 v11, 0x7fc0, v11, vcc_lo
	global_store_b16 v[0:1], v11, off
	s_branch .LBB110_13
.LBB110_21:
	s_nop 0
	s_sendmsg sendmsg(MSG_DEALLOC_VGPRS)
	s_endpgm
	.section	.rodata,"a",@progbits
	.p2align	6, 0x0
	.amdhsa_kernel _ZN2at6native12_GLOBAL__N_135GammaBetaBackwardCUDAKernelTemplateIN3c108BFloat16EfLj32ELj8ELj64ELb0ELb1ELb0EEEvllPKT_S7_PKT0_SA_PS5_SB_
		.amdhsa_group_segment_fixed_size 0
		.amdhsa_private_segment_fixed_size 0
		.amdhsa_kernarg_size 320
		.amdhsa_user_sgpr_count 14
		.amdhsa_user_sgpr_dispatch_ptr 0
		.amdhsa_user_sgpr_queue_ptr 0
		.amdhsa_user_sgpr_kernarg_segment_ptr 1
		.amdhsa_user_sgpr_dispatch_id 0
		.amdhsa_user_sgpr_private_segment_size 0
		.amdhsa_wavefront_size32 1
		.amdhsa_uses_dynamic_stack 0
		.amdhsa_enable_private_segment 0
		.amdhsa_system_sgpr_workgroup_id_x 1
		.amdhsa_system_sgpr_workgroup_id_y 1
		.amdhsa_system_sgpr_workgroup_id_z 0
		.amdhsa_system_sgpr_workgroup_info 0
		.amdhsa_system_vgpr_workitem_id 1
		.amdhsa_next_free_vgpr 50
		.amdhsa_next_free_sgpr 28
		.amdhsa_reserve_vcc 1
		.amdhsa_float_round_mode_32 0
		.amdhsa_float_round_mode_16_64 0
		.amdhsa_float_denorm_mode_32 3
		.amdhsa_float_denorm_mode_16_64 3
		.amdhsa_dx10_clamp 1
		.amdhsa_ieee_mode 1
		.amdhsa_fp16_overflow 0
		.amdhsa_workgroup_processor_mode 1
		.amdhsa_memory_ordered 1
		.amdhsa_forward_progress 0
		.amdhsa_shared_vgpr_count 0
		.amdhsa_exception_fp_ieee_invalid_op 0
		.amdhsa_exception_fp_denorm_src 0
		.amdhsa_exception_fp_ieee_div_zero 0
		.amdhsa_exception_fp_ieee_overflow 0
		.amdhsa_exception_fp_ieee_underflow 0
		.amdhsa_exception_fp_ieee_inexact 0
		.amdhsa_exception_int_div_zero 0
	.end_amdhsa_kernel
	.section	.text._ZN2at6native12_GLOBAL__N_135GammaBetaBackwardCUDAKernelTemplateIN3c108BFloat16EfLj32ELj8ELj64ELb0ELb1ELb0EEEvllPKT_S7_PKT0_SA_PS5_SB_,"axG",@progbits,_ZN2at6native12_GLOBAL__N_135GammaBetaBackwardCUDAKernelTemplateIN3c108BFloat16EfLj32ELj8ELj64ELb0ELb1ELb0EEEvllPKT_S7_PKT0_SA_PS5_SB_,comdat
.Lfunc_end110:
	.size	_ZN2at6native12_GLOBAL__N_135GammaBetaBackwardCUDAKernelTemplateIN3c108BFloat16EfLj32ELj8ELj64ELb0ELb1ELb0EEEvllPKT_S7_PKT0_SA_PS5_SB_, .Lfunc_end110-_ZN2at6native12_GLOBAL__N_135GammaBetaBackwardCUDAKernelTemplateIN3c108BFloat16EfLj32ELj8ELj64ELb0ELb1ELb0EEEvllPKT_S7_PKT0_SA_PS5_SB_
                                        ; -- End function
	.section	.AMDGPU.csdata,"",@progbits
; Kernel info:
; codeLenInByte = 1916
; NumSgprs: 30
; NumVgprs: 50
; ScratchSize: 0
; MemoryBound: 0
; FloatMode: 240
; IeeeMode: 1
; LDSByteSize: 0 bytes/workgroup (compile time only)
; SGPRBlocks: 3
; VGPRBlocks: 6
; NumSGPRsForWavesPerEU: 30
; NumVGPRsForWavesPerEU: 50
; Occupancy: 16
; WaveLimiterHint : 0
; COMPUTE_PGM_RSRC2:SCRATCH_EN: 0
; COMPUTE_PGM_RSRC2:USER_SGPR: 14
; COMPUTE_PGM_RSRC2:TRAP_HANDLER: 0
; COMPUTE_PGM_RSRC2:TGID_X_EN: 1
; COMPUTE_PGM_RSRC2:TGID_Y_EN: 1
; COMPUTE_PGM_RSRC2:TGID_Z_EN: 0
; COMPUTE_PGM_RSRC2:TIDIG_COMP_CNT: 1
	.section	.text._ZN2at6native12_GLOBAL__N_135GammaBetaBackwardCUDAKernelTemplateIN3c108BFloat16EfLj32ELj8ELj64ELb0ELb0ELb0EEEvllPKT_S7_PKT0_SA_PS5_SB_,"axG",@progbits,_ZN2at6native12_GLOBAL__N_135GammaBetaBackwardCUDAKernelTemplateIN3c108BFloat16EfLj32ELj8ELj64ELb0ELb0ELb0EEEvllPKT_S7_PKT0_SA_PS5_SB_,comdat
	.globl	_ZN2at6native12_GLOBAL__N_135GammaBetaBackwardCUDAKernelTemplateIN3c108BFloat16EfLj32ELj8ELj64ELb0ELb0ELb0EEEvllPKT_S7_PKT0_SA_PS5_SB_ ; -- Begin function _ZN2at6native12_GLOBAL__N_135GammaBetaBackwardCUDAKernelTemplateIN3c108BFloat16EfLj32ELj8ELj64ELb0ELb0ELb0EEEvllPKT_S7_PKT0_SA_PS5_SB_
	.p2align	8
	.type	_ZN2at6native12_GLOBAL__N_135GammaBetaBackwardCUDAKernelTemplateIN3c108BFloat16EfLj32ELj8ELj64ELb0ELb0ELb0EEEvllPKT_S7_PKT0_SA_PS5_SB_,@function
_ZN2at6native12_GLOBAL__N_135GammaBetaBackwardCUDAKernelTemplateIN3c108BFloat16EfLj32ELj8ELj64ELb0ELb0ELb0EEEvllPKT_S7_PKT0_SA_PS5_SB_: ; @_ZN2at6native12_GLOBAL__N_135GammaBetaBackwardCUDAKernelTemplateIN3c108BFloat16EfLj32ELj8ELj64ELb0ELb0ELb0EEEvllPKT_S7_PKT0_SA_PS5_SB_
; %bb.0:
	s_clause 0x1
	s_load_b256 s[4:11], s[0:1], 0x0
	s_load_b128 s[24:27], s[0:1], 0x20
	s_mov_b32 s29, 0
	s_lshl_b32 s12, s15, 6
	s_mov_b32 s13, s29
	s_lshl_b32 s33, s14, 5
	s_delay_alu instid0(SALU_CYCLE_1) | instskip(SKIP_3) | instid1(VALU_DEP_2)
	s_or_b32 s28, s33, 31
	s_waitcnt lgkmcnt(0)
	v_cmp_lt_i64_e64 s15, s[12:13], s[4:5]
	v_cmp_ge_i64_e64 s2, s[28:29], s[6:7]
	v_cndmask_b32_e64 v1, 0, 1, s15
	s_delay_alu instid0(VALU_DEP_2) | instskip(NEXT) | instid1(VALU_DEP_1)
	s_and_b32 vcc_lo, exec_lo, s2
	v_cmp_ne_u32_e64 s2, 1, v1
	s_cbranch_vccz .LBB111_49
; %bb.1:
	v_dual_mov_b32 v1, 0 :: v_dual_mov_b32 v58, 0
	s_delay_alu instid0(VALU_DEP_2)
	s_and_b32 vcc_lo, exec_lo, s2
	s_cbranch_vccnz .LBB111_50
; %bb.2:
	v_bfe_u32 v27, v0, 10, 10
	s_load_b32 s3, s[0:1], 0x44
	v_dual_mov_b32 v2, 0 :: v_dual_and_b32 v29, 0x3ff, v0
	s_add_u32 s30, s0, 64
	s_delay_alu instid0(VALU_DEP_2) | instskip(NEXT) | instid1(VALU_DEP_2)
	v_dual_mov_b32 v63, 0 :: v_dual_lshlrev_b32 v28, 3, v27
	v_dual_mov_b32 v58, 0 :: v_dual_add_nc_u32 v1, s33, v29
	s_addc_u32 s31, s1, 0
	s_delay_alu instid0(VALU_DEP_2) | instskip(NEXT) | instid1(VALU_DEP_1)
	v_add_co_u32 v9, s2, v28, s12
	v_add_co_ci_u32_e64 v10, null, 0, 0, s2
	s_delay_alu instid0(VALU_DEP_3) | instskip(NEXT) | instid1(VALU_DEP_3)
	v_cmp_gt_i64_e64 s2, s[6:7], v[1:2]
	v_add_co_u32 v5, vcc_lo, v9, 7
	s_delay_alu instid0(VALU_DEP_3) | instskip(SKIP_1) | instid1(VALU_DEP_3)
	v_add_co_ci_u32_e32 v3, vcc_lo, 0, v10, vcc_lo
	v_add_co_u32 v8, vcc_lo, v9, 6
	v_mul_lo_u32 v6, s7, v5
	s_delay_alu instid0(VALU_DEP_3)
	v_mul_lo_u32 v7, s6, v3
	v_mad_u64_u32 v[3:4], null, s6, v5, 0
	v_add_co_ci_u32_e32 v5, vcc_lo, 0, v10, vcc_lo
	v_lshlrev_b64 v[25:26], 1, v[1:2]
	v_mul_lo_u32 v1, s7, v8
	s_waitcnt lgkmcnt(0)
	s_lshl_b32 s28, s3, 6
	s_mov_b32 s16, 0
	s_delay_alu instid0(VALU_DEP_4) | instskip(SKIP_3) | instid1(VALU_DEP_3)
	v_add3_u32 v4, v4, v7, v6
	v_mul_lo_u32 v7, s6, v5
	v_mad_u64_u32 v[5:6], null, s6, v8, 0
	s_mul_i32 s3, s7, s28
	v_lshlrev_b64 v[3:4], 1, v[3:4]
	s_mul_hi_u32 s17, s6, s28
	s_mul_i32 s18, s6, s28
	s_add_i32 s19, s17, s3
	s_mov_b64 s[38:39], s[12:13]
	s_delay_alu instid0(VALU_DEP_2) | instskip(SKIP_4) | instid1(VALU_DEP_1)
	v_add3_u32 v6, v6, v7, v1
	v_add_co_u32 v30, vcc_lo, s8, v3
	v_add_co_ci_u32_e32 v31, vcc_lo, s9, v4, vcc_lo
	v_add_co_u32 v1, vcc_lo, v9, 5
	v_add_co_u32 v32, s3, s10, v3
	v_add_co_ci_u32_e64 v33, s3, s11, v4, s3
	v_lshlrev_b64 v[3:4], 1, v[5:6]
	v_add_co_ci_u32_e32 v5, vcc_lo, 0, v10, vcc_lo
	v_add_co_u32 v12, vcc_lo, v9, 4
	v_mul_lo_u32 v11, s7, v1
	s_delay_alu instid0(VALU_DEP_3) | instskip(SKIP_4) | instid1(VALU_DEP_3)
	v_mul_lo_u32 v13, s6, v5
	v_mad_u64_u32 v[5:6], null, s6, v1, 0
	v_add_co_ci_u32_e32 v7, vcc_lo, 0, v10, vcc_lo
	v_mul_lo_u32 v1, s7, v12
	v_add_co_u32 v34, vcc_lo, s8, v3
	v_mul_lo_u32 v14, s6, v7
	v_mad_u64_u32 v[7:8], null, s6, v12, 0
	v_add3_u32 v6, v6, v13, v11
	v_add_co_ci_u32_e32 v35, vcc_lo, s9, v4, vcc_lo
	v_add_co_u32 v36, vcc_lo, s10, v3
	v_add_co_ci_u32_e32 v37, vcc_lo, s11, v4, vcc_lo
	s_delay_alu instid0(VALU_DEP_4) | instskip(SKIP_3) | instid1(VALU_DEP_4)
	v_lshlrev_b64 v[3:4], 1, v[5:6]
	v_add3_u32 v8, v8, v14, v1
	v_add_co_u32 v1, vcc_lo, v9, 3
	v_add_co_ci_u32_e32 v11, vcc_lo, 0, v10, vcc_lo
	v_add_co_u32 v38, vcc_lo, s8, v3
	s_delay_alu instid0(VALU_DEP_4)
	v_lshlrev_b64 v[5:6], 1, v[7:8]
	v_add_co_ci_u32_e32 v39, vcc_lo, s9, v4, vcc_lo
	v_mul_lo_u32 v12, s7, v1
	v_mul_lo_u32 v11, s6, v11
	v_mad_u64_u32 v[7:8], null, s6, v1, 0
	v_add_co_u32 v40, vcc_lo, s10, v3
	v_add_co_ci_u32_e32 v41, vcc_lo, s11, v4, vcc_lo
	v_add_co_u32 v42, vcc_lo, s8, v5
	v_add_co_ci_u32_e32 v43, vcc_lo, s9, v6, vcc_lo
	v_add_co_u32 v1, vcc_lo, v9, 2
	v_add3_u32 v8, v8, v11, v12
	v_add_co_ci_u32_e32 v11, vcc_lo, 0, v10, vcc_lo
	v_add_co_u32 v44, vcc_lo, s10, v5
	v_add_co_ci_u32_e32 v45, vcc_lo, s11, v6, vcc_lo
	v_mul_lo_u32 v12, s7, v1
	s_delay_alu instid0(VALU_DEP_4)
	v_mul_lo_u32 v11, s6, v11
	v_mad_u64_u32 v[5:6], null, s6, v1, 0
	v_lshlrev_b64 v[3:4], 1, v[7:8]
	v_mul_lo_u32 v1, s7, v9
	v_mul_lo_u32 v10, s6, v10
	v_mad_u64_u32 v[7:8], null, s6, v9, 0
	s_lshl_b64 s[34:35], s[18:19], 1
	s_delay_alu instid0(VALU_DEP_4)
	v_add_co_u32 v46, vcc_lo, s8, v3
	v_add3_u32 v6, v6, v11, v12
	v_add_co_ci_u32_e32 v47, vcc_lo, s9, v4, vcc_lo
	v_add_co_u32 v48, vcc_lo, s10, v3
	v_add3_u32 v8, v8, v10, v1
	v_add_co_ci_u32_e32 v49, vcc_lo, s11, v4, vcc_lo
	v_lshlrev_b64 v[3:4], 1, v[5:6]
	v_add_co_u32 v5, vcc_lo, v7, s6
	s_delay_alu instid0(VALU_DEP_4) | instskip(SKIP_1) | instid1(VALU_DEP_3)
	v_add_co_ci_u32_e32 v6, vcc_lo, s7, v8, vcc_lo
	s_add_u32 s36, s12, 63
	v_add_co_u32 v50, vcc_lo, s8, v3
	s_delay_alu instid0(VALU_DEP_2) | instskip(SKIP_3) | instid1(VALU_DEP_4)
	v_lshlrev_b64 v[5:6], 1, v[5:6]
	v_add_co_ci_u32_e32 v51, vcc_lo, s9, v4, vcc_lo
	v_add_co_u32 v52, vcc_lo, s10, v3
	v_add_co_ci_u32_e32 v53, vcc_lo, s11, v4, vcc_lo
	v_add_co_u32 v54, vcc_lo, s8, v5
	v_lshlrev_b64 v[3:4], 1, v[7:8]
	v_add_co_ci_u32_e32 v55, vcc_lo, s9, v6, vcc_lo
	v_add_co_u32 v56, vcc_lo, s10, v5
	v_add_co_ci_u32_e32 v57, vcc_lo, s11, v6, vcc_lo
	s_delay_alu instid0(VALU_DEP_4)
	v_add_co_u32 v59, vcc_lo, s8, v3
	v_add_co_ci_u32_e32 v60, vcc_lo, s9, v4, vcc_lo
	v_add_co_u32 v61, vcc_lo, s10, v3
	v_add_co_ci_u32_e32 v62, vcc_lo, s11, v4, vcc_lo
	s_addc_u32 s37, 0, 0
.LBB111_3:                              ; =>This Inner Loop Header: Depth=1
	s_delay_alu instid0(SALU_CYCLE_1) | instskip(SKIP_1) | instid1(VALU_DEP_1)
	v_cmp_ge_i64_e64 s3, s[36:37], s[4:5]
	v_add_co_u32 v64, s17, v28, s36
	v_add_co_ci_u32_e64 v65, null, 0, s37, s17
	s_delay_alu instid0(VALU_DEP_3)
	s_and_b32 vcc_lo, exec_lo, s3
	s_cbranch_vccz .LBB111_25
; %bb.4:                                ;   in Loop: Header=BB111_3 Depth=1
	s_load_b32 s3, s[30:31], 0xc
	v_dual_mov_b32 v67, 0 :: v_dual_mov_b32 v66, 0
	s_waitcnt lgkmcnt(0)
	s_and_b32 s3, s3, 0xffff
	s_delay_alu instid0(SALU_CYCLE_1) | instskip(SKIP_1) | instid1(VALU_DEP_1)
	v_mad_u32_u24 v1, v27, s3, v29
	s_mov_b32 s3, exec_lo
	v_and_b32_e32 v1, 31, v1
	s_delay_alu instid0(VALU_DEP_1)
	v_cmpx_gt_u32_e32 8, v1
	s_cbranch_execz .LBB111_8
; %bb.5:                                ;   in Loop: Header=BB111_3 Depth=1
	v_add_co_u32 v1, vcc_lo, v64, v1
	v_add_co_ci_u32_e32 v4, vcc_lo, 0, v65, vcc_lo
	v_dual_mov_b32 v66, 0 :: v_dual_mov_b32 v67, 0
	s_delay_alu instid0(VALU_DEP_3) | instskip(NEXT) | instid1(VALU_DEP_3)
	v_add_co_u32 v3, vcc_lo, 0xffffffc1, v1
	v_add_co_ci_u32_e32 v4, vcc_lo, -1, v4, vcc_lo
	s_mov_b32 s17, exec_lo
	s_delay_alu instid0(VALU_DEP_1)
	v_cmpx_gt_i64_e64 s[4:5], v[3:4]
	s_cbranch_execz .LBB111_7
; %bb.6:                                ;   in Loop: Header=BB111_3 Depth=1
	v_lshlrev_b64 v[3:4], 2, v[3:4]
	s_delay_alu instid0(VALU_DEP_1) | instskip(NEXT) | instid1(VALU_DEP_2)
	v_add_co_u32 v5, vcc_lo, s24, v3
	v_add_co_ci_u32_e32 v6, vcc_lo, s25, v4, vcc_lo
	v_add_co_u32 v3, vcc_lo, s26, v3
	v_add_co_ci_u32_e32 v4, vcc_lo, s27, v4, vcc_lo
	global_load_b32 v66, v[5:6], off
	global_load_b32 v67, v[3:4], off
.LBB111_7:                              ;   in Loop: Header=BB111_3 Depth=1
	s_or_b32 exec_lo, exec_lo, s17
.LBB111_8:                              ;   in Loop: Header=BB111_3 Depth=1
	s_delay_alu instid0(SALU_CYCLE_1)
	s_or_b32 exec_lo, exec_lo, s3
	v_add_co_u32 v3, vcc_lo, 0xffffffc1, v64
	v_add_co_ci_u32_e32 v4, vcc_lo, -1, v65, vcc_lo
	s_mov_b32 s22, s16
	s_mov_b32 s23, s16
	;; [unrolled: 1-line block ×7, first 2 shown]
	v_dual_mov_b32 v9, s16 :: v_dual_mov_b32 v10, s17
	v_dual_mov_b32 v15, s22 :: v_dual_mov_b32 v16, s23
	;; [unrolled: 1-line block ×4, first 2 shown]
	v_cmp_gt_i64_e32 vcc_lo, s[4:5], v[3:4]
	s_delay_alu instid0(VALU_DEP_4) | instskip(NEXT) | instid1(VALU_DEP_3)
	v_dual_mov_b32 v24, v16 :: v_dual_mov_b32 v23, v15
	v_dual_mov_b32 v21, v13 :: v_dual_mov_b32 v22, v14
	;; [unrolled: 1-line block ×4, first 2 shown]
	s_and_b32 s17, s2, vcc_lo
	s_delay_alu instid0(SALU_CYCLE_1)
	s_and_saveexec_b32 s3, s17
	s_cbranch_execz .LBB111_10
; %bb.9:                                ;   in Loop: Header=BB111_3 Depth=1
	v_add_co_u32 v3, vcc_lo, v59, v25
	v_add_co_ci_u32_e32 v4, vcc_lo, v60, v26, vcc_lo
	v_add_co_u32 v5, vcc_lo, v61, v25
	v_add_co_ci_u32_e32 v6, vcc_lo, v62, v26, vcc_lo
	v_mov_b32_e32 v8, v2
	global_load_u16 v1, v[3:4], off
	global_load_u16 v9, v[5:6], off
	v_mov_b32_e32 v3, v2
	v_mov_b32_e32 v4, v2
	;; [unrolled: 1-line block ×6, first 2 shown]
	s_waitcnt vmcnt(1)
	v_lshlrev_b32_e32 v1, 16, v1
	s_waitcnt vmcnt(0)
	v_lshlrev_b32_e32 v9, 16, v9
	v_dual_mov_b32 v11, v2 :: v_dual_mov_b32 v24, v8
	v_dual_mov_b32 v10, v2 :: v_dual_mov_b32 v23, v7
	;; [unrolled: 1-line block ×6, first 2 shown]
	v_mov_b32_e32 v22, v6
	v_mov_b32_e32 v18, v2
.LBB111_10:                             ;   in Loop: Header=BB111_3 Depth=1
	s_or_b32 exec_lo, exec_lo, s3
	v_add_co_u32 v3, vcc_lo, 0xffffffc2, v64
	v_add_co_ci_u32_e32 v4, vcc_lo, -1, v65, vcc_lo
	s_delay_alu instid0(VALU_DEP_1) | instskip(SKIP_1) | instid1(SALU_CYCLE_1)
	v_cmp_gt_i64_e32 vcc_lo, s[4:5], v[3:4]
	s_and_b32 s17, s2, vcc_lo
	s_and_saveexec_b32 s3, s17
	s_cbranch_execz .LBB111_12
; %bb.11:                               ;   in Loop: Header=BB111_3 Depth=1
	v_add_co_u32 v3, vcc_lo, v54, v25
	v_add_co_ci_u32_e32 v4, vcc_lo, v55, v26, vcc_lo
	v_add_co_u32 v5, vcc_lo, v56, v25
	v_add_co_ci_u32_e32 v6, vcc_lo, v57, v26, vcc_lo
	global_load_u16 v1, v[3:4], off
	global_load_u16 v3, v[5:6], off
	s_waitcnt vmcnt(1)
	v_lshlrev_b32_e32 v18, 16, v1
	s_waitcnt vmcnt(0)
	v_lshlrev_b32_e32 v10, 16, v3
.LBB111_12:                             ;   in Loop: Header=BB111_3 Depth=1
	s_or_b32 exec_lo, exec_lo, s3
	v_add_co_u32 v3, vcc_lo, 0xffffffc3, v64
	v_add_co_ci_u32_e32 v4, vcc_lo, -1, v65, vcc_lo
	s_delay_alu instid0(VALU_DEP_1) | instskip(SKIP_1) | instid1(SALU_CYCLE_1)
	v_cmp_gt_i64_e32 vcc_lo, s[4:5], v[3:4]
	s_and_b32 s17, s2, vcc_lo
	s_and_saveexec_b32 s3, s17
	s_cbranch_execz .LBB111_14
; %bb.13:                               ;   in Loop: Header=BB111_3 Depth=1
	v_add_co_u32 v3, vcc_lo, v50, v25
	v_add_co_ci_u32_e32 v4, vcc_lo, v51, v26, vcc_lo
	v_add_co_u32 v5, vcc_lo, v52, v25
	v_add_co_ci_u32_e32 v6, vcc_lo, v53, v26, vcc_lo
	global_load_u16 v1, v[3:4], off
	global_load_u16 v3, v[5:6], off
	s_waitcnt vmcnt(1)
	v_lshlrev_b32_e32 v19, 16, v1
	s_waitcnt vmcnt(0)
	v_lshlrev_b32_e32 v11, 16, v3
.LBB111_14:                             ;   in Loop: Header=BB111_3 Depth=1
	;; [unrolled: 20-line block ×7, first 2 shown]
	s_or_b32 exec_lo, exec_lo, s3
	s_waitcnt vmcnt(1)
	ds_bpermute_b32 v1, v2, v66
	ds_bpermute_b32 v3, v2, v66 offset:4
	ds_bpermute_b32 v4, v2, v66 offset:8
	;; [unrolled: 1-line block ×3, first 2 shown]
	s_waitcnt vmcnt(0)
	ds_bpermute_b32 v5, v2, v67
	ds_bpermute_b32 v7, v2, v67 offset:4
	ds_bpermute_b32 v8, v2, v66 offset:16
	;; [unrolled: 1-line block ×5, first 2 shown]
	s_waitcnt lgkmcnt(9)
	v_sub_f32_e32 v1, v9, v1
	s_waitcnt lgkmcnt(7)
	v_dual_add_f32 v9, v58, v17 :: v_dual_sub_f32 v4, v11, v4
	s_waitcnt lgkmcnt(6)
	v_dual_sub_f32 v6, v12, v6 :: v_dual_sub_f32 v3, v10, v3
	v_mul_f32_e32 v1, v17, v1
	ds_bpermute_b32 v10, v2, v67 offset:16
	ds_bpermute_b32 v17, v2, v66 offset:24
	v_mul_f32_e32 v6, v20, v6
	v_dual_mul_f32 v4, v19, v4 :: v_dual_mul_f32 v3, v18, v3
	s_waitcnt lgkmcnt(5)
	v_sub_f32_e32 v8, v13, v8
	v_fma_f32 v1, v1, v5, v63
	ds_bpermute_b32 v5, v2, v67 offset:20
	ds_bpermute_b32 v11, v2, v67 offset:24
	v_dual_mul_f32 v8, v21, v8 :: v_dual_fmac_f32 v1, v3, v7
	v_add_f32_e32 v7, v18, v9
	ds_bpermute_b32 v3, v2, v67 offset:28
	s_waitcnt lgkmcnt(7)
	v_fmac_f32_e32 v1, v4, v68
	v_add_f32_e32 v7, v19, v7
	ds_bpermute_b32 v4, v2, v66 offset:28
	s_waitcnt lgkmcnt(6)
	v_sub_f32_e32 v9, v14, v70
	v_dual_fmac_f32 v1, v6, v69 :: v_dual_add_f32 v6, v20, v7
	s_waitcnt lgkmcnt(4)
	v_sub_f32_e32 v7, v15, v17
	s_delay_alu instid0(VALU_DEP_3) | instskip(NEXT) | instid1(VALU_DEP_3)
	v_mul_f32_e32 v9, v22, v9
	v_fmac_f32_e32 v1, v8, v10
	s_delay_alu instid0(VALU_DEP_3) | instskip(SKIP_1) | instid1(VALU_DEP_2)
	v_dual_add_f32 v6, v21, v6 :: v_dual_mul_f32 v7, v23, v7
	s_waitcnt lgkmcnt(3)
	v_fmac_f32_e32 v1, v9, v5
	s_delay_alu instid0(VALU_DEP_2) | instskip(SKIP_1) | instid1(VALU_DEP_2)
	v_add_f32_e32 v5, v22, v6
	s_waitcnt lgkmcnt(2)
	v_fmac_f32_e32 v1, v7, v11
	s_delay_alu instid0(VALU_DEP_2)
	v_add_f32_e32 v5, v23, v5
	s_branch .LBB111_40
.LBB111_25:                             ;   in Loop: Header=BB111_3 Depth=1
                                        ; implicit-def: $vgpr3
                                        ; implicit-def: $vgpr9_vgpr10_vgpr11_vgpr12_vgpr13_vgpr14_vgpr15_vgpr16
                                        ; implicit-def: $vgpr17_vgpr18_vgpr19_vgpr20_vgpr21_vgpr22_vgpr23_vgpr24
                                        ; implicit-def: $vgpr4
                                        ; implicit-def: $vgpr1
                                        ; implicit-def: $vgpr5
	s_cbranch_execz .LBB111_40
; %bb.26:                               ;   in Loop: Header=BB111_3 Depth=1
	s_load_b32 s3, s[30:31], 0x0
	v_dual_mov_b32 v67, 0 :: v_dual_mov_b32 v66, 0
	s_waitcnt lgkmcnt(0)
	s_cmp_lt_u32 s14, s3
	s_cselect_b32 s3, 12, 18
	s_delay_alu instid0(SALU_CYCLE_1)
	s_add_u32 s18, s30, s3
	s_addc_u32 s19, s31, 0
	s_mov_b32 s3, exec_lo
	global_load_u16 v1, v2, s[18:19]
	s_waitcnt vmcnt(0)
	v_mad_u32_u24 v1, v27, v1, v29
	s_delay_alu instid0(VALU_DEP_1) | instskip(NEXT) | instid1(VALU_DEP_1)
	v_and_b32_e32 v1, 31, v1
	v_cmpx_gt_u32_e32 8, v1
	s_cbranch_execz .LBB111_30
; %bb.27:                               ;   in Loop: Header=BB111_3 Depth=1
	v_add_co_u32 v1, vcc_lo, v64, v1
	v_add_co_ci_u32_e32 v4, vcc_lo, 0, v65, vcc_lo
	v_dual_mov_b32 v66, 0 :: v_dual_mov_b32 v67, 0
	s_delay_alu instid0(VALU_DEP_3) | instskip(NEXT) | instid1(VALU_DEP_3)
	v_add_co_u32 v3, vcc_lo, 0xffffffc1, v1
	v_add_co_ci_u32_e32 v4, vcc_lo, -1, v4, vcc_lo
	s_mov_b32 s17, exec_lo
	s_delay_alu instid0(VALU_DEP_1)
	v_cmpx_gt_i64_e64 s[4:5], v[3:4]
	s_cbranch_execz .LBB111_29
; %bb.28:                               ;   in Loop: Header=BB111_3 Depth=1
	v_lshlrev_b64 v[3:4], 2, v[3:4]
	s_delay_alu instid0(VALU_DEP_1) | instskip(NEXT) | instid1(VALU_DEP_2)
	v_add_co_u32 v5, vcc_lo, s24, v3
	v_add_co_ci_u32_e32 v6, vcc_lo, s25, v4, vcc_lo
	v_add_co_u32 v3, vcc_lo, s26, v3
	v_add_co_ci_u32_e32 v4, vcc_lo, s27, v4, vcc_lo
	global_load_b32 v66, v[5:6], off
	global_load_b32 v67, v[3:4], off
.LBB111_29:                             ;   in Loop: Header=BB111_3 Depth=1
	s_or_b32 exec_lo, exec_lo, s17
.LBB111_30:                             ;   in Loop: Header=BB111_3 Depth=1
	s_delay_alu instid0(SALU_CYCLE_1)
	s_or_b32 exec_lo, exec_lo, s3
	s_mov_b32 s22, s16
	s_mov_b32 s23, s16
	;; [unrolled: 1-line block ×7, first 2 shown]
	v_dual_mov_b32 v9, s16 :: v_dual_mov_b32 v10, s17
	v_dual_mov_b32 v15, s22 :: v_dual_mov_b32 v16, s23
	;; [unrolled: 1-line block ×4, first 2 shown]
	s_delay_alu instid0(VALU_DEP_3) | instskip(NEXT) | instid1(VALU_DEP_3)
	v_dual_mov_b32 v24, v16 :: v_dual_mov_b32 v23, v15
	v_dual_mov_b32 v20, v12 :: v_dual_mov_b32 v19, v11
	s_delay_alu instid0(VALU_DEP_3)
	v_dual_mov_b32 v22, v14 :: v_dual_mov_b32 v21, v13
	v_dual_mov_b32 v18, v10 :: v_dual_mov_b32 v17, v9
	s_and_saveexec_b32 s3, s2
	s_cbranch_execnz .LBB111_42
; %bb.31:                               ;   in Loop: Header=BB111_3 Depth=1
	s_or_b32 exec_lo, exec_lo, s3
	s_and_saveexec_b32 s3, s2
	s_cbranch_execnz .LBB111_43
.LBB111_32:                             ;   in Loop: Header=BB111_3 Depth=1
	s_or_b32 exec_lo, exec_lo, s3
	s_and_saveexec_b32 s3, s2
	s_cbranch_execnz .LBB111_44
.LBB111_33:                             ;   in Loop: Header=BB111_3 Depth=1
	s_or_b32 exec_lo, exec_lo, s3
	s_and_saveexec_b32 s3, s2
	s_cbranch_execnz .LBB111_45
.LBB111_34:                             ;   in Loop: Header=BB111_3 Depth=1
	s_or_b32 exec_lo, exec_lo, s3
	s_and_saveexec_b32 s3, s2
	s_cbranch_execnz .LBB111_46
.LBB111_35:                             ;   in Loop: Header=BB111_3 Depth=1
	s_or_b32 exec_lo, exec_lo, s3
	s_and_saveexec_b32 s3, s2
	s_cbranch_execnz .LBB111_47
.LBB111_36:                             ;   in Loop: Header=BB111_3 Depth=1
	s_or_b32 exec_lo, exec_lo, s3
	s_and_saveexec_b32 s3, s2
	s_cbranch_execnz .LBB111_48
.LBB111_37:                             ;   in Loop: Header=BB111_3 Depth=1
	s_or_b32 exec_lo, exec_lo, s3
	s_and_saveexec_b32 s3, s2
	s_cbranch_execz .LBB111_39
.LBB111_38:                             ;   in Loop: Header=BB111_3 Depth=1
	v_add_co_u32 v3, vcc_lo, v30, v25
	v_add_co_ci_u32_e32 v4, vcc_lo, v31, v26, vcc_lo
	v_add_co_u32 v5, vcc_lo, v32, v25
	v_add_co_ci_u32_e32 v6, vcc_lo, v33, v26, vcc_lo
	global_load_u16 v1, v[3:4], off
	global_load_u16 v3, v[5:6], off
	s_waitcnt vmcnt(1)
	v_lshlrev_b32_e32 v24, 16, v1
	s_waitcnt vmcnt(0)
	v_lshlrev_b32_e32 v16, 16, v3
.LBB111_39:                             ;   in Loop: Header=BB111_3 Depth=1
	s_or_b32 exec_lo, exec_lo, s3
	s_waitcnt vmcnt(1)
	ds_bpermute_b32 v1, v2, v66
	ds_bpermute_b32 v3, v2, v66 offset:4
	ds_bpermute_b32 v4, v2, v66 offset:8
	;; [unrolled: 1-line block ×3, first 2 shown]
	s_waitcnt vmcnt(0)
	ds_bpermute_b32 v5, v2, v67
	ds_bpermute_b32 v7, v2, v67 offset:4
	ds_bpermute_b32 v8, v2, v66 offset:16
	;; [unrolled: 1-line block ×4, first 2 shown]
	s_waitcnt lgkmcnt(8)
	v_sub_f32_e32 v1, v9, v1
	ds_bpermute_b32 v9, v2, v67 offset:12
	s_waitcnt lgkmcnt(7)
	v_dual_sub_f32 v4, v11, v4 :: v_dual_sub_f32 v3, v10, v3
	s_waitcnt lgkmcnt(6)
	v_dual_sub_f32 v6, v12, v6 :: v_dual_mul_f32 v1, v17, v1
	s_delay_alu instid0(VALU_DEP_2) | instskip(SKIP_1) | instid1(VALU_DEP_2)
	v_dual_mul_f32 v4, v19, v4 :: v_dual_mul_f32 v3, v18, v3
	s_waitcnt lgkmcnt(5)
	v_dual_mul_f32 v6, v20, v6 :: v_dual_fmac_f32 v63, v1, v5
	v_add_f32_e32 v10, v58, v17
	ds_bpermute_b32 v17, v2, v67 offset:16
	ds_bpermute_b32 v1, v2, v66 offset:24
	;; [unrolled: 1-line block ×3, first 2 shown]
	s_waitcnt lgkmcnt(7)
	v_fmac_f32_e32 v63, v3, v7
	v_add_f32_e32 v3, v18, v10
	s_waitcnt lgkmcnt(4)
	v_sub_f32_e32 v11, v14, v65
	s_delay_alu instid0(VALU_DEP_2)
	v_dual_fmac_f32 v63, v4, v64 :: v_dual_add_f32 v10, v19, v3
	v_sub_f32_e32 v7, v13, v8
	ds_bpermute_b32 v8, v2, v67 offset:24
	ds_bpermute_b32 v3, v2, v67 offset:28
	s_waitcnt lgkmcnt(5)
	v_dual_fmac_f32 v63, v6, v9 :: v_dual_add_f32 v6, v20, v10
	v_mul_f32_e32 v7, v21, v7
	v_mul_f32_e32 v9, v22, v11
	ds_bpermute_b32 v4, v2, v66 offset:28
	s_waitcnt lgkmcnt(5)
	v_dual_add_f32 v6, v21, v6 :: v_dual_fmac_f32 v63, v7, v17
	s_waitcnt lgkmcnt(4)
	v_sub_f32_e32 v1, v15, v1
	s_waitcnt lgkmcnt(3)
	s_delay_alu instid0(VALU_DEP_2) | instskip(NEXT) | instid1(VALU_DEP_2)
	v_fmac_f32_e32 v63, v9, v5
	v_mul_f32_e32 v1, v23, v1
	v_add_f32_e32 v5, v22, v6
	s_waitcnt lgkmcnt(2)
	s_delay_alu instid0(VALU_DEP_2) | instskip(NEXT) | instid1(VALU_DEP_2)
	v_fmac_f32_e32 v63, v1, v8
	v_add_f32_e32 v5, v23, v5
	s_delay_alu instid0(VALU_DEP_2)
	v_mov_b32_e32 v1, v63
.LBB111_40:                             ;   in Loop: Header=BB111_3 Depth=1
	v_add_co_u32 v30, vcc_lo, v30, s34
	v_add_co_ci_u32_e32 v31, vcc_lo, s35, v31, vcc_lo
	v_add_co_u32 v32, vcc_lo, v32, s34
	v_add_co_ci_u32_e32 v33, vcc_lo, s35, v33, vcc_lo
	;; [unrolled: 2-line block ×12, first 2 shown]
	v_add_co_u32 v54, vcc_lo, v54, s34
	s_waitcnt lgkmcnt(0)
	v_sub_f32_e32 v4, v16, v4
	v_add_co_ci_u32_e32 v55, vcc_lo, s35, v55, vcc_lo
	v_add_co_u32 v56, vcc_lo, v56, s34
	s_add_u32 s38, s38, s28
	v_add_co_ci_u32_e32 v57, vcc_lo, s35, v57, vcc_lo
	v_mul_f32_e32 v4, v24, v4
	s_addc_u32 s39, s39, 0
	v_add_co_u32 v59, vcc_lo, v59, s34
	v_cmp_lt_i64_e64 s3, s[38:39], s[4:5]
	v_add_co_ci_u32_e32 v60, vcc_lo, s35, v60, vcc_lo
	v_add_co_u32 v61, vcc_lo, v61, s34
	v_dual_add_f32 v58, v5, v24 :: v_dual_fmac_f32 v1, v4, v3
	v_add_co_ci_u32_e32 v62, vcc_lo, s35, v62, vcc_lo
	s_add_u32 s36, s36, s28
	s_addc_u32 s37, s37, 0
	s_and_b32 vcc_lo, exec_lo, s3
	s_cbranch_vccz .LBB111_50
; %bb.41:                               ;   in Loop: Header=BB111_3 Depth=1
	v_mov_b32_e32 v63, v1
	s_branch .LBB111_3
.LBB111_42:                             ;   in Loop: Header=BB111_3 Depth=1
	v_add_co_u32 v3, vcc_lo, v59, v25
	v_add_co_ci_u32_e32 v4, vcc_lo, v60, v26, vcc_lo
	v_add_co_u32 v5, vcc_lo, v61, v25
	v_add_co_ci_u32_e32 v6, vcc_lo, v62, v26, vcc_lo
	v_mov_b32_e32 v8, v2
	global_load_u16 v1, v[3:4], off
	global_load_u16 v9, v[5:6], off
	v_mov_b32_e32 v3, v2
	v_mov_b32_e32 v4, v2
	;; [unrolled: 1-line block ×6, first 2 shown]
	s_waitcnt vmcnt(1)
	v_lshlrev_b32_e32 v1, 16, v1
	s_waitcnt vmcnt(0)
	v_lshlrev_b32_e32 v9, 16, v9
	v_dual_mov_b32 v11, v2 :: v_dual_mov_b32 v24, v8
	v_dual_mov_b32 v10, v2 :: v_dual_mov_b32 v23, v7
	;; [unrolled: 1-line block ×6, first 2 shown]
	v_mov_b32_e32 v22, v6
	v_mov_b32_e32 v18, v2
	s_or_b32 exec_lo, exec_lo, s3
	s_and_saveexec_b32 s3, s2
	s_cbranch_execz .LBB111_32
.LBB111_43:                             ;   in Loop: Header=BB111_3 Depth=1
	v_add_co_u32 v3, vcc_lo, v54, v25
	v_add_co_ci_u32_e32 v4, vcc_lo, v55, v26, vcc_lo
	v_add_co_u32 v5, vcc_lo, v56, v25
	v_add_co_ci_u32_e32 v6, vcc_lo, v57, v26, vcc_lo
	global_load_u16 v1, v[3:4], off
	global_load_u16 v3, v[5:6], off
	s_waitcnt vmcnt(1)
	v_lshlrev_b32_e32 v18, 16, v1
	s_waitcnt vmcnt(0)
	v_lshlrev_b32_e32 v10, 16, v3
	s_or_b32 exec_lo, exec_lo, s3
	s_and_saveexec_b32 s3, s2
	s_cbranch_execz .LBB111_33
.LBB111_44:                             ;   in Loop: Header=BB111_3 Depth=1
	v_add_co_u32 v3, vcc_lo, v50, v25
	v_add_co_ci_u32_e32 v4, vcc_lo, v51, v26, vcc_lo
	v_add_co_u32 v5, vcc_lo, v52, v25
	v_add_co_ci_u32_e32 v6, vcc_lo, v53, v26, vcc_lo
	global_load_u16 v1, v[3:4], off
	global_load_u16 v3, v[5:6], off
	s_waitcnt vmcnt(1)
	v_lshlrev_b32_e32 v19, 16, v1
	s_waitcnt vmcnt(0)
	v_lshlrev_b32_e32 v11, 16, v3
	s_or_b32 exec_lo, exec_lo, s3
	s_and_saveexec_b32 s3, s2
	s_cbranch_execz .LBB111_34
.LBB111_45:                             ;   in Loop: Header=BB111_3 Depth=1
	v_add_co_u32 v3, vcc_lo, v46, v25
	v_add_co_ci_u32_e32 v4, vcc_lo, v47, v26, vcc_lo
	v_add_co_u32 v5, vcc_lo, v48, v25
	v_add_co_ci_u32_e32 v6, vcc_lo, v49, v26, vcc_lo
	global_load_u16 v1, v[3:4], off
	global_load_u16 v3, v[5:6], off
	s_waitcnt vmcnt(1)
	v_lshlrev_b32_e32 v20, 16, v1
	s_waitcnt vmcnt(0)
	v_lshlrev_b32_e32 v12, 16, v3
	s_or_b32 exec_lo, exec_lo, s3
	s_and_saveexec_b32 s3, s2
	s_cbranch_execz .LBB111_35
.LBB111_46:                             ;   in Loop: Header=BB111_3 Depth=1
	v_add_co_u32 v3, vcc_lo, v42, v25
	v_add_co_ci_u32_e32 v4, vcc_lo, v43, v26, vcc_lo
	v_add_co_u32 v5, vcc_lo, v44, v25
	v_add_co_ci_u32_e32 v6, vcc_lo, v45, v26, vcc_lo
	global_load_u16 v1, v[3:4], off
	global_load_u16 v3, v[5:6], off
	s_waitcnt vmcnt(1)
	v_lshlrev_b32_e32 v21, 16, v1
	s_waitcnt vmcnt(0)
	v_lshlrev_b32_e32 v13, 16, v3
	s_or_b32 exec_lo, exec_lo, s3
	s_and_saveexec_b32 s3, s2
	s_cbranch_execz .LBB111_36
.LBB111_47:                             ;   in Loop: Header=BB111_3 Depth=1
	v_add_co_u32 v3, vcc_lo, v38, v25
	v_add_co_ci_u32_e32 v4, vcc_lo, v39, v26, vcc_lo
	v_add_co_u32 v5, vcc_lo, v40, v25
	v_add_co_ci_u32_e32 v6, vcc_lo, v41, v26, vcc_lo
	global_load_u16 v1, v[3:4], off
	global_load_u16 v3, v[5:6], off
	s_waitcnt vmcnt(1)
	v_lshlrev_b32_e32 v22, 16, v1
	s_waitcnt vmcnt(0)
	v_lshlrev_b32_e32 v14, 16, v3
	s_or_b32 exec_lo, exec_lo, s3
	s_and_saveexec_b32 s3, s2
	s_cbranch_execz .LBB111_37
.LBB111_48:                             ;   in Loop: Header=BB111_3 Depth=1
	v_add_co_u32 v3, vcc_lo, v34, v25
	v_add_co_ci_u32_e32 v4, vcc_lo, v35, v26, vcc_lo
	v_add_co_u32 v5, vcc_lo, v36, v25
	v_add_co_ci_u32_e32 v6, vcc_lo, v37, v26, vcc_lo
	global_load_u16 v1, v[3:4], off
	global_load_u16 v3, v[5:6], off
	s_waitcnt vmcnt(1)
	v_lshlrev_b32_e32 v23, 16, v1
	s_waitcnt vmcnt(0)
	v_lshlrev_b32_e32 v15, 16, v3
	s_or_b32 exec_lo, exec_lo, s3
	s_and_saveexec_b32 s3, s2
	s_cbranch_execnz .LBB111_38
	s_branch .LBB111_39
.LBB111_49:
	s_mov_b32 s29, -1
                                        ; implicit-def: $vgpr1
                                        ; implicit-def: $vgpr58
.LBB111_50:
	s_delay_alu instid0(SALU_CYCLE_1)
	s_and_not1_b32 vcc_lo, exec_lo, s29
	s_cbranch_vccnz .LBB111_83
; %bb.51:
	v_dual_mov_b32 v1, 0 :: v_dual_mov_b32 v58, 0
	s_and_not1_b32 vcc_lo, exec_lo, s15
	s_mov_b32 s16, 0
	s_cbranch_vccnz .LBB111_83
; %bb.52:
	s_load_b32 s2, s[0:1], 0x44
	v_dual_mov_b32 v2, 0 :: v_dual_and_b32 v55, 0x3ff, v0
	v_bfe_u32 v56, v0, 10, 10
	s_add_u32 s28, s0, 64
	s_addc_u32 s29, s1, 0
	s_delay_alu instid0(VALU_DEP_2) | instskip(NEXT) | instid1(VALU_DEP_2)
	v_dual_mov_b32 v92, 0 :: v_dual_add_nc_u32 v1, s33, v55
	v_lshlrev_b32_e32 v3, 4, v56
	v_lshlrev_b32_e32 v57, 3, v56
	v_mov_b32_e32 v91, 0
	s_delay_alu instid0(VALU_DEP_4)
	v_lshlrev_b64 v[25:26], 1, v[1:2]
	s_waitcnt lgkmcnt(0)
	s_lshl_b32 s15, s2, 6
	s_add_u32 s30, s12, 63
	s_addc_u32 s31, 0, 0
	s_lshl_b64 s[2:3], s[12:13], 1
	s_mul_i32 s17, s7, s15
	v_add_co_u32 v1, s2, v3, s2
	s_delay_alu instid0(VALU_DEP_1) | instskip(SKIP_1) | instid1(VALU_DEP_3)
	v_add_co_ci_u32_e64 v3, null, 0, s3, s2
	v_add_co_u32 v58, s3, v57, s12
	v_add_co_u32 v7, vcc_lo, v1, 2
	s_delay_alu instid0(VALU_DEP_3) | instskip(SKIP_3) | instid1(VALU_DEP_4)
	v_add_co_ci_u32_e32 v4, vcc_lo, 0, v3, vcc_lo
	v_add_co_u32 v8, vcc_lo, v1, 4
	v_add_co_ci_u32_e32 v5, vcc_lo, 0, v3, vcc_lo
	v_add_co_u32 v11, vcc_lo, v1, 6
	v_mul_lo_u32 v9, s6, v4
	v_add_co_ci_u32_e32 v4, vcc_lo, 0, v3, vcc_lo
	v_add_co_u32 v14, vcc_lo, v1, 8
	v_mul_lo_u32 v12, s6, v5
	;; [unrolled: 3-line block ×4, first 2 shown]
	v_add_co_ci_u32_e32 v5, vcc_lo, 0, v3, vcc_lo
	v_add_co_ci_u32_e64 v75, null, 0, 0, s3
	v_add_co_u32 v1, vcc_lo, v1, 14
	v_mul_lo_u32 v21, s6, v4
	s_delay_alu instid0(VALU_DEP_4) | instskip(SKIP_4) | instid1(VALU_DEP_4)
	v_mul_lo_u32 v23, s6, v5
	v_add_co_ci_u32_e32 v5, vcc_lo, 0, v3, vcc_lo
	v_mul_lo_u32 v6, s7, v58
	v_mul_lo_u32 v41, s6, v75
	v_mad_u64_u32 v[3:4], null, s6, v58, 0
	v_mul_lo_u32 v61, s6, v5
	v_mad_u64_u32 v[27:28], null, s6, v7, s[8:9]
	;; [unrolled: 2-line block ×3, first 2 shown]
	v_add3_u32 v4, v4, v41, v6
	v_mad_u64_u32 v[41:42], null, s6, v7, s[10:11]
	v_mul_lo_u32 v13, s7, v8
	v_mad_u64_u32 v[43:44], null, s6, v8, s[10:11]
	s_delay_alu instid0(VALU_DEP_4)
	v_lshlrev_b64 v[5:6], 1, v[3:4]
	v_add3_u32 v28, v10, v28, v9
	v_mad_u64_u32 v[31:32], null, s6, v11, s[8:9]
	v_add3_u32 v42, v10, v42, v9
	v_add3_u32 v30, v13, v30, v12
	v_add_co_u32 v59, vcc_lo, s8, v5
	v_add_co_ci_u32_e32 v60, vcc_lo, s9, v6, vcc_lo
	v_add_co_u32 v9, vcc_lo, v58, 7
	v_add_co_ci_u32_e32 v7, vcc_lo, 0, v75, vcc_lo
	v_add3_u32 v44, v13, v44, v12
	v_add_co_u32 v12, vcc_lo, v58, 6
	v_mul_lo_u32 v16, s7, v11
	v_mad_u64_u32 v[39:40], null, s6, v1, s[8:9]
	v_mul_lo_u32 v62, s7, v1
	v_mad_u64_u32 v[45:46], null, s6, v11, s[10:11]
	v_mad_u64_u32 v[53:54], null, s6, v1, s[10:11]
	v_mul_lo_u32 v1, s7, v9
	v_mul_lo_u32 v11, s6, v7
	v_mad_u64_u32 v[7:8], null, s6, v9, 0
	v_add_co_ci_u32_e32 v10, vcc_lo, 0, v75, vcc_lo
	v_mad_u64_u32 v[33:34], null, s6, v14, s[8:9]
	v_mul_lo_u32 v19, s7, v14
	v_mad_u64_u32 v[47:48], null, s6, v14, s[10:11]
	v_mul_lo_u32 v13, s7, v12
	v_mul_lo_u32 v14, s6, v10
	v_mad_u64_u32 v[9:10], null, s6, v12, 0
	v_add3_u32 v8, v8, v11, v1
	v_add3_u32 v40, v62, v40, v61
	;; [unrolled: 1-line block ×3, first 2 shown]
	v_add_co_u32 v61, vcc_lo, s10, v5
	v_add_co_ci_u32_e32 v62, vcc_lo, s11, v6, vcc_lo
	v_lshlrev_b64 v[5:6], 1, v[7:8]
	v_add3_u32 v10, v10, v14, v13
	v_add_co_u32 v1, vcc_lo, v58, 5
	v_add_co_ci_u32_e32 v11, vcc_lo, 0, v75, vcc_lo
	s_delay_alu instid0(VALU_DEP_4) | instskip(NEXT) | instid1(VALU_DEP_4)
	v_add_co_u32 v63, vcc_lo, s8, v5
	v_lshlrev_b64 v[7:8], 1, v[9:10]
	v_add_co_ci_u32_e32 v64, vcc_lo, s9, v6, vcc_lo
	v_mul_lo_u32 v12, s7, v1
	v_mul_lo_u32 v11, s6, v11
	v_mad_u64_u32 v[9:10], null, s6, v1, 0
	v_add_co_u32 v65, vcc_lo, s10, v5
	v_add_co_ci_u32_e32 v66, vcc_lo, s11, v6, vcc_lo
	v_add_co_u32 v67, vcc_lo, s8, v7
	v_add_co_ci_u32_e32 v68, vcc_lo, s9, v8, vcc_lo
	s_mul_hi_u32 s2, s6, s15
	v_add_co_u32 v1, vcc_lo, v58, 4
	v_add3_u32 v10, v10, v11, v12
	s_add_i32 s3, s2, s17
	v_add_co_u32 v69, s2, s10, v7
	v_add_co_ci_u32_e32 v7, vcc_lo, 0, v75, vcc_lo
	v_add_co_u32 v12, vcc_lo, v58, 3
	v_lshlrev_b64 v[5:6], 1, v[9:10]
	v_add_co_ci_u32_e32 v9, vcc_lo, 0, v75, vcc_lo
	v_add_co_ci_u32_e64 v70, s2, s11, v8, s2
	v_mul_lo_u32 v11, s7, v1
	v_mul_lo_u32 v13, s6, v7
	v_mad_u64_u32 v[7:8], null, s6, v1, 0
	v_mul_lo_u32 v1, s7, v12
	v_mul_lo_u32 v14, s6, v9
	v_mad_u64_u32 v[9:10], null, s6, v12, 0
	v_add_co_u32 v71, vcc_lo, s8, v5
	v_add_co_ci_u32_e32 v72, vcc_lo, s9, v6, vcc_lo
	v_add3_u32 v8, v8, v13, v11
	v_add_co_u32 v73, vcc_lo, s10, v5
	v_add_co_ci_u32_e32 v74, vcc_lo, s11, v6, vcc_lo
	v_add3_u32 v10, v10, v14, v1
	v_add_co_u32 v1, vcc_lo, v58, 2
	v_lshlrev_b64 v[5:6], 1, v[7:8]
	v_add_co_ci_u32_e32 v11, vcc_lo, 0, v75, vcc_lo
	s_delay_alu instid0(VALU_DEP_4) | instskip(NEXT) | instid1(VALU_DEP_4)
	v_lshlrev_b64 v[7:8], 1, v[9:10]
	v_mul_lo_u32 v12, s7, v1
	v_mad_u64_u32 v[9:10], null, s6, v1, 0
	v_add_co_u32 v75, vcc_lo, s8, v5
	v_mul_lo_u32 v11, s6, v11
	v_add_co_ci_u32_e32 v76, vcc_lo, s9, v6, vcc_lo
	v_add_co_u32 v77, vcc_lo, s10, v5
	v_add_co_ci_u32_e32 v78, vcc_lo, s11, v6, vcc_lo
	v_add_co_u32 v79, vcc_lo, s8, v7
	v_add_co_ci_u32_e32 v80, vcc_lo, s9, v8, vcc_lo
	v_add3_u32 v10, v10, v11, v12
	v_add_co_u32 v81, vcc_lo, s10, v7
	v_add_co_ci_u32_e32 v82, vcc_lo, s11, v8, vcc_lo
	v_add_co_u32 v3, vcc_lo, v3, s6
	s_delay_alu instid0(VALU_DEP_4) | instskip(SKIP_3) | instid1(VALU_DEP_4)
	v_lshlrev_b64 v[5:6], 1, v[9:10]
	v_add_co_ci_u32_e32 v4, vcc_lo, s7, v4, vcc_lo
	v_mad_u64_u32 v[35:36], null, s6, v18, s[8:9]
	v_mul_lo_u32 v22, s7, v18
	v_add_co_u32 v83, vcc_lo, s8, v5
	s_delay_alu instid0(VALU_DEP_4)
	v_lshlrev_b64 v[3:4], 1, v[3:4]
	v_add_co_ci_u32_e32 v84, vcc_lo, s9, v6, vcc_lo
	v_mad_u64_u32 v[37:38], null, s6, v20, s[8:9]
	v_mul_lo_u32 v24, s7, v20
	v_mad_u64_u32 v[49:50], null, s6, v18, s[10:11]
	v_mad_u64_u32 v[51:52], null, s6, v20, s[10:11]
	v_add_co_u32 v85, vcc_lo, s10, v5
	v_add_co_ci_u32_e32 v86, vcc_lo, s11, v6, vcc_lo
	v_add_co_u32 v87, vcc_lo, s8, v3
	v_add_co_ci_u32_e32 v88, vcc_lo, s9, v4, vcc_lo
	v_add_co_u32 v89, vcc_lo, s10, v3
	v_add3_u32 v32, v16, v32, v15
	v_add3_u32 v34, v19, v34, v17
	;; [unrolled: 1-line block ×8, first 2 shown]
	v_add_co_ci_u32_e32 v90, vcc_lo, s11, v4, vcc_lo
	s_mul_i32 s2, s6, s15
	s_delay_alu instid0(SALU_CYCLE_1)
	s_lshl_b64 s[2:3], s[2:3], 1
.LBB111_53:                             ; =>This Inner Loop Header: Depth=1
	v_cmp_ge_i64_e64 s8, s[30:31], s[4:5]
	v_add_co_u32 v93, s9, v57, s30
	s_delay_alu instid0(VALU_DEP_1) | instskip(NEXT) | instid1(VALU_DEP_3)
	v_add_co_ci_u32_e64 v94, null, 0, s31, s9
	s_and_b32 vcc_lo, exec_lo, s8
	s_cbranch_vccz .LBB111_75
; %bb.54:                               ;   in Loop: Header=BB111_53 Depth=1
	s_load_b32 s8, s[28:29], 0xc
	v_dual_mov_b32 v95, 0 :: v_dual_mov_b32 v58, 0
	s_waitcnt lgkmcnt(0)
	s_and_b32 s8, s8, 0xffff
	s_delay_alu instid0(SALU_CYCLE_1) | instskip(SKIP_1) | instid1(VALU_DEP_1)
	v_mad_u32_u24 v1, v56, s8, v55
	s_mov_b32 s8, exec_lo
	v_and_b32_e32 v1, 31, v1
	s_delay_alu instid0(VALU_DEP_1)
	v_cmpx_gt_u32_e32 8, v1
	s_cbranch_execz .LBB111_58
; %bb.55:                               ;   in Loop: Header=BB111_53 Depth=1
	v_add_co_u32 v1, vcc_lo, v93, v1
	v_add_co_ci_u32_e32 v4, vcc_lo, 0, v94, vcc_lo
	v_dual_mov_b32 v58, 0 :: v_dual_mov_b32 v95, 0
	s_delay_alu instid0(VALU_DEP_3) | instskip(NEXT) | instid1(VALU_DEP_3)
	v_add_co_u32 v3, vcc_lo, 0xffffffc1, v1
	v_add_co_ci_u32_e32 v4, vcc_lo, -1, v4, vcc_lo
	s_mov_b32 s9, exec_lo
	s_delay_alu instid0(VALU_DEP_1)
	v_cmpx_gt_i64_e64 s[4:5], v[3:4]
	s_cbranch_execz .LBB111_57
; %bb.56:                               ;   in Loop: Header=BB111_53 Depth=1
	v_lshlrev_b64 v[3:4], 2, v[3:4]
	s_delay_alu instid0(VALU_DEP_1) | instskip(NEXT) | instid1(VALU_DEP_2)
	v_add_co_u32 v5, vcc_lo, s24, v3
	v_add_co_ci_u32_e32 v6, vcc_lo, s25, v4, vcc_lo
	v_add_co_u32 v3, vcc_lo, s26, v3
	v_add_co_ci_u32_e32 v4, vcc_lo, s27, v4, vcc_lo
	global_load_b32 v58, v[5:6], off
	global_load_b32 v95, v[3:4], off
.LBB111_57:                             ;   in Loop: Header=BB111_53 Depth=1
	s_or_b32 exec_lo, exec_lo, s9
.LBB111_58:                             ;   in Loop: Header=BB111_53 Depth=1
	s_delay_alu instid0(SALU_CYCLE_1)
	s_or_b32 exec_lo, exec_lo, s8
	s_mov_b32 s22, s16
	s_mov_b32 s23, s16
	;; [unrolled: 1-line block ×7, first 2 shown]
	v_dual_mov_b32 v9, s16 :: v_dual_mov_b32 v10, s17
	v_dual_mov_b32 v15, s22 :: v_dual_mov_b32 v16, s23
	;; [unrolled: 1-line block ×4, first 2 shown]
	v_add_co_u32 v3, vcc_lo, 0xffffffc1, v93
	s_delay_alu instid0(VALU_DEP_4) | instskip(SKIP_1) | instid1(VALU_DEP_4)
	v_dual_mov_b32 v24, v16 :: v_dual_mov_b32 v23, v15
	v_add_co_ci_u32_e32 v4, vcc_lo, -1, v94, vcc_lo
	v_dual_mov_b32 v22, v14 :: v_dual_mov_b32 v21, v13
	v_dual_mov_b32 v20, v12 :: v_dual_mov_b32 v19, v11
	;; [unrolled: 1-line block ×3, first 2 shown]
	s_mov_b32 s8, exec_lo
	v_cmpx_gt_i64_e64 s[4:5], v[3:4]
	s_cbranch_execz .LBB111_60
; %bb.59:                               ;   in Loop: Header=BB111_53 Depth=1
	v_add_co_u32 v3, vcc_lo, v59, v25
	v_add_co_ci_u32_e32 v4, vcc_lo, v60, v26, vcc_lo
	v_add_co_u32 v5, vcc_lo, v61, v25
	v_add_co_ci_u32_e32 v6, vcc_lo, v62, v26, vcc_lo
	v_mov_b32_e32 v8, v2
	global_load_u16 v1, v[3:4], off
	global_load_u16 v9, v[5:6], off
	v_mov_b32_e32 v3, v2
	v_mov_b32_e32 v4, v2
	;; [unrolled: 1-line block ×6, first 2 shown]
	s_waitcnt vmcnt(1)
	v_lshlrev_b32_e32 v1, 16, v1
	s_waitcnt vmcnt(0)
	v_lshlrev_b32_e32 v9, 16, v9
	v_dual_mov_b32 v11, v2 :: v_dual_mov_b32 v24, v8
	v_dual_mov_b32 v10, v2 :: v_dual_mov_b32 v23, v7
	;; [unrolled: 1-line block ×6, first 2 shown]
	v_mov_b32_e32 v22, v6
	v_mov_b32_e32 v18, v2
.LBB111_60:                             ;   in Loop: Header=BB111_53 Depth=1
	s_or_b32 exec_lo, exec_lo, s8
	v_add_co_u32 v3, vcc_lo, 0xffffffc2, v93
	v_add_co_ci_u32_e32 v4, vcc_lo, -1, v94, vcc_lo
	s_mov_b32 s8, exec_lo
	s_delay_alu instid0(VALU_DEP_1)
	v_cmpx_gt_i64_e64 s[4:5], v[3:4]
	s_cbranch_execz .LBB111_62
; %bb.61:                               ;   in Loop: Header=BB111_53 Depth=1
	v_add_co_u32 v3, vcc_lo, v87, v25
	v_add_co_ci_u32_e32 v4, vcc_lo, v88, v26, vcc_lo
	v_add_co_u32 v5, vcc_lo, v89, v25
	v_add_co_ci_u32_e32 v6, vcc_lo, v90, v26, vcc_lo
	global_load_u16 v1, v[3:4], off
	global_load_u16 v3, v[5:6], off
	s_waitcnt vmcnt(1)
	v_lshlrev_b32_e32 v18, 16, v1
	s_waitcnt vmcnt(0)
	v_lshlrev_b32_e32 v10, 16, v3
.LBB111_62:                             ;   in Loop: Header=BB111_53 Depth=1
	s_or_b32 exec_lo, exec_lo, s8
	v_add_co_u32 v3, vcc_lo, 0xffffffc3, v93
	v_add_co_ci_u32_e32 v4, vcc_lo, -1, v94, vcc_lo
	s_mov_b32 s8, exec_lo
	s_delay_alu instid0(VALU_DEP_1)
	v_cmpx_gt_i64_e64 s[4:5], v[3:4]
	s_cbranch_execz .LBB111_64
; %bb.63:                               ;   in Loop: Header=BB111_53 Depth=1
	v_add_co_u32 v3, vcc_lo, v83, v25
	v_add_co_ci_u32_e32 v4, vcc_lo, v84, v26, vcc_lo
	v_add_co_u32 v5, vcc_lo, v85, v25
	v_add_co_ci_u32_e32 v6, vcc_lo, v86, v26, vcc_lo
	global_load_u16 v1, v[3:4], off
	global_load_u16 v3, v[5:6], off
	s_waitcnt vmcnt(1)
	v_lshlrev_b32_e32 v19, 16, v1
	s_waitcnt vmcnt(0)
	v_lshlrev_b32_e32 v11, 16, v3
.LBB111_64:                             ;   in Loop: Header=BB111_53 Depth=1
	;; [unrolled: 19-line block ×7, first 2 shown]
	s_or_b32 exec_lo, exec_lo, s8
	s_waitcnt vmcnt(1)
	ds_bpermute_b32 v3, v2, v58
	s_waitcnt vmcnt(0)
	ds_bpermute_b32 v1, v2, v95
	ds_bpermute_b32 v5, v2, v58 offset:4
	ds_bpermute_b32 v4, v2, v95 offset:4
	s_waitcnt lgkmcnt(3)
	v_sub_f32_e32 v3, v9, v3
	s_delay_alu instid0(VALU_DEP_1) | instskip(SKIP_1) | instid1(VALU_DEP_1)
	v_mul_f32_e32 v3, v17, v3
	s_waitcnt lgkmcnt(2)
	v_fma_f32 v1, v3, v1, v91
	v_add_f32_e32 v3, v92, v17
	s_delay_alu instid0(VALU_DEP_1) | instskip(NEXT) | instid1(VALU_DEP_1)
	v_add_f32_e32 v3, v18, v3
	v_add_f32_e32 v3, v19, v3
	s_delay_alu instid0(VALU_DEP_1) | instskip(NEXT) | instid1(VALU_DEP_1)
	v_add_f32_e32 v3, v20, v3
	;; [unrolled: 3-line block ×3, first 2 shown]
	v_add_f32_e32 v3, v23, v3
	s_waitcnt lgkmcnt(1)
	v_sub_f32_e32 v5, v10, v5
	s_delay_alu instid0(VALU_DEP_1) | instskip(SKIP_1) | instid1(VALU_DEP_1)
	v_mul_f32_e32 v5, v18, v5
	s_waitcnt lgkmcnt(0)
	v_fmac_f32_e32 v1, v5, v4
	ds_bpermute_b32 v5, v2, v58 offset:8
	ds_bpermute_b32 v4, v2, v95 offset:8
	s_waitcnt lgkmcnt(1)
	v_sub_f32_e32 v5, v11, v5
	s_delay_alu instid0(VALU_DEP_1) | instskip(SKIP_1) | instid1(VALU_DEP_1)
	v_mul_f32_e32 v5, v19, v5
	s_waitcnt lgkmcnt(0)
	v_fmac_f32_e32 v1, v5, v4
	ds_bpermute_b32 v5, v2, v58 offset:12
	ds_bpermute_b32 v4, v2, v95 offset:12
	;; [unrolled: 8-line block ×5, first 2 shown]
	s_waitcnt lgkmcnt(1)
	v_sub_f32_e32 v5, v15, v5
	s_delay_alu instid0(VALU_DEP_1) | instskip(SKIP_1) | instid1(VALU_DEP_1)
	v_mul_f32_e32 v5, v23, v5
	s_waitcnt lgkmcnt(0)
	v_fmac_f32_e32 v1, v5, v4
	ds_bpermute_b32 v5, v2, v58 offset:28
	v_add_f32_e32 v58, v24, v3
	ds_bpermute_b32 v4, v2, v95 offset:28
	s_waitcnt lgkmcnt(1)
	v_sub_f32_e32 v5, v16, v5
	s_delay_alu instid0(VALU_DEP_1) | instskip(SKIP_1) | instid1(VALU_DEP_1)
	v_mul_f32_e32 v5, v24, v5
	s_waitcnt lgkmcnt(0)
	v_fmac_f32_e32 v1, v5, v4
	s_branch .LBB111_81
.LBB111_75:                             ;   in Loop: Header=BB111_53 Depth=1
                                        ; implicit-def: $vgpr58
                                        ; implicit-def: $vgpr1
	s_cbranch_execz .LBB111_81
; %bb.76:                               ;   in Loop: Header=BB111_53 Depth=1
	s_load_b32 s8, s[28:29], 0x0
	v_mov_b32_e32 v5, 0
	s_waitcnt lgkmcnt(0)
	s_cmp_lt_u32 s14, s8
	s_cselect_b32 s8, 12, 18
	s_delay_alu instid0(SALU_CYCLE_1)
	s_add_u32 s8, s28, s8
	s_addc_u32 s9, s29, 0
	global_load_u16 v1, v2, s[8:9]
	s_mov_b32 s8, exec_lo
	s_waitcnt vmcnt(0)
	v_mad_u32_u24 v1, v56, v1, v55
	s_delay_alu instid0(VALU_DEP_1) | instskip(SKIP_1) | instid1(VALU_DEP_2)
	v_and_b32_e32 v3, 31, v1
	v_mov_b32_e32 v1, 0
	v_cmpx_gt_u32_e32 8, v3
	s_cbranch_execz .LBB111_80
; %bb.77:                               ;   in Loop: Header=BB111_53 Depth=1
	v_add_co_u32 v1, vcc_lo, v93, v3
	v_add_co_ci_u32_e32 v4, vcc_lo, 0, v94, vcc_lo
	v_mov_b32_e32 v5, 0
	s_delay_alu instid0(VALU_DEP_3) | instskip(NEXT) | instid1(VALU_DEP_3)
	v_add_co_u32 v3, vcc_lo, 0xffffffc1, v1
	v_add_co_ci_u32_e32 v4, vcc_lo, -1, v4, vcc_lo
	v_mov_b32_e32 v1, 0
	s_mov_b32 s9, exec_lo
	s_delay_alu instid0(VALU_DEP_2)
	v_cmpx_gt_i64_e64 s[4:5], v[3:4]
	s_cbranch_execz .LBB111_79
; %bb.78:                               ;   in Loop: Header=BB111_53 Depth=1
	v_lshlrev_b64 v[3:4], 2, v[3:4]
	s_delay_alu instid0(VALU_DEP_1) | instskip(NEXT) | instid1(VALU_DEP_2)
	v_add_co_u32 v5, vcc_lo, s24, v3
	v_add_co_ci_u32_e32 v6, vcc_lo, s25, v4, vcc_lo
	v_add_co_u32 v3, vcc_lo, s26, v3
	v_add_co_ci_u32_e32 v4, vcc_lo, s27, v4, vcc_lo
	global_load_b32 v1, v[5:6], off
	global_load_b32 v5, v[3:4], off
.LBB111_79:                             ;   in Loop: Header=BB111_53 Depth=1
	s_or_b32 exec_lo, exec_lo, s9
.LBB111_80:                             ;   in Loop: Header=BB111_53 Depth=1
	s_delay_alu instid0(SALU_CYCLE_1)
	s_or_b32 exec_lo, exec_lo, s8
	v_add_co_u32 v3, vcc_lo, v59, v25
	v_add_co_ci_u32_e32 v4, vcc_lo, v60, v26, vcc_lo
	s_waitcnt vmcnt(1)
	ds_bpermute_b32 v21, v2, v1
	global_load_u16 v3, v[3:4], off
	s_waitcnt vmcnt(0)
	v_lshlrev_b32_e32 v6, 16, v3
	v_add_co_u32 v3, vcc_lo, v61, v25
	v_add_co_ci_u32_e32 v4, vcc_lo, v62, v26, vcc_lo
	global_load_u16 v3, v[3:4], off
	s_waitcnt vmcnt(0)
	v_lshlrev_b32_e32 v7, 16, v3
	v_add_co_u32 v3, vcc_lo, v27, v25
	v_add_co_ci_u32_e32 v4, vcc_lo, v28, v26, vcc_lo
	s_waitcnt lgkmcnt(0)
	s_delay_alu instid0(VALU_DEP_3)
	v_sub_f32_e32 v7, v7, v21
	global_load_u16 v3, v[3:4], off
	s_waitcnt vmcnt(0)
	v_dual_mul_f32 v7, v7, v6 :: v_dual_lshlrev_b32 v8, 16, v3
	v_add_co_u32 v3, vcc_lo, v41, v25
	v_add_co_ci_u32_e32 v4, vcc_lo, v42, v26, vcc_lo
	global_load_u16 v3, v[3:4], off
	s_waitcnt vmcnt(0)
	v_lshlrev_b32_e32 v9, 16, v3
	v_add_co_u32 v3, vcc_lo, v29, v25
	v_add_co_ci_u32_e32 v4, vcc_lo, v30, v26, vcc_lo
	global_load_u16 v3, v[3:4], off
	s_waitcnt vmcnt(0)
	v_lshlrev_b32_e32 v10, 16, v3
	;; [unrolled: 5-line block ×12, first 2 shown]
	v_add_co_u32 v3, vcc_lo, v53, v25
	v_add_co_ci_u32_e32 v4, vcc_lo, v54, v26, vcc_lo
	global_load_u16 v3, v[3:4], off
	ds_bpermute_b32 v4, v2, v5
	s_waitcnt lgkmcnt(0)
	v_fmac_f32_e32 v91, v7, v4
	ds_bpermute_b32 v7, v2, v1 offset:4
	v_add_f32_e32 v4, v92, v6
	ds_bpermute_b32 v6, v2, v5 offset:4
	v_add_f32_e32 v4, v4, v8
	s_waitcnt lgkmcnt(1)
	s_delay_alu instid0(VALU_DEP_1) | instskip(NEXT) | instid1(VALU_DEP_1)
	v_dual_add_f32 v4, v4, v10 :: v_dual_sub_f32 v7, v9, v7
	v_mul_f32_e32 v7, v7, v8
	s_waitcnt lgkmcnt(0)
	s_delay_alu instid0(VALU_DEP_1) | instskip(SKIP_4) | instid1(VALU_DEP_1)
	v_dual_add_f32 v4, v4, v12 :: v_dual_fmac_f32 v91, v7, v6
	ds_bpermute_b32 v7, v2, v1 offset:8
	ds_bpermute_b32 v6, v2, v5 offset:8
	s_waitcnt lgkmcnt(1)
	v_dual_add_f32 v4, v4, v14 :: v_dual_sub_f32 v7, v11, v7
	v_dual_mul_f32 v7, v7, v10 :: v_dual_add_f32 v4, v4, v16
	s_waitcnt lgkmcnt(0)
	s_delay_alu instid0(VALU_DEP_1) | instskip(SKIP_4) | instid1(VALU_DEP_1)
	v_fmac_f32_e32 v91, v7, v6
	ds_bpermute_b32 v7, v2, v1 offset:12
	ds_bpermute_b32 v6, v2, v5 offset:12
	s_waitcnt lgkmcnt(1)
	v_dual_add_f32 v4, v4, v18 :: v_dual_sub_f32 v7, v13, v7
	v_mul_f32_e32 v7, v7, v12
	s_waitcnt lgkmcnt(0)
	s_delay_alu instid0(VALU_DEP_1) | instskip(SKIP_4) | instid1(VALU_DEP_1)
	v_dual_add_f32 v58, v4, v20 :: v_dual_fmac_f32 v91, v7, v6
	ds_bpermute_b32 v7, v2, v1 offset:16
	ds_bpermute_b32 v6, v2, v5 offset:16
	s_waitcnt lgkmcnt(1)
	v_sub_f32_e32 v7, v15, v7
	v_mul_f32_e32 v7, v7, v14
	s_waitcnt lgkmcnt(0)
	s_delay_alu instid0(VALU_DEP_1) | instskip(SKIP_4) | instid1(VALU_DEP_1)
	v_fmac_f32_e32 v91, v7, v6
	ds_bpermute_b32 v7, v2, v1 offset:20
	ds_bpermute_b32 v6, v2, v5 offset:20
	s_waitcnt lgkmcnt(1)
	v_sub_f32_e32 v7, v17, v7
	v_mul_f32_e32 v7, v7, v16
	s_waitcnt lgkmcnt(0)
	s_delay_alu instid0(VALU_DEP_1)
	v_fmac_f32_e32 v91, v7, v6
	ds_bpermute_b32 v7, v2, v1 offset:24
	ds_bpermute_b32 v1, v2, v1 offset:28
	;; [unrolled: 1-line block ×4, first 2 shown]
	s_waitcnt lgkmcnt(3)
	v_sub_f32_e32 v7, v19, v7
	s_delay_alu instid0(VALU_DEP_1) | instskip(SKIP_1) | instid1(VALU_DEP_1)
	v_mul_f32_e32 v7, v7, v18
	s_waitcnt lgkmcnt(1)
	v_fmac_f32_e32 v91, v7, v6
	s_waitcnt vmcnt(0)
	v_lshlrev_b32_e32 v3, 16, v3
	s_delay_alu instid0(VALU_DEP_1) | instskip(NEXT) | instid1(VALU_DEP_1)
	v_sub_f32_e32 v1, v3, v1
	v_mul_f32_e32 v1, v1, v20
	s_waitcnt lgkmcnt(0)
	s_delay_alu instid0(VALU_DEP_1) | instskip(NEXT) | instid1(VALU_DEP_1)
	v_fmac_f32_e32 v91, v1, v5
	v_mov_b32_e32 v1, v91
.LBB111_81:                             ;   in Loop: Header=BB111_53 Depth=1
	v_add_co_u32 v27, vcc_lo, v27, s2
	v_add_co_ci_u32_e32 v28, vcc_lo, s3, v28, vcc_lo
	v_add_co_u32 v29, vcc_lo, v29, s2
	v_add_co_ci_u32_e32 v30, vcc_lo, s3, v30, vcc_lo
	;; [unrolled: 2-line block ×27, first 2 shown]
	v_add_co_u32 v85, vcc_lo, v85, s2
	s_add_u32 s12, s12, s15
	v_add_co_ci_u32_e32 v86, vcc_lo, s3, v86, vcc_lo
	s_addc_u32 s13, s13, 0
	v_add_co_u32 v87, vcc_lo, v87, s2
	v_cmp_ge_i64_e64 s8, s[12:13], s[4:5]
	v_add_co_ci_u32_e32 v88, vcc_lo, s3, v88, vcc_lo
	v_add_co_u32 v89, vcc_lo, v89, s2
	v_add_co_ci_u32_e32 v90, vcc_lo, s3, v90, vcc_lo
	s_add_u32 s30, s30, s15
	s_addc_u32 s31, s31, 0
	s_and_b32 vcc_lo, exec_lo, s8
	s_cbranch_vccnz .LBB111_83
; %bb.82:                               ;   in Loop: Header=BB111_53 Depth=1
	v_dual_mov_b32 v92, v58 :: v_dual_mov_b32 v91, v1
	s_branch .LBB111_53
.LBB111_83:
	v_and_b32_e32 v4, 0x3ff, v0
	v_bfe_u32 v2, v0, 10, 10
	s_mov_b32 s15, 0
	s_mov_b32 s2, exec_lo
	s_delay_alu instid0(VALU_DEP_2) | instskip(NEXT) | instid1(VALU_DEP_2)
	v_lshrrev_b32_e32 v3, 5, v4
	v_mad_u32_u24 v0, v2, 33, v4
	s_delay_alu instid0(VALU_DEP_2) | instskip(NEXT) | instid1(VALU_DEP_2)
	v_add_nc_u32_e32 v5, v3, v2
	v_lshl_add_u32 v0, v0, 2, 0
	ds_store_b32 v0, v1
	ds_store_b32 v0, v58 offset:1056
	s_waitcnt lgkmcnt(0)
	s_barrier
	buffer_gl0_inv
	v_cmpx_gt_u32_e32 32, v5
	s_cbranch_execz .LBB111_93
; %bb.84:
	v_mbcnt_lo_u32_b32 v6, -1, 0
	s_load_b128 s[8:11], s[0:1], 0x30
	v_cmp_eq_u32_e64 s0, 0, v4
	s_lshl_b64 s[4:5], s[14:15], 5
	s_delay_alu instid0(VALU_DEP_2) | instskip(SKIP_2) | instid1(VALU_DEP_1)
	v_xor_b32_e32 v7, 4, v6
	v_and_b32_e32 v0, 31, v4
	v_add_co_u32 v4, s1, v3, v2
	v_add_co_ci_u32_e64 v5, null, 0, 0, s1
	s_delay_alu instid0(VALU_DEP_3) | instskip(SKIP_1) | instid1(VALU_DEP_4)
	v_cmp_gt_u32_e64 s1, 8, v0
	v_mul_u32_u24_e32 v11, 33, v0
	v_add_co_u32 v0, vcc_lo, v4, s4
	s_delay_alu instid0(VALU_DEP_4)
	v_add_co_ci_u32_e32 v1, vcc_lo, s5, v5, vcc_lo
	v_xor_b32_e32 v8, 2, v6
	v_cmp_gt_i32_e32 vcc_lo, 32, v7
	v_xor_b32_e32 v9, 1, v6
	v_add3_u32 v11, v11, v2, v3
	s_waitcnt lgkmcnt(0)
	s_cmp_lg_u64 s[8:9], 0
	v_cndmask_b32_e32 v7, v6, v7, vcc_lo
	v_cmp_gt_i32_e32 vcc_lo, 32, v8
	s_cselect_b32 s3, -1, 0
	s_cmp_lg_u64 s[10:11], 0
	v_cndmask_b32_e32 v8, v6, v8, vcc_lo
	v_cmp_gt_i32_e32 vcc_lo, 32, v9
	v_cndmask_b32_e32 v12, v6, v9, vcc_lo
	v_lshlrev_b64 v[9:10], 1, v[0:1]
	v_lshlrev_b32_e32 v6, 2, v7
	v_lshlrev_b32_e32 v7, 2, v8
	s_delay_alu instid0(VALU_DEP_4) | instskip(NEXT) | instid1(VALU_DEP_4)
	v_lshlrev_b32_e32 v8, 2, v12
	v_add_co_u32 v0, vcc_lo, s10, v9
	v_add_co_ci_u32_e32 v1, vcc_lo, s11, v10, vcc_lo
	v_add_co_u32 v2, vcc_lo, s8, v9
	v_add_co_ci_u32_e32 v3, vcc_lo, s9, v10, vcc_lo
	v_lshl_add_u32 v9, v11, 2, 0
	s_cselect_b32 s8, -1, 0
                                        ; implicit-def: $vgpr10
                                        ; implicit-def: $vgpr11
	s_branch .LBB111_86
.LBB111_85:                             ;   in Loop: Header=BB111_86 Depth=1
	s_or_b32 exec_lo, exec_lo, s2
	v_add_co_u32 v4, vcc_lo, v4, 8
	v_add_co_ci_u32_e32 v5, vcc_lo, 0, v5, vcc_lo
	v_add_co_u32 v0, vcc_lo, v0, 16
	s_delay_alu instid0(VALU_DEP_3) | instskip(SKIP_2) | instid1(VALU_DEP_3)
	v_add_nc_u32_e32 v12, -8, v4
	v_add_co_ci_u32_e32 v1, vcc_lo, 0, v1, vcc_lo
	v_add_co_u32 v2, s2, v2, 16
	v_cmp_lt_u32_e32 vcc_lo, 23, v12
	v_add_co_ci_u32_e64 v3, s2, 0, v3, s2
	v_add_nc_u32_e32 v9, 32, v9
	s_or_b32 s15, vcc_lo, s15
	s_delay_alu instid0(SALU_CYCLE_1)
	s_and_not1_b32 exec_lo, exec_lo, s15
	s_cbranch_execz .LBB111_93
.LBB111_86:                             ; =>This Inner Loop Header: Depth=1
	s_and_saveexec_b32 s2, s1
	s_cbranch_execz .LBB111_88
; %bb.87:                               ;   in Loop: Header=BB111_86 Depth=1
	ds_load_b32 v10, v9
	ds_load_b32 v11, v9 offset:1056
.LBB111_88:                             ;   in Loop: Header=BB111_86 Depth=1
	s_or_b32 exec_lo, exec_lo, s2
	s_waitcnt lgkmcnt(1)
	ds_bpermute_b32 v12, v6, v10
	s_waitcnt lgkmcnt(1)
	ds_bpermute_b32 v13, v6, v11
	s_waitcnt lgkmcnt(0)
	v_dual_add_f32 v10, v10, v12 :: v_dual_add_f32 v11, v11, v13
	ds_bpermute_b32 v12, v7, v10
	ds_bpermute_b32 v13, v7, v11
	s_waitcnt lgkmcnt(0)
	v_dual_add_f32 v12, v10, v12 :: v_dual_add_f32 v13, v11, v13
	v_add_co_u32 v10, vcc_lo, s4, v4
	v_add_co_ci_u32_e32 v11, vcc_lo, s5, v5, vcc_lo
	ds_bpermute_b32 v14, v8, v12
	ds_bpermute_b32 v15, v8, v13
	v_cmp_gt_i64_e32 vcc_lo, s[6:7], v[10:11]
	s_and_b32 s9, s0, vcc_lo
	s_waitcnt lgkmcnt(0)
	v_dual_add_f32 v10, v12, v14 :: v_dual_add_f32 v11, v13, v15
	s_and_saveexec_b32 s2, s9
	s_cbranch_execz .LBB111_85
; %bb.89:                               ;   in Loop: Header=BB111_86 Depth=1
	s_and_not1_b32 vcc_lo, exec_lo, s3
	s_cbranch_vccnz .LBB111_91
; %bb.90:                               ;   in Loop: Header=BB111_86 Depth=1
	v_bfe_u32 v12, v10, 16, 1
	v_cmp_o_f32_e32 vcc_lo, v10, v10
	s_delay_alu instid0(VALU_DEP_2) | instskip(NEXT) | instid1(VALU_DEP_1)
	v_add3_u32 v12, v10, v12, 0x7fff
	v_lshrrev_b32_e32 v12, 16, v12
	s_delay_alu instid0(VALU_DEP_1)
	v_cndmask_b32_e32 v12, 0x7fc0, v12, vcc_lo
	global_store_b16 v[2:3], v12, off
.LBB111_91:                             ;   in Loop: Header=BB111_86 Depth=1
	s_and_not1_b32 vcc_lo, exec_lo, s8
	s_cbranch_vccnz .LBB111_85
; %bb.92:                               ;   in Loop: Header=BB111_86 Depth=1
	v_bfe_u32 v12, v11, 16, 1
	v_cmp_o_f32_e32 vcc_lo, v11, v11
	s_delay_alu instid0(VALU_DEP_2) | instskip(NEXT) | instid1(VALU_DEP_1)
	v_add3_u32 v12, v11, v12, 0x7fff
	v_lshrrev_b32_e32 v12, 16, v12
	s_delay_alu instid0(VALU_DEP_1)
	v_cndmask_b32_e32 v12, 0x7fc0, v12, vcc_lo
	global_store_b16 v[0:1], v12, off
	s_branch .LBB111_85
.LBB111_93:
	s_nop 0
	s_sendmsg sendmsg(MSG_DEALLOC_VGPRS)
	s_endpgm
	.section	.rodata,"a",@progbits
	.p2align	6, 0x0
	.amdhsa_kernel _ZN2at6native12_GLOBAL__N_135GammaBetaBackwardCUDAKernelTemplateIN3c108BFloat16EfLj32ELj8ELj64ELb0ELb0ELb0EEEvllPKT_S7_PKT0_SA_PS5_SB_
		.amdhsa_group_segment_fixed_size 0
		.amdhsa_private_segment_fixed_size 0
		.amdhsa_kernarg_size 320
		.amdhsa_user_sgpr_count 14
		.amdhsa_user_sgpr_dispatch_ptr 0
		.amdhsa_user_sgpr_queue_ptr 0
		.amdhsa_user_sgpr_kernarg_segment_ptr 1
		.amdhsa_user_sgpr_dispatch_id 0
		.amdhsa_user_sgpr_private_segment_size 0
		.amdhsa_wavefront_size32 1
		.amdhsa_uses_dynamic_stack 0
		.amdhsa_enable_private_segment 0
		.amdhsa_system_sgpr_workgroup_id_x 1
		.amdhsa_system_sgpr_workgroup_id_y 1
		.amdhsa_system_sgpr_workgroup_id_z 0
		.amdhsa_system_sgpr_workgroup_info 0
		.amdhsa_system_vgpr_workitem_id 1
		.amdhsa_next_free_vgpr 96
		.amdhsa_next_free_sgpr 40
		.amdhsa_reserve_vcc 1
		.amdhsa_float_round_mode_32 0
		.amdhsa_float_round_mode_16_64 0
		.amdhsa_float_denorm_mode_32 3
		.amdhsa_float_denorm_mode_16_64 3
		.amdhsa_dx10_clamp 1
		.amdhsa_ieee_mode 1
		.amdhsa_fp16_overflow 0
		.amdhsa_workgroup_processor_mode 1
		.amdhsa_memory_ordered 1
		.amdhsa_forward_progress 0
		.amdhsa_shared_vgpr_count 0
		.amdhsa_exception_fp_ieee_invalid_op 0
		.amdhsa_exception_fp_denorm_src 0
		.amdhsa_exception_fp_ieee_div_zero 0
		.amdhsa_exception_fp_ieee_overflow 0
		.amdhsa_exception_fp_ieee_underflow 0
		.amdhsa_exception_fp_ieee_inexact 0
		.amdhsa_exception_int_div_zero 0
	.end_amdhsa_kernel
	.section	.text._ZN2at6native12_GLOBAL__N_135GammaBetaBackwardCUDAKernelTemplateIN3c108BFloat16EfLj32ELj8ELj64ELb0ELb0ELb0EEEvllPKT_S7_PKT0_SA_PS5_SB_,"axG",@progbits,_ZN2at6native12_GLOBAL__N_135GammaBetaBackwardCUDAKernelTemplateIN3c108BFloat16EfLj32ELj8ELj64ELb0ELb0ELb0EEEvllPKT_S7_PKT0_SA_PS5_SB_,comdat
.Lfunc_end111:
	.size	_ZN2at6native12_GLOBAL__N_135GammaBetaBackwardCUDAKernelTemplateIN3c108BFloat16EfLj32ELj8ELj64ELb0ELb0ELb0EEEvllPKT_S7_PKT0_SA_PS5_SB_, .Lfunc_end111-_ZN2at6native12_GLOBAL__N_135GammaBetaBackwardCUDAKernelTemplateIN3c108BFloat16EfLj32ELj8ELj64ELb0ELb0ELb0EEEvllPKT_S7_PKT0_SA_PS5_SB_
                                        ; -- End function
	.section	.AMDGPU.csdata,"",@progbits
; Kernel info:
; codeLenInByte = 8776
; NumSgprs: 42
; NumVgprs: 96
; ScratchSize: 0
; MemoryBound: 0
; FloatMode: 240
; IeeeMode: 1
; LDSByteSize: 0 bytes/workgroup (compile time only)
; SGPRBlocks: 5
; VGPRBlocks: 11
; NumSGPRsForWavesPerEU: 42
; NumVGPRsForWavesPerEU: 96
; Occupancy: 16
; WaveLimiterHint : 0
; COMPUTE_PGM_RSRC2:SCRATCH_EN: 0
; COMPUTE_PGM_RSRC2:USER_SGPR: 14
; COMPUTE_PGM_RSRC2:TRAP_HANDLER: 0
; COMPUTE_PGM_RSRC2:TGID_X_EN: 1
; COMPUTE_PGM_RSRC2:TGID_Y_EN: 1
; COMPUTE_PGM_RSRC2:TGID_Z_EN: 0
; COMPUTE_PGM_RSRC2:TIDIG_COMP_CNT: 1
	.section	.text._ZN2at6native12_GLOBAL__N_135GammaBetaBackwardCUDAKernelTemplateIN3c108BFloat16EfLj32ELj16ELj128ELb0ELb1ELb0EEEvllPKT_S7_PKT0_SA_PS5_SB_,"axG",@progbits,_ZN2at6native12_GLOBAL__N_135GammaBetaBackwardCUDAKernelTemplateIN3c108BFloat16EfLj32ELj16ELj128ELb0ELb1ELb0EEEvllPKT_S7_PKT0_SA_PS5_SB_,comdat
	.globl	_ZN2at6native12_GLOBAL__N_135GammaBetaBackwardCUDAKernelTemplateIN3c108BFloat16EfLj32ELj16ELj128ELb0ELb1ELb0EEEvllPKT_S7_PKT0_SA_PS5_SB_ ; -- Begin function _ZN2at6native12_GLOBAL__N_135GammaBetaBackwardCUDAKernelTemplateIN3c108BFloat16EfLj32ELj16ELj128ELb0ELb1ELb0EEEvllPKT_S7_PKT0_SA_PS5_SB_
	.p2align	8
	.type	_ZN2at6native12_GLOBAL__N_135GammaBetaBackwardCUDAKernelTemplateIN3c108BFloat16EfLj32ELj16ELj128ELb0ELb1ELb0EEEvllPKT_S7_PKT0_SA_PS5_SB_,@function
_ZN2at6native12_GLOBAL__N_135GammaBetaBackwardCUDAKernelTemplateIN3c108BFloat16EfLj32ELj16ELj128ELb0ELb1ELb0EEEvllPKT_S7_PKT0_SA_PS5_SB_: ; @_ZN2at6native12_GLOBAL__N_135GammaBetaBackwardCUDAKernelTemplateIN3c108BFloat16EfLj32ELj16ELj128ELb0ELb1ELb0EEEvllPKT_S7_PKT0_SA_PS5_SB_
; %bb.0:
	s_load_b128 s[20:23], s[0:1], 0x0
	s_mov_b32 s3, 0
	s_lshl_b32 s2, s15, 7
	v_bfe_u32 v7, v0, 10, 10
	s_waitcnt lgkmcnt(0)
	v_cmp_lt_i64_e64 s4, s[2:3], s[20:21]
	s_delay_alu instid0(VALU_DEP_1)
	s_and_b32 vcc_lo, exec_lo, s4
	s_cbranch_vccnz .LBB112_2
; %bb.1:
	v_bfe_u32 v2, v0, 10, 10
	s_mov_b32 s5, 0
	s_mov_b32 s4, s3
	s_branch .LBB112_3
.LBB112_2:
	s_mov_b32 s4, -1
                                        ; implicit-def: $sgpr5
                                        ; implicit-def: $vgpr2
.LBB112_3:
	s_load_b128 s[16:19], s[0:1], 0x30
	v_dual_mov_b32 v13, s5 :: v_dual_and_b32 v6, 0x3ff, v0
	v_mov_b32_e32 v17, s5
	s_and_not1_b32 vcc_lo, exec_lo, s4
	s_cbranch_vccnz .LBB112_11
; %bb.4:
	s_clause 0x2
	s_load_b32 s12, s[0:1], 0x4c
	s_load_b32 s15, s[0:1], 0x44
	s_load_b256 s[4:11], s[0:1], 0x10
	v_dual_mov_b32 v1, 0 :: v_dual_lshlrev_b32 v0, 3, v7
	v_dual_mov_b32 v8, 8 :: v_dual_mov_b32 v9, 4
	v_dual_mov_b32 v10, 12 :: v_dual_mov_b32 v11, 16
	s_delay_alu instid0(VALU_DEP_3) | instskip(NEXT) | instid1(VALU_DEP_1)
	v_add_co_u32 v2, s0, v0, s2
	v_add_co_ci_u32_e64 v3, null, 0, 0, s0
	v_lshl_add_u32 v0, s14, 5, v6
	s_delay_alu instid0(VALU_DEP_3) | instskip(SKIP_1) | instid1(VALU_DEP_4)
	v_mul_lo_u32 v13, s23, v2
	v_mad_u64_u32 v[4:5], null, s22, v2, 0
	v_mul_lo_u32 v18, s22, v3
	v_dual_mov_b32 v12, 20 :: v_dual_mov_b32 v15, 28
	s_waitcnt lgkmcnt(0)
	s_and_b32 s0, s12, 0xffff
	s_lshl_b32 s12, s15, 7
	v_mad_u32_u24 v16, v7, s0, v6
	s_mul_i32 s1, s23, s12
	s_mul_hi_u32 s15, s22, s12
	v_add3_u32 v5, v5, v18, v13
	v_mov_b32_e32 v14, 24
	v_dual_mov_b32 v13, 0 :: v_dual_and_b32 v20, 31, v16
	v_lshlrev_b64 v[16:17], 1, v[0:1]
	s_delay_alu instid0(VALU_DEP_4) | instskip(SKIP_1) | instid1(VALU_DEP_3)
	v_lshlrev_b64 v[18:19], 1, v[4:5]
	s_mov_b32 s13, 0
	v_add_co_u32 v2, vcc_lo, v2, v20
	v_add_co_ci_u32_e32 v3, vcc_lo, 0, v3, vcc_lo
	s_delay_alu instid0(VALU_DEP_3) | instskip(SKIP_1) | instid1(VALU_DEP_3)
	v_add_co_u32 v0, vcc_lo, v18, v16
	v_cmp_gt_u32_e64 s0, 8, v20
	v_lshlrev_b64 v[4:5], 2, v[2:3]
	v_add_co_ci_u32_e32 v16, vcc_lo, v19, v17, vcc_lo
	v_mov_b32_e32 v17, 0
	s_add_i32 s27, s15, s1
	s_mul_i32 s26, s22, s12
	s_lshl_b64 s[24:25], s[12:13], 2
	s_lshl_b64 s[26:27], s[26:27], 1
	;; [unrolled: 1-line block ×3, first 2 shown]
	s_branch .LBB112_7
.LBB112_5:                              ;   in Loop: Header=BB112_7 Depth=1
	s_or_b32 exec_lo, exec_lo, s13
.LBB112_6:                              ;   in Loop: Header=BB112_7 Depth=1
	s_delay_alu instid0(SALU_CYCLE_1) | instskip(SKIP_4) | instid1(VALU_DEP_4)
	s_or_b32 exec_lo, exec_lo, s1
	v_add_co_u32 v20, vcc_lo, s4, v0
	v_add_co_ci_u32_e32 v21, vcc_lo, s5, v16, vcc_lo
	v_add_co_u32 v22, vcc_lo, s6, v0
	v_add_co_ci_u32_e32 v23, vcc_lo, s7, v16, vcc_lo
	v_add_co_u32 v24, vcc_lo, v20, s22
	s_delay_alu instid0(VALU_DEP_4) | instskip(NEXT) | instid1(VALU_DEP_4)
	v_add_co_ci_u32_e32 v25, vcc_lo, s23, v21, vcc_lo
	v_add_co_u32 v26, vcc_lo, v22, s22
	s_delay_alu instid0(VALU_DEP_4) | instskip(NEXT) | instid1(VALU_DEP_4)
	v_add_co_ci_u32_e32 v27, vcc_lo, s23, v23, vcc_lo
	v_add_co_u32 v28, vcc_lo, v24, s22
	s_delay_alu instid0(VALU_DEP_4)
	v_add_co_ci_u32_e32 v29, vcc_lo, s23, v25, vcc_lo
	global_load_u16 v30, v[20:21], off
	global_load_u16 v31, v[22:23], off
	;; [unrolled: 1-line block ×5, first 2 shown]
	v_add_co_u32 v20, vcc_lo, v26, s22
	v_add_co_ci_u32_e32 v21, vcc_lo, s23, v27, vcc_lo
	v_add_co_u32 v22, vcc_lo, v28, s22
	v_add_co_ci_u32_e32 v23, vcc_lo, s23, v29, vcc_lo
	s_delay_alu instid0(VALU_DEP_4) | instskip(NEXT) | instid1(VALU_DEP_4)
	v_add_co_u32 v24, vcc_lo, v20, s22
	v_add_co_ci_u32_e32 v25, vcc_lo, s23, v21, vcc_lo
	s_delay_alu instid0(VALU_DEP_4) | instskip(NEXT) | instid1(VALU_DEP_4)
	;; [unrolled: 3-line block ×3, first 2 shown]
	v_add_co_u32 v28, vcc_lo, v24, s22
	v_add_co_ci_u32_e32 v29, vcc_lo, s23, v25, vcc_lo
	global_load_u16 v35, v[20:21], off
	global_load_u16 v36, v[22:23], off
	;; [unrolled: 1-line block ×5, first 2 shown]
	v_add_co_u32 v20, vcc_lo, v26, s22
	v_add_co_ci_u32_e32 v21, vcc_lo, s23, v27, vcc_lo
	v_add_co_u32 v22, vcc_lo, v28, s22
	v_add_co_ci_u32_e32 v23, vcc_lo, s23, v29, vcc_lo
	s_delay_alu instid0(VALU_DEP_4) | instskip(NEXT) | instid1(VALU_DEP_4)
	v_add_co_u32 v24, vcc_lo, v20, s22
	v_add_co_ci_u32_e32 v25, vcc_lo, s23, v21, vcc_lo
	s_delay_alu instid0(VALU_DEP_4) | instskip(NEXT) | instid1(VALU_DEP_4)
	v_add_co_u32 v26, vcc_lo, v22, s22
	v_add_co_ci_u32_e32 v27, vcc_lo, s23, v23, vcc_lo
	global_load_u16 v28, v[20:21], off
	global_load_u16 v29, v[22:23], off
	;; [unrolled: 1-line block ×4, first 2 shown]
	v_add_co_u32 v20, vcc_lo, v26, s22
	v_add_co_ci_u32_e32 v21, vcc_lo, s23, v27, vcc_lo
	v_add_co_u32 v22, vcc_lo, v24, s22
	v_add_co_ci_u32_e32 v23, vcc_lo, s23, v25, vcc_lo
	global_load_u16 v20, v[20:21], off
	global_load_u16 v21, v[22:23], off
	s_waitcnt vmcnt(17)
	ds_bpermute_b32 v25, v9, v18
	ds_bpermute_b32 v22, v1, v18
	s_waitcnt vmcnt(16)
	ds_bpermute_b32 v23, v1, v19
	ds_bpermute_b32 v24, v9, v19
	;; [unrolled: 1-line block ×14, first 2 shown]
	v_add_co_u32 v4, vcc_lo, v4, s24
	s_add_u32 s2, s2, s12
	v_add_co_ci_u32_e32 v5, vcc_lo, s25, v5, vcc_lo
	s_addc_u32 s3, s3, 0
	v_add_co_u32 v2, vcc_lo, v2, s12
	v_add_co_ci_u32_e32 v3, vcc_lo, 0, v3, vcc_lo
	v_cmp_lt_i64_e64 s1, s[2:3], s[20:21]
	v_add_co_u32 v0, vcc_lo, v0, s26
	v_add_co_ci_u32_e32 v16, vcc_lo, s27, v16, vcc_lo
	s_delay_alu instid0(VALU_DEP_3) | instskip(SKIP_3) | instid1(VALU_DEP_1)
	s_and_b32 vcc_lo, exec_lo, s1
	s_waitcnt vmcnt(12)
	v_lshlrev_b32_e32 v33, 16, v33
	s_waitcnt lgkmcnt(15)
	v_dual_sub_f32 v25, v33, v25 :: v_dual_lshlrev_b32 v30, 16, v30
	v_lshlrev_b32_e32 v31, 16, v31
	s_delay_alu instid0(VALU_DEP_2) | instskip(SKIP_1) | instid1(VALU_DEP_2)
	v_add_f32_e32 v17, v17, v30
	s_waitcnt lgkmcnt(14)
	v_sub_f32_e32 v22, v31, v22
	s_delay_alu instid0(VALU_DEP_1) | instskip(SKIP_1) | instid1(VALU_DEP_1)
	v_mul_f32_e32 v22, v22, v30
	s_waitcnt vmcnt(11) lgkmcnt(13)
	v_dual_fmac_f32 v13, v22, v23 :: v_dual_lshlrev_b32 v30, 16, v34
	v_lshlrev_b32_e32 v31, 16, v32
	s_waitcnt vmcnt(8)
	s_delay_alu instid0(VALU_DEP_1) | instskip(SKIP_1) | instid1(VALU_DEP_1)
	v_dual_mul_f32 v22, v25, v31 :: v_dual_lshlrev_b32 v25, 16, v37
	s_waitcnt lgkmcnt(12)
	v_dual_fmac_f32 v13, v22, v24 :: v_dual_lshlrev_b32 v32, 16, v35
	s_waitcnt vmcnt(6)
	v_lshlrev_b32_e32 v24, 16, v39
	s_waitcnt lgkmcnt(11)
	s_delay_alu instid0(VALU_DEP_2) | instskip(NEXT) | instid1(VALU_DEP_1)
	v_sub_f32_e32 v23, v32, v27
	v_dual_mul_f32 v22, v23, v30 :: v_dual_add_f32 v17, v17, v31
	s_waitcnt lgkmcnt(9)
	v_sub_f32_e32 v23, v25, v43
	s_waitcnt vmcnt(5)
	s_delay_alu instid0(VALU_DEP_2) | instskip(SKIP_3) | instid1(VALU_DEP_1)
	v_dual_fmac_f32 v13, v22, v26 :: v_dual_lshlrev_b32 v26, 16, v28
	s_waitcnt vmcnt(1)
	v_lshlrev_b32_e32 v20, 16, v20
	s_waitcnt vmcnt(0) lgkmcnt(5)
	v_dual_sub_f32 v18, v20, v18 :: v_dual_lshlrev_b32 v21, 16, v21
	s_delay_alu instid0(VALU_DEP_1) | instskip(SKIP_1) | instid1(VALU_DEP_1)
	v_dual_mul_f32 v18, v18, v21 :: v_dual_lshlrev_b32 v25, 16, v38
	v_lshlrev_b32_e32 v27, 16, v36
	v_dual_add_f32 v17, v17, v30 :: v_dual_mul_f32 v22, v23, v27
	v_sub_f32_e32 v23, v24, v45
	s_waitcnt lgkmcnt(4)
	s_delay_alu instid0(VALU_DEP_2) | instskip(NEXT) | instid1(VALU_DEP_1)
	v_dual_fmac_f32 v13, v22, v42 :: v_dual_lshlrev_b32 v24, 16, v29
	v_dual_mul_f32 v22, v23, v25 :: v_dual_sub_f32 v23, v24, v47
	v_dual_add_f32 v17, v17, v27 :: v_dual_lshlrev_b32 v24, 16, v41
	s_waitcnt lgkmcnt(3)
	s_delay_alu instid0(VALU_DEP_2) | instskip(NEXT) | instid1(VALU_DEP_2)
	v_dual_fmac_f32 v13, v22, v44 :: v_dual_mul_f32 v22, v23, v26
	v_add_f32_e32 v17, v17, v25
	v_lshlrev_b32_e32 v25, 16, v40
	v_sub_f32_e32 v23, v24, v49
	s_waitcnt lgkmcnt(2)
	v_fmac_f32_e32 v13, v22, v46
	s_delay_alu instid0(VALU_DEP_2) | instskip(NEXT) | instid1(VALU_DEP_1)
	v_dual_add_f32 v17, v17, v26 :: v_dual_mul_f32 v22, v23, v25
	v_add_f32_e32 v17, v17, v25
	s_waitcnt lgkmcnt(1)
	s_delay_alu instid0(VALU_DEP_2) | instskip(NEXT) | instid1(VALU_DEP_2)
	v_fmac_f32_e32 v13, v22, v48
	v_add_f32_e32 v17, v17, v21
	s_waitcnt lgkmcnt(0)
	s_delay_alu instid0(VALU_DEP_2)
	v_fmac_f32_e32 v13, v18, v19
	s_cbranch_vccz .LBB112_10
.LBB112_7:                              ; =>This Inner Loop Header: Depth=1
	v_dual_mov_b32 v19, 0 :: v_dual_mov_b32 v18, 0
	s_and_saveexec_b32 s1, s0
	s_cbranch_execz .LBB112_6
; %bb.8:                                ;   in Loop: Header=BB112_7 Depth=1
	v_dual_mov_b32 v18, 0 :: v_dual_mov_b32 v19, 0
	s_mov_b32 s13, exec_lo
	v_cmpx_gt_i64_e64 s[20:21], v[2:3]
	s_cbranch_execz .LBB112_5
; %bb.9:                                ;   in Loop: Header=BB112_7 Depth=1
	v_add_co_u32 v18, vcc_lo, s8, v4
	v_add_co_ci_u32_e32 v19, vcc_lo, s9, v5, vcc_lo
	v_add_co_u32 v20, vcc_lo, s10, v4
	v_add_co_ci_u32_e32 v21, vcc_lo, s11, v5, vcc_lo
	global_load_b32 v18, v[18:19], off
	global_load_b32 v19, v[20:21], off
	s_branch .LBB112_5
.LBB112_10:
	v_mov_b32_e32 v2, v7
.LBB112_11:
	s_delay_alu instid0(VALU_DEP_2) | instskip(NEXT) | instid1(VALU_DEP_2)
	v_lshrrev_b32_e32 v3, 5, v6
	v_mad_u32_u24 v1, v2, 33, v6
	s_mov_b32 s15, 0
	s_mov_b32 s0, exec_lo
	s_delay_alu instid0(VALU_DEP_2) | instskip(NEXT) | instid1(VALU_DEP_2)
	v_add_nc_u32_e32 v0, v3, v2
	v_lshl_add_u32 v1, v1, 2, 0
	ds_store_b32 v1, v13
	ds_store_b32 v1, v17 offset:2112
	s_waitcnt lgkmcnt(0)
	s_barrier
	buffer_gl0_inv
	v_cmpx_gt_u32_e32 32, v0
	s_cbranch_execz .LBB112_21
; %bb.12:
	v_mbcnt_lo_u32_b32 v4, -1, 0
	s_lshl_b64 s[4:5], s[14:15], 5
	v_cmp_eq_u32_e64 s1, 0, v6
	s_cmp_lg_u64 s[16:17], 0
	s_cselect_b32 s2, -1, 0
	v_xor_b32_e32 v8, 2, v4
	v_and_b32_e32 v1, 31, v6
	v_xor_b32_e32 v5, 4, v4
	v_or_b32_e32 v6, s4, v3
	v_xor_b32_e32 v9, 1, v4
	s_cmp_lg_u64 s[18:19], 0
	v_cmp_gt_u32_e64 s0, 16, v1
	v_mul_u32_u24_e32 v11, 33, v1
	v_xor_b32_e32 v1, 8, v4
	s_delay_alu instid0(VALU_DEP_2) | instskip(NEXT) | instid1(VALU_DEP_2)
	v_add3_u32 v11, v11, v2, v3
	v_cmp_gt_i32_e32 vcc_lo, 32, v1
	v_cndmask_b32_e32 v1, v4, v1, vcc_lo
	v_cmp_gt_i32_e32 vcc_lo, 32, v5
	v_cndmask_b32_e32 v7, v4, v5, vcc_lo
	v_cmp_gt_i32_e32 vcc_lo, 32, v8
	v_add_co_u32 v5, s3, v6, v2
	s_delay_alu instid0(VALU_DEP_1)
	v_add_co_ci_u32_e64 v6, null, s5, 0, s3
	v_cndmask_b32_e32 v8, v4, v8, vcc_lo
	v_cmp_gt_i32_e32 vcc_lo, 32, v9
	s_cselect_b32 s3, -1, 0
	v_cndmask_b32_e32 v12, v4, v9, vcc_lo
	v_lshlrev_b64 v[9:10], 1, v[5:6]
	v_lshlrev_b32_e32 v6, 2, v8
	v_add_nc_u32_e32 v8, -16, v0
	v_lshlrev_b32_e32 v5, 2, v7
	v_lshlrev_b32_e32 v4, 2, v1
	;; [unrolled: 1-line block ×3, first 2 shown]
	v_add_co_u32 v0, vcc_lo, s18, v9
	v_add_co_ci_u32_e32 v1, vcc_lo, s19, v10, vcc_lo
	v_add_co_u32 v2, vcc_lo, s16, v9
	v_add_co_ci_u32_e32 v3, vcc_lo, s17, v10, vcc_lo
	v_lshl_add_u32 v9, v11, 2, 0
                                        ; implicit-def: $vgpr10
                                        ; implicit-def: $vgpr11
	s_branch .LBB112_14
.LBB112_13:                             ;   in Loop: Header=BB112_14 Depth=1
	s_or_b32 exec_lo, exec_lo, s4
	v_add_co_u32 v0, vcc_lo, v0, 32
	v_add_co_u32 v8, s4, v8, 16
	v_add_co_ci_u32_e32 v1, vcc_lo, 0, v1, vcc_lo
	v_add_co_u32 v2, vcc_lo, v2, 32
	s_xor_b32 s4, s4, -1
	v_add_co_ci_u32_e32 v3, vcc_lo, 0, v3, vcc_lo
	v_add_nc_u32_e32 v9, 64, v9
	s_and_b32 s4, exec_lo, s4
	s_delay_alu instid0(SALU_CYCLE_1) | instskip(NEXT) | instid1(SALU_CYCLE_1)
	s_or_b32 s15, s4, s15
	s_and_not1_b32 exec_lo, exec_lo, s15
	s_cbranch_execz .LBB112_21
.LBB112_14:                             ; =>This Inner Loop Header: Depth=1
	s_and_saveexec_b32 s4, s0
	s_cbranch_execz .LBB112_16
; %bb.15:                               ;   in Loop: Header=BB112_14 Depth=1
	ds_load_b32 v10, v9
	ds_load_b32 v11, v9 offset:2112
.LBB112_16:                             ;   in Loop: Header=BB112_14 Depth=1
	s_or_b32 exec_lo, exec_lo, s4
	s_waitcnt lgkmcnt(1)
	ds_bpermute_b32 v12, v4, v10
	s_waitcnt lgkmcnt(1)
	ds_bpermute_b32 v13, v4, v11
	s_waitcnt lgkmcnt(0)
	v_dual_add_f32 v10, v10, v12 :: v_dual_add_f32 v11, v11, v13
	ds_bpermute_b32 v12, v5, v10
	ds_bpermute_b32 v13, v5, v11
	s_waitcnt lgkmcnt(0)
	v_dual_add_f32 v10, v10, v12 :: v_dual_add_f32 v11, v11, v13
	ds_bpermute_b32 v12, v6, v10
	;; [unrolled: 4-line block ×3, first 2 shown]
	ds_bpermute_b32 v13, v7, v11
	s_waitcnt lgkmcnt(0)
	v_dual_add_f32 v10, v10, v12 :: v_dual_add_f32 v11, v11, v13
	s_and_saveexec_b32 s4, s1
	s_cbranch_execz .LBB112_13
; %bb.17:                               ;   in Loop: Header=BB112_14 Depth=1
	s_and_not1_b32 vcc_lo, exec_lo, s2
	s_cbranch_vccnz .LBB112_19
; %bb.18:                               ;   in Loop: Header=BB112_14 Depth=1
	v_bfe_u32 v12, v10, 16, 1
	v_cmp_o_f32_e32 vcc_lo, v10, v10
	s_delay_alu instid0(VALU_DEP_2) | instskip(NEXT) | instid1(VALU_DEP_1)
	v_add3_u32 v12, v10, v12, 0x7fff
	v_lshrrev_b32_e32 v12, 16, v12
	s_delay_alu instid0(VALU_DEP_1)
	v_cndmask_b32_e32 v12, 0x7fc0, v12, vcc_lo
	global_store_b16 v[2:3], v12, off
.LBB112_19:                             ;   in Loop: Header=BB112_14 Depth=1
	s_and_not1_b32 vcc_lo, exec_lo, s3
	s_cbranch_vccnz .LBB112_13
; %bb.20:                               ;   in Loop: Header=BB112_14 Depth=1
	v_bfe_u32 v12, v11, 16, 1
	v_cmp_o_f32_e32 vcc_lo, v11, v11
	s_delay_alu instid0(VALU_DEP_2) | instskip(NEXT) | instid1(VALU_DEP_1)
	v_add3_u32 v12, v11, v12, 0x7fff
	v_lshrrev_b32_e32 v12, 16, v12
	s_delay_alu instid0(VALU_DEP_1)
	v_cndmask_b32_e32 v12, 0x7fc0, v12, vcc_lo
	global_store_b16 v[0:1], v12, off
	s_branch .LBB112_13
.LBB112_21:
	s_nop 0
	s_sendmsg sendmsg(MSG_DEALLOC_VGPRS)
	s_endpgm
	.section	.rodata,"a",@progbits
	.p2align	6, 0x0
	.amdhsa_kernel _ZN2at6native12_GLOBAL__N_135GammaBetaBackwardCUDAKernelTemplateIN3c108BFloat16EfLj32ELj16ELj128ELb0ELb1ELb0EEEvllPKT_S7_PKT0_SA_PS5_SB_
		.amdhsa_group_segment_fixed_size 0
		.amdhsa_private_segment_fixed_size 0
		.amdhsa_kernarg_size 320
		.amdhsa_user_sgpr_count 14
		.amdhsa_user_sgpr_dispatch_ptr 0
		.amdhsa_user_sgpr_queue_ptr 0
		.amdhsa_user_sgpr_kernarg_segment_ptr 1
		.amdhsa_user_sgpr_dispatch_id 0
		.amdhsa_user_sgpr_private_segment_size 0
		.amdhsa_wavefront_size32 1
		.amdhsa_uses_dynamic_stack 0
		.amdhsa_enable_private_segment 0
		.amdhsa_system_sgpr_workgroup_id_x 1
		.amdhsa_system_sgpr_workgroup_id_y 1
		.amdhsa_system_sgpr_workgroup_id_z 0
		.amdhsa_system_sgpr_workgroup_info 0
		.amdhsa_system_vgpr_workitem_id 1
		.amdhsa_next_free_vgpr 50
		.amdhsa_next_free_sgpr 28
		.amdhsa_reserve_vcc 1
		.amdhsa_float_round_mode_32 0
		.amdhsa_float_round_mode_16_64 0
		.amdhsa_float_denorm_mode_32 3
		.amdhsa_float_denorm_mode_16_64 3
		.amdhsa_dx10_clamp 1
		.amdhsa_ieee_mode 1
		.amdhsa_fp16_overflow 0
		.amdhsa_workgroup_processor_mode 1
		.amdhsa_memory_ordered 1
		.amdhsa_forward_progress 0
		.amdhsa_shared_vgpr_count 0
		.amdhsa_exception_fp_ieee_invalid_op 0
		.amdhsa_exception_fp_denorm_src 0
		.amdhsa_exception_fp_ieee_div_zero 0
		.amdhsa_exception_fp_ieee_overflow 0
		.amdhsa_exception_fp_ieee_underflow 0
		.amdhsa_exception_fp_ieee_inexact 0
		.amdhsa_exception_int_div_zero 0
	.end_amdhsa_kernel
	.section	.text._ZN2at6native12_GLOBAL__N_135GammaBetaBackwardCUDAKernelTemplateIN3c108BFloat16EfLj32ELj16ELj128ELb0ELb1ELb0EEEvllPKT_S7_PKT0_SA_PS5_SB_,"axG",@progbits,_ZN2at6native12_GLOBAL__N_135GammaBetaBackwardCUDAKernelTemplateIN3c108BFloat16EfLj32ELj16ELj128ELb0ELb1ELb0EEEvllPKT_S7_PKT0_SA_PS5_SB_,comdat
.Lfunc_end112:
	.size	_ZN2at6native12_GLOBAL__N_135GammaBetaBackwardCUDAKernelTemplateIN3c108BFloat16EfLj32ELj16ELj128ELb0ELb1ELb0EEEvllPKT_S7_PKT0_SA_PS5_SB_, .Lfunc_end112-_ZN2at6native12_GLOBAL__N_135GammaBetaBackwardCUDAKernelTemplateIN3c108BFloat16EfLj32ELj16ELj128ELb0ELb1ELb0EEEvllPKT_S7_PKT0_SA_PS5_SB_
                                        ; -- End function
	.section	.AMDGPU.csdata,"",@progbits
; Kernel info:
; codeLenInByte = 1960
; NumSgprs: 30
; NumVgprs: 50
; ScratchSize: 0
; MemoryBound: 0
; FloatMode: 240
; IeeeMode: 1
; LDSByteSize: 0 bytes/workgroup (compile time only)
; SGPRBlocks: 3
; VGPRBlocks: 6
; NumSGPRsForWavesPerEU: 30
; NumVGPRsForWavesPerEU: 50
; Occupancy: 16
; WaveLimiterHint : 0
; COMPUTE_PGM_RSRC2:SCRATCH_EN: 0
; COMPUTE_PGM_RSRC2:USER_SGPR: 14
; COMPUTE_PGM_RSRC2:TRAP_HANDLER: 0
; COMPUTE_PGM_RSRC2:TGID_X_EN: 1
; COMPUTE_PGM_RSRC2:TGID_Y_EN: 1
; COMPUTE_PGM_RSRC2:TGID_Z_EN: 0
; COMPUTE_PGM_RSRC2:TIDIG_COMP_CNT: 1
	.section	.text._ZN2at6native12_GLOBAL__N_135GammaBetaBackwardCUDAKernelTemplateIN3c108BFloat16EfLj32ELj16ELj128ELb0ELb0ELb0EEEvllPKT_S7_PKT0_SA_PS5_SB_,"axG",@progbits,_ZN2at6native12_GLOBAL__N_135GammaBetaBackwardCUDAKernelTemplateIN3c108BFloat16EfLj32ELj16ELj128ELb0ELb0ELb0EEEvllPKT_S7_PKT0_SA_PS5_SB_,comdat
	.globl	_ZN2at6native12_GLOBAL__N_135GammaBetaBackwardCUDAKernelTemplateIN3c108BFloat16EfLj32ELj16ELj128ELb0ELb0ELb0EEEvllPKT_S7_PKT0_SA_PS5_SB_ ; -- Begin function _ZN2at6native12_GLOBAL__N_135GammaBetaBackwardCUDAKernelTemplateIN3c108BFloat16EfLj32ELj16ELj128ELb0ELb0ELb0EEEvllPKT_S7_PKT0_SA_PS5_SB_
	.p2align	8
	.type	_ZN2at6native12_GLOBAL__N_135GammaBetaBackwardCUDAKernelTemplateIN3c108BFloat16EfLj32ELj16ELj128ELb0ELb0ELb0EEEvllPKT_S7_PKT0_SA_PS5_SB_,@function
_ZN2at6native12_GLOBAL__N_135GammaBetaBackwardCUDAKernelTemplateIN3c108BFloat16EfLj32ELj16ELj128ELb0ELb0ELb0EEEvllPKT_S7_PKT0_SA_PS5_SB_: ; @_ZN2at6native12_GLOBAL__N_135GammaBetaBackwardCUDAKernelTemplateIN3c108BFloat16EfLj32ELj16ELj128ELb0ELb0ELb0EEEvllPKT_S7_PKT0_SA_PS5_SB_
; %bb.0:
	s_clause 0x1
	s_load_b256 s[4:11], s[0:1], 0x0
	s_load_b128 s[24:27], s[0:1], 0x20
	s_mov_b32 s29, 0
	s_lshl_b32 s12, s15, 7
	s_mov_b32 s13, s29
	s_lshl_b32 s33, s14, 5
	s_delay_alu instid0(SALU_CYCLE_1) | instskip(SKIP_3) | instid1(VALU_DEP_2)
	s_or_b32 s28, s33, 31
	s_waitcnt lgkmcnt(0)
	v_cmp_lt_i64_e64 s15, s[12:13], s[4:5]
	v_cmp_ge_i64_e64 s2, s[28:29], s[6:7]
	v_cndmask_b32_e64 v1, 0, 1, s15
	s_delay_alu instid0(VALU_DEP_2) | instskip(NEXT) | instid1(VALU_DEP_1)
	s_and_b32 vcc_lo, exec_lo, s2
	v_cmp_ne_u32_e64 s2, 1, v1
	s_cbranch_vccz .LBB113_49
; %bb.1:
	v_dual_mov_b32 v1, 0 :: v_dual_mov_b32 v58, 0
	s_delay_alu instid0(VALU_DEP_2)
	s_and_b32 vcc_lo, exec_lo, s2
	s_cbranch_vccnz .LBB113_50
; %bb.2:
	v_bfe_u32 v27, v0, 10, 10
	s_load_b32 s3, s[0:1], 0x44
	v_dual_mov_b32 v2, 0 :: v_dual_and_b32 v29, 0x3ff, v0
	s_add_u32 s30, s0, 64
	s_delay_alu instid0(VALU_DEP_2) | instskip(NEXT) | instid1(VALU_DEP_2)
	v_dual_mov_b32 v63, 0 :: v_dual_lshlrev_b32 v28, 3, v27
	v_dual_mov_b32 v58, 0 :: v_dual_add_nc_u32 v1, s33, v29
	s_addc_u32 s31, s1, 0
	s_delay_alu instid0(VALU_DEP_2) | instskip(NEXT) | instid1(VALU_DEP_1)
	v_add_co_u32 v9, s2, v28, s12
	v_add_co_ci_u32_e64 v10, null, 0, 0, s2
	s_delay_alu instid0(VALU_DEP_3) | instskip(NEXT) | instid1(VALU_DEP_3)
	v_cmp_gt_i64_e64 s2, s[6:7], v[1:2]
	v_add_co_u32 v5, vcc_lo, v9, 7
	s_delay_alu instid0(VALU_DEP_3) | instskip(SKIP_1) | instid1(VALU_DEP_3)
	v_add_co_ci_u32_e32 v3, vcc_lo, 0, v10, vcc_lo
	v_add_co_u32 v8, vcc_lo, v9, 6
	v_mul_lo_u32 v6, s7, v5
	s_delay_alu instid0(VALU_DEP_3)
	v_mul_lo_u32 v7, s6, v3
	v_mad_u64_u32 v[3:4], null, s6, v5, 0
	v_add_co_ci_u32_e32 v5, vcc_lo, 0, v10, vcc_lo
	v_lshlrev_b64 v[25:26], 1, v[1:2]
	v_mul_lo_u32 v1, s7, v8
	s_waitcnt lgkmcnt(0)
	s_lshl_b32 s28, s3, 7
	s_mov_b32 s16, 0
	s_delay_alu instid0(VALU_DEP_4) | instskip(SKIP_3) | instid1(VALU_DEP_3)
	v_add3_u32 v4, v4, v7, v6
	v_mul_lo_u32 v7, s6, v5
	v_mad_u64_u32 v[5:6], null, s6, v8, 0
	s_mul_i32 s3, s7, s28
	v_lshlrev_b64 v[3:4], 1, v[3:4]
	s_mul_hi_u32 s17, s6, s28
	s_mul_i32 s18, s6, s28
	s_add_i32 s19, s17, s3
	s_mov_b64 s[38:39], s[12:13]
	s_delay_alu instid0(VALU_DEP_2) | instskip(SKIP_4) | instid1(VALU_DEP_1)
	v_add3_u32 v6, v6, v7, v1
	v_add_co_u32 v30, vcc_lo, s8, v3
	v_add_co_ci_u32_e32 v31, vcc_lo, s9, v4, vcc_lo
	v_add_co_u32 v1, vcc_lo, v9, 5
	v_add_co_u32 v32, s3, s10, v3
	v_add_co_ci_u32_e64 v33, s3, s11, v4, s3
	v_lshlrev_b64 v[3:4], 1, v[5:6]
	v_add_co_ci_u32_e32 v5, vcc_lo, 0, v10, vcc_lo
	v_add_co_u32 v12, vcc_lo, v9, 4
	v_mul_lo_u32 v11, s7, v1
	s_delay_alu instid0(VALU_DEP_3) | instskip(SKIP_4) | instid1(VALU_DEP_3)
	v_mul_lo_u32 v13, s6, v5
	v_mad_u64_u32 v[5:6], null, s6, v1, 0
	v_add_co_ci_u32_e32 v7, vcc_lo, 0, v10, vcc_lo
	v_mul_lo_u32 v1, s7, v12
	v_add_co_u32 v34, vcc_lo, s8, v3
	v_mul_lo_u32 v14, s6, v7
	v_mad_u64_u32 v[7:8], null, s6, v12, 0
	v_add3_u32 v6, v6, v13, v11
	v_add_co_ci_u32_e32 v35, vcc_lo, s9, v4, vcc_lo
	v_add_co_u32 v36, vcc_lo, s10, v3
	v_add_co_ci_u32_e32 v37, vcc_lo, s11, v4, vcc_lo
	s_delay_alu instid0(VALU_DEP_4) | instskip(SKIP_3) | instid1(VALU_DEP_4)
	v_lshlrev_b64 v[3:4], 1, v[5:6]
	v_add3_u32 v8, v8, v14, v1
	v_add_co_u32 v1, vcc_lo, v9, 3
	v_add_co_ci_u32_e32 v11, vcc_lo, 0, v10, vcc_lo
	v_add_co_u32 v38, vcc_lo, s8, v3
	s_delay_alu instid0(VALU_DEP_4)
	v_lshlrev_b64 v[5:6], 1, v[7:8]
	v_add_co_ci_u32_e32 v39, vcc_lo, s9, v4, vcc_lo
	v_mul_lo_u32 v12, s7, v1
	v_mul_lo_u32 v11, s6, v11
	v_mad_u64_u32 v[7:8], null, s6, v1, 0
	v_add_co_u32 v40, vcc_lo, s10, v3
	v_add_co_ci_u32_e32 v41, vcc_lo, s11, v4, vcc_lo
	v_add_co_u32 v42, vcc_lo, s8, v5
	v_add_co_ci_u32_e32 v43, vcc_lo, s9, v6, vcc_lo
	v_add_co_u32 v1, vcc_lo, v9, 2
	v_add3_u32 v8, v8, v11, v12
	v_add_co_ci_u32_e32 v11, vcc_lo, 0, v10, vcc_lo
	v_add_co_u32 v44, vcc_lo, s10, v5
	v_add_co_ci_u32_e32 v45, vcc_lo, s11, v6, vcc_lo
	v_mul_lo_u32 v12, s7, v1
	s_delay_alu instid0(VALU_DEP_4)
	v_mul_lo_u32 v11, s6, v11
	v_mad_u64_u32 v[5:6], null, s6, v1, 0
	v_lshlrev_b64 v[3:4], 1, v[7:8]
	v_mul_lo_u32 v1, s7, v9
	v_mul_lo_u32 v10, s6, v10
	v_mad_u64_u32 v[7:8], null, s6, v9, 0
	s_lshl_b64 s[34:35], s[18:19], 1
	s_delay_alu instid0(VALU_DEP_4)
	v_add_co_u32 v46, vcc_lo, s8, v3
	v_add3_u32 v6, v6, v11, v12
	v_add_co_ci_u32_e32 v47, vcc_lo, s9, v4, vcc_lo
	v_add_co_u32 v48, vcc_lo, s10, v3
	v_add3_u32 v8, v8, v10, v1
	v_add_co_ci_u32_e32 v49, vcc_lo, s11, v4, vcc_lo
	v_lshlrev_b64 v[3:4], 1, v[5:6]
	v_add_co_u32 v5, vcc_lo, v7, s6
	s_delay_alu instid0(VALU_DEP_4) | instskip(SKIP_1) | instid1(VALU_DEP_3)
	v_add_co_ci_u32_e32 v6, vcc_lo, s7, v8, vcc_lo
	s_add_u32 s36, s12, 0x7f
	v_add_co_u32 v50, vcc_lo, s8, v3
	s_delay_alu instid0(VALU_DEP_2) | instskip(SKIP_3) | instid1(VALU_DEP_4)
	v_lshlrev_b64 v[5:6], 1, v[5:6]
	v_add_co_ci_u32_e32 v51, vcc_lo, s9, v4, vcc_lo
	v_add_co_u32 v52, vcc_lo, s10, v3
	v_add_co_ci_u32_e32 v53, vcc_lo, s11, v4, vcc_lo
	v_add_co_u32 v54, vcc_lo, s8, v5
	v_lshlrev_b64 v[3:4], 1, v[7:8]
	v_add_co_ci_u32_e32 v55, vcc_lo, s9, v6, vcc_lo
	v_add_co_u32 v56, vcc_lo, s10, v5
	v_add_co_ci_u32_e32 v57, vcc_lo, s11, v6, vcc_lo
	s_delay_alu instid0(VALU_DEP_4)
	v_add_co_u32 v59, vcc_lo, s8, v3
	v_add_co_ci_u32_e32 v60, vcc_lo, s9, v4, vcc_lo
	v_add_co_u32 v61, vcc_lo, s10, v3
	v_add_co_ci_u32_e32 v62, vcc_lo, s11, v4, vcc_lo
	s_addc_u32 s37, 0, 0
.LBB113_3:                              ; =>This Inner Loop Header: Depth=1
	s_delay_alu instid0(SALU_CYCLE_1) | instskip(SKIP_1) | instid1(VALU_DEP_1)
	v_cmp_ge_i64_e64 s3, s[36:37], s[4:5]
	v_add_co_u32 v64, s17, v28, s36
	v_add_co_ci_u32_e64 v65, null, 0, s37, s17
	s_delay_alu instid0(VALU_DEP_3)
	s_and_b32 vcc_lo, exec_lo, s3
	s_cbranch_vccz .LBB113_25
; %bb.4:                                ;   in Loop: Header=BB113_3 Depth=1
	s_load_b32 s3, s[30:31], 0xc
	v_dual_mov_b32 v67, 0 :: v_dual_mov_b32 v66, 0
	s_waitcnt lgkmcnt(0)
	s_and_b32 s3, s3, 0xffff
	s_delay_alu instid0(SALU_CYCLE_1) | instskip(SKIP_1) | instid1(VALU_DEP_1)
	v_mad_u32_u24 v1, v27, s3, v29
	s_mov_b32 s3, exec_lo
	v_and_b32_e32 v1, 31, v1
	s_delay_alu instid0(VALU_DEP_1)
	v_cmpx_gt_u32_e32 8, v1
	s_cbranch_execz .LBB113_8
; %bb.5:                                ;   in Loop: Header=BB113_3 Depth=1
	v_add_co_u32 v1, vcc_lo, v64, v1
	v_add_co_ci_u32_e32 v4, vcc_lo, 0, v65, vcc_lo
	v_dual_mov_b32 v66, 0 :: v_dual_mov_b32 v67, 0
	s_delay_alu instid0(VALU_DEP_3) | instskip(NEXT) | instid1(VALU_DEP_3)
	v_add_co_u32 v3, vcc_lo, 0xffffff81, v1
	v_add_co_ci_u32_e32 v4, vcc_lo, -1, v4, vcc_lo
	s_mov_b32 s17, exec_lo
	s_delay_alu instid0(VALU_DEP_1)
	v_cmpx_gt_i64_e64 s[4:5], v[3:4]
	s_cbranch_execz .LBB113_7
; %bb.6:                                ;   in Loop: Header=BB113_3 Depth=1
	v_lshlrev_b64 v[3:4], 2, v[3:4]
	s_delay_alu instid0(VALU_DEP_1) | instskip(NEXT) | instid1(VALU_DEP_2)
	v_add_co_u32 v5, vcc_lo, s24, v3
	v_add_co_ci_u32_e32 v6, vcc_lo, s25, v4, vcc_lo
	v_add_co_u32 v3, vcc_lo, s26, v3
	v_add_co_ci_u32_e32 v4, vcc_lo, s27, v4, vcc_lo
	global_load_b32 v66, v[5:6], off
	global_load_b32 v67, v[3:4], off
.LBB113_7:                              ;   in Loop: Header=BB113_3 Depth=1
	s_or_b32 exec_lo, exec_lo, s17
.LBB113_8:                              ;   in Loop: Header=BB113_3 Depth=1
	s_delay_alu instid0(SALU_CYCLE_1)
	s_or_b32 exec_lo, exec_lo, s3
	v_add_co_u32 v3, vcc_lo, 0xffffff81, v64
	v_add_co_ci_u32_e32 v4, vcc_lo, -1, v65, vcc_lo
	s_mov_b32 s22, s16
	s_mov_b32 s23, s16
	;; [unrolled: 1-line block ×7, first 2 shown]
	v_dual_mov_b32 v9, s16 :: v_dual_mov_b32 v10, s17
	v_dual_mov_b32 v15, s22 :: v_dual_mov_b32 v16, s23
	;; [unrolled: 1-line block ×4, first 2 shown]
	v_cmp_gt_i64_e32 vcc_lo, s[4:5], v[3:4]
	s_delay_alu instid0(VALU_DEP_4) | instskip(NEXT) | instid1(VALU_DEP_3)
	v_dual_mov_b32 v24, v16 :: v_dual_mov_b32 v23, v15
	v_dual_mov_b32 v21, v13 :: v_dual_mov_b32 v22, v14
	;; [unrolled: 1-line block ×4, first 2 shown]
	s_and_b32 s17, s2, vcc_lo
	s_delay_alu instid0(SALU_CYCLE_1)
	s_and_saveexec_b32 s3, s17
	s_cbranch_execz .LBB113_10
; %bb.9:                                ;   in Loop: Header=BB113_3 Depth=1
	v_add_co_u32 v3, vcc_lo, v59, v25
	v_add_co_ci_u32_e32 v4, vcc_lo, v60, v26, vcc_lo
	v_add_co_u32 v5, vcc_lo, v61, v25
	v_add_co_ci_u32_e32 v6, vcc_lo, v62, v26, vcc_lo
	v_mov_b32_e32 v8, v2
	global_load_u16 v1, v[3:4], off
	global_load_u16 v9, v[5:6], off
	v_mov_b32_e32 v3, v2
	v_mov_b32_e32 v4, v2
	;; [unrolled: 1-line block ×6, first 2 shown]
	s_waitcnt vmcnt(1)
	v_lshlrev_b32_e32 v1, 16, v1
	s_waitcnt vmcnt(0)
	v_lshlrev_b32_e32 v9, 16, v9
	v_dual_mov_b32 v11, v2 :: v_dual_mov_b32 v24, v8
	v_dual_mov_b32 v10, v2 :: v_dual_mov_b32 v23, v7
	;; [unrolled: 1-line block ×6, first 2 shown]
	v_mov_b32_e32 v22, v6
	v_mov_b32_e32 v18, v2
.LBB113_10:                             ;   in Loop: Header=BB113_3 Depth=1
	s_or_b32 exec_lo, exec_lo, s3
	v_add_co_u32 v3, vcc_lo, 0xffffff82, v64
	v_add_co_ci_u32_e32 v4, vcc_lo, -1, v65, vcc_lo
	s_delay_alu instid0(VALU_DEP_1) | instskip(SKIP_1) | instid1(SALU_CYCLE_1)
	v_cmp_gt_i64_e32 vcc_lo, s[4:5], v[3:4]
	s_and_b32 s17, s2, vcc_lo
	s_and_saveexec_b32 s3, s17
	s_cbranch_execz .LBB113_12
; %bb.11:                               ;   in Loop: Header=BB113_3 Depth=1
	v_add_co_u32 v3, vcc_lo, v54, v25
	v_add_co_ci_u32_e32 v4, vcc_lo, v55, v26, vcc_lo
	v_add_co_u32 v5, vcc_lo, v56, v25
	v_add_co_ci_u32_e32 v6, vcc_lo, v57, v26, vcc_lo
	global_load_u16 v1, v[3:4], off
	global_load_u16 v3, v[5:6], off
	s_waitcnt vmcnt(1)
	v_lshlrev_b32_e32 v18, 16, v1
	s_waitcnt vmcnt(0)
	v_lshlrev_b32_e32 v10, 16, v3
.LBB113_12:                             ;   in Loop: Header=BB113_3 Depth=1
	s_or_b32 exec_lo, exec_lo, s3
	v_add_co_u32 v3, vcc_lo, 0xffffff83, v64
	v_add_co_ci_u32_e32 v4, vcc_lo, -1, v65, vcc_lo
	s_delay_alu instid0(VALU_DEP_1) | instskip(SKIP_1) | instid1(SALU_CYCLE_1)
	v_cmp_gt_i64_e32 vcc_lo, s[4:5], v[3:4]
	s_and_b32 s17, s2, vcc_lo
	s_and_saveexec_b32 s3, s17
	s_cbranch_execz .LBB113_14
; %bb.13:                               ;   in Loop: Header=BB113_3 Depth=1
	v_add_co_u32 v3, vcc_lo, v50, v25
	v_add_co_ci_u32_e32 v4, vcc_lo, v51, v26, vcc_lo
	v_add_co_u32 v5, vcc_lo, v52, v25
	v_add_co_ci_u32_e32 v6, vcc_lo, v53, v26, vcc_lo
	global_load_u16 v1, v[3:4], off
	global_load_u16 v3, v[5:6], off
	s_waitcnt vmcnt(1)
	v_lshlrev_b32_e32 v19, 16, v1
	s_waitcnt vmcnt(0)
	v_lshlrev_b32_e32 v11, 16, v3
.LBB113_14:                             ;   in Loop: Header=BB113_3 Depth=1
	;; [unrolled: 20-line block ×7, first 2 shown]
	s_or_b32 exec_lo, exec_lo, s3
	s_waitcnt vmcnt(1)
	ds_bpermute_b32 v1, v2, v66
	ds_bpermute_b32 v3, v2, v66 offset:4
	ds_bpermute_b32 v4, v2, v66 offset:8
	;; [unrolled: 1-line block ×3, first 2 shown]
	s_waitcnt vmcnt(0)
	ds_bpermute_b32 v5, v2, v67
	ds_bpermute_b32 v7, v2, v67 offset:4
	ds_bpermute_b32 v8, v2, v66 offset:16
	;; [unrolled: 1-line block ×5, first 2 shown]
	s_waitcnt lgkmcnt(9)
	v_sub_f32_e32 v1, v9, v1
	s_waitcnt lgkmcnt(7)
	v_dual_add_f32 v9, v58, v17 :: v_dual_sub_f32 v4, v11, v4
	s_waitcnt lgkmcnt(6)
	v_dual_sub_f32 v6, v12, v6 :: v_dual_sub_f32 v3, v10, v3
	v_mul_f32_e32 v1, v17, v1
	ds_bpermute_b32 v10, v2, v67 offset:16
	ds_bpermute_b32 v17, v2, v66 offset:24
	v_mul_f32_e32 v6, v20, v6
	v_dual_mul_f32 v4, v19, v4 :: v_dual_mul_f32 v3, v18, v3
	s_waitcnt lgkmcnt(5)
	v_sub_f32_e32 v8, v13, v8
	v_fma_f32 v1, v1, v5, v63
	ds_bpermute_b32 v5, v2, v67 offset:20
	ds_bpermute_b32 v11, v2, v67 offset:24
	v_dual_mul_f32 v8, v21, v8 :: v_dual_fmac_f32 v1, v3, v7
	v_add_f32_e32 v7, v18, v9
	ds_bpermute_b32 v3, v2, v67 offset:28
	s_waitcnt lgkmcnt(7)
	v_fmac_f32_e32 v1, v4, v68
	v_add_f32_e32 v7, v19, v7
	ds_bpermute_b32 v4, v2, v66 offset:28
	s_waitcnt lgkmcnt(6)
	v_sub_f32_e32 v9, v14, v70
	v_dual_fmac_f32 v1, v6, v69 :: v_dual_add_f32 v6, v20, v7
	s_waitcnt lgkmcnt(4)
	v_sub_f32_e32 v7, v15, v17
	s_delay_alu instid0(VALU_DEP_3) | instskip(NEXT) | instid1(VALU_DEP_3)
	v_mul_f32_e32 v9, v22, v9
	v_fmac_f32_e32 v1, v8, v10
	s_delay_alu instid0(VALU_DEP_3) | instskip(SKIP_1) | instid1(VALU_DEP_2)
	v_dual_add_f32 v6, v21, v6 :: v_dual_mul_f32 v7, v23, v7
	s_waitcnt lgkmcnt(3)
	v_fmac_f32_e32 v1, v9, v5
	s_delay_alu instid0(VALU_DEP_2) | instskip(SKIP_1) | instid1(VALU_DEP_2)
	v_add_f32_e32 v5, v22, v6
	s_waitcnt lgkmcnt(2)
	v_fmac_f32_e32 v1, v7, v11
	s_delay_alu instid0(VALU_DEP_2)
	v_add_f32_e32 v5, v23, v5
	s_branch .LBB113_40
.LBB113_25:                             ;   in Loop: Header=BB113_3 Depth=1
                                        ; implicit-def: $vgpr3
                                        ; implicit-def: $vgpr9_vgpr10_vgpr11_vgpr12_vgpr13_vgpr14_vgpr15_vgpr16
                                        ; implicit-def: $vgpr17_vgpr18_vgpr19_vgpr20_vgpr21_vgpr22_vgpr23_vgpr24
                                        ; implicit-def: $vgpr4
                                        ; implicit-def: $vgpr1
                                        ; implicit-def: $vgpr5
	s_cbranch_execz .LBB113_40
; %bb.26:                               ;   in Loop: Header=BB113_3 Depth=1
	s_load_b32 s3, s[30:31], 0x0
	v_dual_mov_b32 v67, 0 :: v_dual_mov_b32 v66, 0
	s_waitcnt lgkmcnt(0)
	s_cmp_lt_u32 s14, s3
	s_cselect_b32 s3, 12, 18
	s_delay_alu instid0(SALU_CYCLE_1)
	s_add_u32 s18, s30, s3
	s_addc_u32 s19, s31, 0
	s_mov_b32 s3, exec_lo
	global_load_u16 v1, v2, s[18:19]
	s_waitcnt vmcnt(0)
	v_mad_u32_u24 v1, v27, v1, v29
	s_delay_alu instid0(VALU_DEP_1) | instskip(NEXT) | instid1(VALU_DEP_1)
	v_and_b32_e32 v1, 31, v1
	v_cmpx_gt_u32_e32 8, v1
	s_cbranch_execz .LBB113_30
; %bb.27:                               ;   in Loop: Header=BB113_3 Depth=1
	v_add_co_u32 v1, vcc_lo, v64, v1
	v_add_co_ci_u32_e32 v4, vcc_lo, 0, v65, vcc_lo
	v_dual_mov_b32 v66, 0 :: v_dual_mov_b32 v67, 0
	s_delay_alu instid0(VALU_DEP_3) | instskip(NEXT) | instid1(VALU_DEP_3)
	v_add_co_u32 v3, vcc_lo, 0xffffff81, v1
	v_add_co_ci_u32_e32 v4, vcc_lo, -1, v4, vcc_lo
	s_mov_b32 s17, exec_lo
	s_delay_alu instid0(VALU_DEP_1)
	v_cmpx_gt_i64_e64 s[4:5], v[3:4]
	s_cbranch_execz .LBB113_29
; %bb.28:                               ;   in Loop: Header=BB113_3 Depth=1
	v_lshlrev_b64 v[3:4], 2, v[3:4]
	s_delay_alu instid0(VALU_DEP_1) | instskip(NEXT) | instid1(VALU_DEP_2)
	v_add_co_u32 v5, vcc_lo, s24, v3
	v_add_co_ci_u32_e32 v6, vcc_lo, s25, v4, vcc_lo
	v_add_co_u32 v3, vcc_lo, s26, v3
	v_add_co_ci_u32_e32 v4, vcc_lo, s27, v4, vcc_lo
	global_load_b32 v66, v[5:6], off
	global_load_b32 v67, v[3:4], off
.LBB113_29:                             ;   in Loop: Header=BB113_3 Depth=1
	s_or_b32 exec_lo, exec_lo, s17
.LBB113_30:                             ;   in Loop: Header=BB113_3 Depth=1
	s_delay_alu instid0(SALU_CYCLE_1)
	s_or_b32 exec_lo, exec_lo, s3
	s_mov_b32 s22, s16
	s_mov_b32 s23, s16
	;; [unrolled: 1-line block ×7, first 2 shown]
	v_dual_mov_b32 v9, s16 :: v_dual_mov_b32 v10, s17
	v_dual_mov_b32 v15, s22 :: v_dual_mov_b32 v16, s23
	;; [unrolled: 1-line block ×4, first 2 shown]
	s_delay_alu instid0(VALU_DEP_3) | instskip(NEXT) | instid1(VALU_DEP_3)
	v_dual_mov_b32 v24, v16 :: v_dual_mov_b32 v23, v15
	v_dual_mov_b32 v20, v12 :: v_dual_mov_b32 v19, v11
	s_delay_alu instid0(VALU_DEP_3)
	v_dual_mov_b32 v22, v14 :: v_dual_mov_b32 v21, v13
	v_dual_mov_b32 v18, v10 :: v_dual_mov_b32 v17, v9
	s_and_saveexec_b32 s3, s2
	s_cbranch_execnz .LBB113_42
; %bb.31:                               ;   in Loop: Header=BB113_3 Depth=1
	s_or_b32 exec_lo, exec_lo, s3
	s_and_saveexec_b32 s3, s2
	s_cbranch_execnz .LBB113_43
.LBB113_32:                             ;   in Loop: Header=BB113_3 Depth=1
	s_or_b32 exec_lo, exec_lo, s3
	s_and_saveexec_b32 s3, s2
	s_cbranch_execnz .LBB113_44
.LBB113_33:                             ;   in Loop: Header=BB113_3 Depth=1
	s_or_b32 exec_lo, exec_lo, s3
	s_and_saveexec_b32 s3, s2
	s_cbranch_execnz .LBB113_45
.LBB113_34:                             ;   in Loop: Header=BB113_3 Depth=1
	s_or_b32 exec_lo, exec_lo, s3
	s_and_saveexec_b32 s3, s2
	s_cbranch_execnz .LBB113_46
.LBB113_35:                             ;   in Loop: Header=BB113_3 Depth=1
	s_or_b32 exec_lo, exec_lo, s3
	s_and_saveexec_b32 s3, s2
	s_cbranch_execnz .LBB113_47
.LBB113_36:                             ;   in Loop: Header=BB113_3 Depth=1
	s_or_b32 exec_lo, exec_lo, s3
	s_and_saveexec_b32 s3, s2
	s_cbranch_execnz .LBB113_48
.LBB113_37:                             ;   in Loop: Header=BB113_3 Depth=1
	s_or_b32 exec_lo, exec_lo, s3
	s_and_saveexec_b32 s3, s2
	s_cbranch_execz .LBB113_39
.LBB113_38:                             ;   in Loop: Header=BB113_3 Depth=1
	v_add_co_u32 v3, vcc_lo, v30, v25
	v_add_co_ci_u32_e32 v4, vcc_lo, v31, v26, vcc_lo
	v_add_co_u32 v5, vcc_lo, v32, v25
	v_add_co_ci_u32_e32 v6, vcc_lo, v33, v26, vcc_lo
	global_load_u16 v1, v[3:4], off
	global_load_u16 v3, v[5:6], off
	s_waitcnt vmcnt(1)
	v_lshlrev_b32_e32 v24, 16, v1
	s_waitcnt vmcnt(0)
	v_lshlrev_b32_e32 v16, 16, v3
.LBB113_39:                             ;   in Loop: Header=BB113_3 Depth=1
	s_or_b32 exec_lo, exec_lo, s3
	s_waitcnt vmcnt(1)
	ds_bpermute_b32 v1, v2, v66
	ds_bpermute_b32 v3, v2, v66 offset:4
	ds_bpermute_b32 v4, v2, v66 offset:8
	;; [unrolled: 1-line block ×3, first 2 shown]
	s_waitcnt vmcnt(0)
	ds_bpermute_b32 v5, v2, v67
	ds_bpermute_b32 v7, v2, v67 offset:4
	ds_bpermute_b32 v8, v2, v66 offset:16
	;; [unrolled: 1-line block ×4, first 2 shown]
	s_waitcnt lgkmcnt(8)
	v_sub_f32_e32 v1, v9, v1
	ds_bpermute_b32 v9, v2, v67 offset:12
	s_waitcnt lgkmcnt(7)
	v_dual_sub_f32 v4, v11, v4 :: v_dual_sub_f32 v3, v10, v3
	s_waitcnt lgkmcnt(6)
	v_dual_sub_f32 v6, v12, v6 :: v_dual_mul_f32 v1, v17, v1
	s_delay_alu instid0(VALU_DEP_2) | instskip(SKIP_1) | instid1(VALU_DEP_2)
	v_dual_mul_f32 v4, v19, v4 :: v_dual_mul_f32 v3, v18, v3
	s_waitcnt lgkmcnt(5)
	v_dual_mul_f32 v6, v20, v6 :: v_dual_fmac_f32 v63, v1, v5
	v_add_f32_e32 v10, v58, v17
	ds_bpermute_b32 v17, v2, v67 offset:16
	ds_bpermute_b32 v1, v2, v66 offset:24
	;; [unrolled: 1-line block ×3, first 2 shown]
	s_waitcnt lgkmcnt(7)
	v_fmac_f32_e32 v63, v3, v7
	v_add_f32_e32 v3, v18, v10
	s_waitcnt lgkmcnt(4)
	v_sub_f32_e32 v11, v14, v65
	s_delay_alu instid0(VALU_DEP_2)
	v_dual_fmac_f32 v63, v4, v64 :: v_dual_add_f32 v10, v19, v3
	v_sub_f32_e32 v7, v13, v8
	ds_bpermute_b32 v8, v2, v67 offset:24
	ds_bpermute_b32 v3, v2, v67 offset:28
	s_waitcnt lgkmcnt(5)
	v_dual_fmac_f32 v63, v6, v9 :: v_dual_add_f32 v6, v20, v10
	v_mul_f32_e32 v7, v21, v7
	v_mul_f32_e32 v9, v22, v11
	ds_bpermute_b32 v4, v2, v66 offset:28
	s_waitcnt lgkmcnt(5)
	v_dual_add_f32 v6, v21, v6 :: v_dual_fmac_f32 v63, v7, v17
	s_waitcnt lgkmcnt(4)
	v_sub_f32_e32 v1, v15, v1
	s_waitcnt lgkmcnt(3)
	s_delay_alu instid0(VALU_DEP_2) | instskip(NEXT) | instid1(VALU_DEP_2)
	v_fmac_f32_e32 v63, v9, v5
	v_mul_f32_e32 v1, v23, v1
	v_add_f32_e32 v5, v22, v6
	s_waitcnt lgkmcnt(2)
	s_delay_alu instid0(VALU_DEP_2) | instskip(NEXT) | instid1(VALU_DEP_2)
	v_fmac_f32_e32 v63, v1, v8
	v_add_f32_e32 v5, v23, v5
	s_delay_alu instid0(VALU_DEP_2)
	v_mov_b32_e32 v1, v63
.LBB113_40:                             ;   in Loop: Header=BB113_3 Depth=1
	v_add_co_u32 v30, vcc_lo, v30, s34
	v_add_co_ci_u32_e32 v31, vcc_lo, s35, v31, vcc_lo
	v_add_co_u32 v32, vcc_lo, v32, s34
	v_add_co_ci_u32_e32 v33, vcc_lo, s35, v33, vcc_lo
	;; [unrolled: 2-line block ×12, first 2 shown]
	v_add_co_u32 v54, vcc_lo, v54, s34
	s_waitcnt lgkmcnt(0)
	v_sub_f32_e32 v4, v16, v4
	v_add_co_ci_u32_e32 v55, vcc_lo, s35, v55, vcc_lo
	v_add_co_u32 v56, vcc_lo, v56, s34
	s_add_u32 s38, s38, s28
	v_add_co_ci_u32_e32 v57, vcc_lo, s35, v57, vcc_lo
	v_mul_f32_e32 v4, v24, v4
	s_addc_u32 s39, s39, 0
	v_add_co_u32 v59, vcc_lo, v59, s34
	v_cmp_lt_i64_e64 s3, s[38:39], s[4:5]
	v_add_co_ci_u32_e32 v60, vcc_lo, s35, v60, vcc_lo
	v_add_co_u32 v61, vcc_lo, v61, s34
	v_dual_add_f32 v58, v5, v24 :: v_dual_fmac_f32 v1, v4, v3
	v_add_co_ci_u32_e32 v62, vcc_lo, s35, v62, vcc_lo
	s_add_u32 s36, s36, s28
	s_addc_u32 s37, s37, 0
	s_and_b32 vcc_lo, exec_lo, s3
	s_cbranch_vccz .LBB113_50
; %bb.41:                               ;   in Loop: Header=BB113_3 Depth=1
	v_mov_b32_e32 v63, v1
	s_branch .LBB113_3
.LBB113_42:                             ;   in Loop: Header=BB113_3 Depth=1
	v_add_co_u32 v3, vcc_lo, v59, v25
	v_add_co_ci_u32_e32 v4, vcc_lo, v60, v26, vcc_lo
	v_add_co_u32 v5, vcc_lo, v61, v25
	v_add_co_ci_u32_e32 v6, vcc_lo, v62, v26, vcc_lo
	v_mov_b32_e32 v8, v2
	global_load_u16 v1, v[3:4], off
	global_load_u16 v9, v[5:6], off
	v_mov_b32_e32 v3, v2
	v_mov_b32_e32 v4, v2
	;; [unrolled: 1-line block ×6, first 2 shown]
	s_waitcnt vmcnt(1)
	v_lshlrev_b32_e32 v1, 16, v1
	s_waitcnt vmcnt(0)
	v_lshlrev_b32_e32 v9, 16, v9
	v_dual_mov_b32 v11, v2 :: v_dual_mov_b32 v24, v8
	v_dual_mov_b32 v10, v2 :: v_dual_mov_b32 v23, v7
	;; [unrolled: 1-line block ×6, first 2 shown]
	v_mov_b32_e32 v22, v6
	v_mov_b32_e32 v18, v2
	s_or_b32 exec_lo, exec_lo, s3
	s_and_saveexec_b32 s3, s2
	s_cbranch_execz .LBB113_32
.LBB113_43:                             ;   in Loop: Header=BB113_3 Depth=1
	v_add_co_u32 v3, vcc_lo, v54, v25
	v_add_co_ci_u32_e32 v4, vcc_lo, v55, v26, vcc_lo
	v_add_co_u32 v5, vcc_lo, v56, v25
	v_add_co_ci_u32_e32 v6, vcc_lo, v57, v26, vcc_lo
	global_load_u16 v1, v[3:4], off
	global_load_u16 v3, v[5:6], off
	s_waitcnt vmcnt(1)
	v_lshlrev_b32_e32 v18, 16, v1
	s_waitcnt vmcnt(0)
	v_lshlrev_b32_e32 v10, 16, v3
	s_or_b32 exec_lo, exec_lo, s3
	s_and_saveexec_b32 s3, s2
	s_cbranch_execz .LBB113_33
.LBB113_44:                             ;   in Loop: Header=BB113_3 Depth=1
	v_add_co_u32 v3, vcc_lo, v50, v25
	v_add_co_ci_u32_e32 v4, vcc_lo, v51, v26, vcc_lo
	v_add_co_u32 v5, vcc_lo, v52, v25
	v_add_co_ci_u32_e32 v6, vcc_lo, v53, v26, vcc_lo
	global_load_u16 v1, v[3:4], off
	global_load_u16 v3, v[5:6], off
	s_waitcnt vmcnt(1)
	v_lshlrev_b32_e32 v19, 16, v1
	s_waitcnt vmcnt(0)
	v_lshlrev_b32_e32 v11, 16, v3
	s_or_b32 exec_lo, exec_lo, s3
	s_and_saveexec_b32 s3, s2
	s_cbranch_execz .LBB113_34
.LBB113_45:                             ;   in Loop: Header=BB113_3 Depth=1
	v_add_co_u32 v3, vcc_lo, v46, v25
	v_add_co_ci_u32_e32 v4, vcc_lo, v47, v26, vcc_lo
	v_add_co_u32 v5, vcc_lo, v48, v25
	v_add_co_ci_u32_e32 v6, vcc_lo, v49, v26, vcc_lo
	global_load_u16 v1, v[3:4], off
	global_load_u16 v3, v[5:6], off
	s_waitcnt vmcnt(1)
	v_lshlrev_b32_e32 v20, 16, v1
	s_waitcnt vmcnt(0)
	v_lshlrev_b32_e32 v12, 16, v3
	s_or_b32 exec_lo, exec_lo, s3
	s_and_saveexec_b32 s3, s2
	s_cbranch_execz .LBB113_35
.LBB113_46:                             ;   in Loop: Header=BB113_3 Depth=1
	v_add_co_u32 v3, vcc_lo, v42, v25
	v_add_co_ci_u32_e32 v4, vcc_lo, v43, v26, vcc_lo
	v_add_co_u32 v5, vcc_lo, v44, v25
	v_add_co_ci_u32_e32 v6, vcc_lo, v45, v26, vcc_lo
	global_load_u16 v1, v[3:4], off
	global_load_u16 v3, v[5:6], off
	s_waitcnt vmcnt(1)
	v_lshlrev_b32_e32 v21, 16, v1
	s_waitcnt vmcnt(0)
	v_lshlrev_b32_e32 v13, 16, v3
	s_or_b32 exec_lo, exec_lo, s3
	s_and_saveexec_b32 s3, s2
	s_cbranch_execz .LBB113_36
.LBB113_47:                             ;   in Loop: Header=BB113_3 Depth=1
	v_add_co_u32 v3, vcc_lo, v38, v25
	v_add_co_ci_u32_e32 v4, vcc_lo, v39, v26, vcc_lo
	v_add_co_u32 v5, vcc_lo, v40, v25
	v_add_co_ci_u32_e32 v6, vcc_lo, v41, v26, vcc_lo
	global_load_u16 v1, v[3:4], off
	global_load_u16 v3, v[5:6], off
	s_waitcnt vmcnt(1)
	v_lshlrev_b32_e32 v22, 16, v1
	s_waitcnt vmcnt(0)
	v_lshlrev_b32_e32 v14, 16, v3
	s_or_b32 exec_lo, exec_lo, s3
	s_and_saveexec_b32 s3, s2
	s_cbranch_execz .LBB113_37
.LBB113_48:                             ;   in Loop: Header=BB113_3 Depth=1
	v_add_co_u32 v3, vcc_lo, v34, v25
	v_add_co_ci_u32_e32 v4, vcc_lo, v35, v26, vcc_lo
	v_add_co_u32 v5, vcc_lo, v36, v25
	v_add_co_ci_u32_e32 v6, vcc_lo, v37, v26, vcc_lo
	global_load_u16 v1, v[3:4], off
	global_load_u16 v3, v[5:6], off
	s_waitcnt vmcnt(1)
	v_lshlrev_b32_e32 v23, 16, v1
	s_waitcnt vmcnt(0)
	v_lshlrev_b32_e32 v15, 16, v3
	s_or_b32 exec_lo, exec_lo, s3
	s_and_saveexec_b32 s3, s2
	s_cbranch_execnz .LBB113_38
	s_branch .LBB113_39
.LBB113_49:
	s_mov_b32 s29, -1
                                        ; implicit-def: $vgpr1
                                        ; implicit-def: $vgpr58
.LBB113_50:
	s_delay_alu instid0(SALU_CYCLE_1)
	s_and_not1_b32 vcc_lo, exec_lo, s29
	s_cbranch_vccnz .LBB113_83
; %bb.51:
	v_dual_mov_b32 v1, 0 :: v_dual_mov_b32 v58, 0
	s_and_not1_b32 vcc_lo, exec_lo, s15
	s_mov_b32 s16, 0
	s_cbranch_vccnz .LBB113_83
; %bb.52:
	s_load_b32 s2, s[0:1], 0x44
	v_dual_mov_b32 v2, 0 :: v_dual_and_b32 v55, 0x3ff, v0
	v_bfe_u32 v56, v0, 10, 10
	s_add_u32 s28, s0, 64
	s_addc_u32 s29, s1, 0
	s_delay_alu instid0(VALU_DEP_2) | instskip(NEXT) | instid1(VALU_DEP_2)
	v_dual_mov_b32 v92, 0 :: v_dual_add_nc_u32 v1, s33, v55
	v_lshlrev_b32_e32 v3, 4, v56
	v_lshlrev_b32_e32 v57, 3, v56
	v_mov_b32_e32 v91, 0
	s_delay_alu instid0(VALU_DEP_4)
	v_lshlrev_b64 v[25:26], 1, v[1:2]
	s_waitcnt lgkmcnt(0)
	s_lshl_b32 s15, s2, 7
	s_add_u32 s30, s12, 0x7f
	s_addc_u32 s31, 0, 0
	s_lshl_b64 s[2:3], s[12:13], 1
	s_mul_i32 s17, s7, s15
	v_add_co_u32 v1, s2, v3, s2
	s_delay_alu instid0(VALU_DEP_1) | instskip(SKIP_1) | instid1(VALU_DEP_3)
	v_add_co_ci_u32_e64 v3, null, 0, s3, s2
	v_add_co_u32 v58, s3, v57, s12
	v_add_co_u32 v7, vcc_lo, v1, 2
	s_delay_alu instid0(VALU_DEP_3) | instskip(SKIP_3) | instid1(VALU_DEP_4)
	v_add_co_ci_u32_e32 v4, vcc_lo, 0, v3, vcc_lo
	v_add_co_u32 v8, vcc_lo, v1, 4
	v_add_co_ci_u32_e32 v5, vcc_lo, 0, v3, vcc_lo
	v_add_co_u32 v11, vcc_lo, v1, 6
	v_mul_lo_u32 v9, s6, v4
	v_add_co_ci_u32_e32 v4, vcc_lo, 0, v3, vcc_lo
	v_add_co_u32 v14, vcc_lo, v1, 8
	v_mul_lo_u32 v12, s6, v5
	v_add_co_ci_u32_e32 v5, vcc_lo, 0, v3, vcc_lo
	v_add_co_u32 v18, vcc_lo, v1, 10
	v_mul_lo_u32 v15, s6, v4
	v_add_co_ci_u32_e32 v4, vcc_lo, 0, v3, vcc_lo
	v_add_co_u32 v20, vcc_lo, v1, 12
	v_mul_lo_u32 v17, s6, v5
	v_add_co_ci_u32_e32 v5, vcc_lo, 0, v3, vcc_lo
	v_add_co_ci_u32_e64 v75, null, 0, 0, s3
	v_add_co_u32 v1, vcc_lo, v1, 14
	v_mul_lo_u32 v21, s6, v4
	s_delay_alu instid0(VALU_DEP_4) | instskip(SKIP_4) | instid1(VALU_DEP_4)
	v_mul_lo_u32 v23, s6, v5
	v_add_co_ci_u32_e32 v5, vcc_lo, 0, v3, vcc_lo
	v_mul_lo_u32 v6, s7, v58
	v_mul_lo_u32 v41, s6, v75
	v_mad_u64_u32 v[3:4], null, s6, v58, 0
	v_mul_lo_u32 v61, s6, v5
	v_mad_u64_u32 v[27:28], null, s6, v7, s[8:9]
	;; [unrolled: 2-line block ×3, first 2 shown]
	v_add3_u32 v4, v4, v41, v6
	v_mad_u64_u32 v[41:42], null, s6, v7, s[10:11]
	v_mul_lo_u32 v13, s7, v8
	v_mad_u64_u32 v[43:44], null, s6, v8, s[10:11]
	s_delay_alu instid0(VALU_DEP_4)
	v_lshlrev_b64 v[5:6], 1, v[3:4]
	v_add3_u32 v28, v10, v28, v9
	v_mad_u64_u32 v[31:32], null, s6, v11, s[8:9]
	v_add3_u32 v42, v10, v42, v9
	v_add3_u32 v30, v13, v30, v12
	v_add_co_u32 v59, vcc_lo, s8, v5
	v_add_co_ci_u32_e32 v60, vcc_lo, s9, v6, vcc_lo
	v_add_co_u32 v9, vcc_lo, v58, 7
	v_add_co_ci_u32_e32 v7, vcc_lo, 0, v75, vcc_lo
	v_add3_u32 v44, v13, v44, v12
	v_add_co_u32 v12, vcc_lo, v58, 6
	v_mul_lo_u32 v16, s7, v11
	v_mad_u64_u32 v[39:40], null, s6, v1, s[8:9]
	v_mul_lo_u32 v62, s7, v1
	v_mad_u64_u32 v[45:46], null, s6, v11, s[10:11]
	v_mad_u64_u32 v[53:54], null, s6, v1, s[10:11]
	v_mul_lo_u32 v1, s7, v9
	v_mul_lo_u32 v11, s6, v7
	v_mad_u64_u32 v[7:8], null, s6, v9, 0
	v_add_co_ci_u32_e32 v10, vcc_lo, 0, v75, vcc_lo
	v_mad_u64_u32 v[33:34], null, s6, v14, s[8:9]
	v_mul_lo_u32 v19, s7, v14
	v_mad_u64_u32 v[47:48], null, s6, v14, s[10:11]
	v_mul_lo_u32 v13, s7, v12
	v_mul_lo_u32 v14, s6, v10
	v_mad_u64_u32 v[9:10], null, s6, v12, 0
	v_add3_u32 v8, v8, v11, v1
	v_add3_u32 v40, v62, v40, v61
	;; [unrolled: 1-line block ×3, first 2 shown]
	v_add_co_u32 v61, vcc_lo, s10, v5
	v_add_co_ci_u32_e32 v62, vcc_lo, s11, v6, vcc_lo
	v_lshlrev_b64 v[5:6], 1, v[7:8]
	v_add3_u32 v10, v10, v14, v13
	v_add_co_u32 v1, vcc_lo, v58, 5
	v_add_co_ci_u32_e32 v11, vcc_lo, 0, v75, vcc_lo
	s_delay_alu instid0(VALU_DEP_4) | instskip(NEXT) | instid1(VALU_DEP_4)
	v_add_co_u32 v63, vcc_lo, s8, v5
	v_lshlrev_b64 v[7:8], 1, v[9:10]
	v_add_co_ci_u32_e32 v64, vcc_lo, s9, v6, vcc_lo
	v_mul_lo_u32 v12, s7, v1
	v_mul_lo_u32 v11, s6, v11
	v_mad_u64_u32 v[9:10], null, s6, v1, 0
	v_add_co_u32 v65, vcc_lo, s10, v5
	v_add_co_ci_u32_e32 v66, vcc_lo, s11, v6, vcc_lo
	v_add_co_u32 v67, vcc_lo, s8, v7
	v_add_co_ci_u32_e32 v68, vcc_lo, s9, v8, vcc_lo
	s_mul_hi_u32 s2, s6, s15
	v_add_co_u32 v1, vcc_lo, v58, 4
	v_add3_u32 v10, v10, v11, v12
	s_add_i32 s3, s2, s17
	v_add_co_u32 v69, s2, s10, v7
	v_add_co_ci_u32_e32 v7, vcc_lo, 0, v75, vcc_lo
	v_add_co_u32 v12, vcc_lo, v58, 3
	v_lshlrev_b64 v[5:6], 1, v[9:10]
	v_add_co_ci_u32_e32 v9, vcc_lo, 0, v75, vcc_lo
	v_add_co_ci_u32_e64 v70, s2, s11, v8, s2
	v_mul_lo_u32 v11, s7, v1
	v_mul_lo_u32 v13, s6, v7
	v_mad_u64_u32 v[7:8], null, s6, v1, 0
	v_mul_lo_u32 v1, s7, v12
	v_mul_lo_u32 v14, s6, v9
	v_mad_u64_u32 v[9:10], null, s6, v12, 0
	v_add_co_u32 v71, vcc_lo, s8, v5
	v_add_co_ci_u32_e32 v72, vcc_lo, s9, v6, vcc_lo
	v_add3_u32 v8, v8, v13, v11
	v_add_co_u32 v73, vcc_lo, s10, v5
	v_add_co_ci_u32_e32 v74, vcc_lo, s11, v6, vcc_lo
	v_add3_u32 v10, v10, v14, v1
	v_add_co_u32 v1, vcc_lo, v58, 2
	v_lshlrev_b64 v[5:6], 1, v[7:8]
	v_add_co_ci_u32_e32 v11, vcc_lo, 0, v75, vcc_lo
	s_delay_alu instid0(VALU_DEP_4) | instskip(NEXT) | instid1(VALU_DEP_4)
	v_lshlrev_b64 v[7:8], 1, v[9:10]
	v_mul_lo_u32 v12, s7, v1
	v_mad_u64_u32 v[9:10], null, s6, v1, 0
	v_add_co_u32 v75, vcc_lo, s8, v5
	v_mul_lo_u32 v11, s6, v11
	v_add_co_ci_u32_e32 v76, vcc_lo, s9, v6, vcc_lo
	v_add_co_u32 v77, vcc_lo, s10, v5
	v_add_co_ci_u32_e32 v78, vcc_lo, s11, v6, vcc_lo
	v_add_co_u32 v79, vcc_lo, s8, v7
	v_add_co_ci_u32_e32 v80, vcc_lo, s9, v8, vcc_lo
	v_add3_u32 v10, v10, v11, v12
	v_add_co_u32 v81, vcc_lo, s10, v7
	v_add_co_ci_u32_e32 v82, vcc_lo, s11, v8, vcc_lo
	v_add_co_u32 v3, vcc_lo, v3, s6
	s_delay_alu instid0(VALU_DEP_4) | instskip(SKIP_3) | instid1(VALU_DEP_4)
	v_lshlrev_b64 v[5:6], 1, v[9:10]
	v_add_co_ci_u32_e32 v4, vcc_lo, s7, v4, vcc_lo
	v_mad_u64_u32 v[35:36], null, s6, v18, s[8:9]
	v_mul_lo_u32 v22, s7, v18
	v_add_co_u32 v83, vcc_lo, s8, v5
	s_delay_alu instid0(VALU_DEP_4)
	v_lshlrev_b64 v[3:4], 1, v[3:4]
	v_add_co_ci_u32_e32 v84, vcc_lo, s9, v6, vcc_lo
	v_mad_u64_u32 v[37:38], null, s6, v20, s[8:9]
	v_mul_lo_u32 v24, s7, v20
	v_mad_u64_u32 v[49:50], null, s6, v18, s[10:11]
	v_mad_u64_u32 v[51:52], null, s6, v20, s[10:11]
	v_add_co_u32 v85, vcc_lo, s10, v5
	v_add_co_ci_u32_e32 v86, vcc_lo, s11, v6, vcc_lo
	v_add_co_u32 v87, vcc_lo, s8, v3
	v_add_co_ci_u32_e32 v88, vcc_lo, s9, v4, vcc_lo
	v_add_co_u32 v89, vcc_lo, s10, v3
	v_add3_u32 v32, v16, v32, v15
	v_add3_u32 v34, v19, v34, v17
	;; [unrolled: 1-line block ×8, first 2 shown]
	v_add_co_ci_u32_e32 v90, vcc_lo, s11, v4, vcc_lo
	s_mul_i32 s2, s6, s15
	s_delay_alu instid0(SALU_CYCLE_1)
	s_lshl_b64 s[2:3], s[2:3], 1
.LBB113_53:                             ; =>This Inner Loop Header: Depth=1
	v_cmp_ge_i64_e64 s8, s[30:31], s[4:5]
	v_add_co_u32 v93, s9, v57, s30
	s_delay_alu instid0(VALU_DEP_1) | instskip(NEXT) | instid1(VALU_DEP_3)
	v_add_co_ci_u32_e64 v94, null, 0, s31, s9
	s_and_b32 vcc_lo, exec_lo, s8
	s_cbranch_vccz .LBB113_75
; %bb.54:                               ;   in Loop: Header=BB113_53 Depth=1
	s_load_b32 s8, s[28:29], 0xc
	v_dual_mov_b32 v95, 0 :: v_dual_mov_b32 v58, 0
	s_waitcnt lgkmcnt(0)
	s_and_b32 s8, s8, 0xffff
	s_delay_alu instid0(SALU_CYCLE_1) | instskip(SKIP_1) | instid1(VALU_DEP_1)
	v_mad_u32_u24 v1, v56, s8, v55
	s_mov_b32 s8, exec_lo
	v_and_b32_e32 v1, 31, v1
	s_delay_alu instid0(VALU_DEP_1)
	v_cmpx_gt_u32_e32 8, v1
	s_cbranch_execz .LBB113_58
; %bb.55:                               ;   in Loop: Header=BB113_53 Depth=1
	v_add_co_u32 v1, vcc_lo, v93, v1
	v_add_co_ci_u32_e32 v4, vcc_lo, 0, v94, vcc_lo
	v_dual_mov_b32 v58, 0 :: v_dual_mov_b32 v95, 0
	s_delay_alu instid0(VALU_DEP_3) | instskip(NEXT) | instid1(VALU_DEP_3)
	v_add_co_u32 v3, vcc_lo, 0xffffff81, v1
	v_add_co_ci_u32_e32 v4, vcc_lo, -1, v4, vcc_lo
	s_mov_b32 s9, exec_lo
	s_delay_alu instid0(VALU_DEP_1)
	v_cmpx_gt_i64_e64 s[4:5], v[3:4]
	s_cbranch_execz .LBB113_57
; %bb.56:                               ;   in Loop: Header=BB113_53 Depth=1
	v_lshlrev_b64 v[3:4], 2, v[3:4]
	s_delay_alu instid0(VALU_DEP_1) | instskip(NEXT) | instid1(VALU_DEP_2)
	v_add_co_u32 v5, vcc_lo, s24, v3
	v_add_co_ci_u32_e32 v6, vcc_lo, s25, v4, vcc_lo
	v_add_co_u32 v3, vcc_lo, s26, v3
	v_add_co_ci_u32_e32 v4, vcc_lo, s27, v4, vcc_lo
	global_load_b32 v58, v[5:6], off
	global_load_b32 v95, v[3:4], off
.LBB113_57:                             ;   in Loop: Header=BB113_53 Depth=1
	s_or_b32 exec_lo, exec_lo, s9
.LBB113_58:                             ;   in Loop: Header=BB113_53 Depth=1
	s_delay_alu instid0(SALU_CYCLE_1)
	s_or_b32 exec_lo, exec_lo, s8
	s_mov_b32 s22, s16
	s_mov_b32 s23, s16
	;; [unrolled: 1-line block ×7, first 2 shown]
	v_dual_mov_b32 v9, s16 :: v_dual_mov_b32 v10, s17
	v_dual_mov_b32 v15, s22 :: v_dual_mov_b32 v16, s23
	;; [unrolled: 1-line block ×4, first 2 shown]
	v_add_co_u32 v3, vcc_lo, 0xffffff81, v93
	s_delay_alu instid0(VALU_DEP_4) | instskip(SKIP_1) | instid1(VALU_DEP_4)
	v_dual_mov_b32 v24, v16 :: v_dual_mov_b32 v23, v15
	v_add_co_ci_u32_e32 v4, vcc_lo, -1, v94, vcc_lo
	v_dual_mov_b32 v22, v14 :: v_dual_mov_b32 v21, v13
	v_dual_mov_b32 v20, v12 :: v_dual_mov_b32 v19, v11
	;; [unrolled: 1-line block ×3, first 2 shown]
	s_mov_b32 s8, exec_lo
	v_cmpx_gt_i64_e64 s[4:5], v[3:4]
	s_cbranch_execz .LBB113_60
; %bb.59:                               ;   in Loop: Header=BB113_53 Depth=1
	v_add_co_u32 v3, vcc_lo, v59, v25
	v_add_co_ci_u32_e32 v4, vcc_lo, v60, v26, vcc_lo
	v_add_co_u32 v5, vcc_lo, v61, v25
	v_add_co_ci_u32_e32 v6, vcc_lo, v62, v26, vcc_lo
	v_mov_b32_e32 v8, v2
	global_load_u16 v1, v[3:4], off
	global_load_u16 v9, v[5:6], off
	v_mov_b32_e32 v3, v2
	v_mov_b32_e32 v4, v2
	;; [unrolled: 1-line block ×6, first 2 shown]
	s_waitcnt vmcnt(1)
	v_lshlrev_b32_e32 v1, 16, v1
	s_waitcnt vmcnt(0)
	v_lshlrev_b32_e32 v9, 16, v9
	v_dual_mov_b32 v11, v2 :: v_dual_mov_b32 v24, v8
	v_dual_mov_b32 v10, v2 :: v_dual_mov_b32 v23, v7
	;; [unrolled: 1-line block ×6, first 2 shown]
	v_mov_b32_e32 v22, v6
	v_mov_b32_e32 v18, v2
.LBB113_60:                             ;   in Loop: Header=BB113_53 Depth=1
	s_or_b32 exec_lo, exec_lo, s8
	v_add_co_u32 v3, vcc_lo, 0xffffff82, v93
	v_add_co_ci_u32_e32 v4, vcc_lo, -1, v94, vcc_lo
	s_mov_b32 s8, exec_lo
	s_delay_alu instid0(VALU_DEP_1)
	v_cmpx_gt_i64_e64 s[4:5], v[3:4]
	s_cbranch_execz .LBB113_62
; %bb.61:                               ;   in Loop: Header=BB113_53 Depth=1
	v_add_co_u32 v3, vcc_lo, v87, v25
	v_add_co_ci_u32_e32 v4, vcc_lo, v88, v26, vcc_lo
	v_add_co_u32 v5, vcc_lo, v89, v25
	v_add_co_ci_u32_e32 v6, vcc_lo, v90, v26, vcc_lo
	global_load_u16 v1, v[3:4], off
	global_load_u16 v3, v[5:6], off
	s_waitcnt vmcnt(1)
	v_lshlrev_b32_e32 v18, 16, v1
	s_waitcnt vmcnt(0)
	v_lshlrev_b32_e32 v10, 16, v3
.LBB113_62:                             ;   in Loop: Header=BB113_53 Depth=1
	s_or_b32 exec_lo, exec_lo, s8
	v_add_co_u32 v3, vcc_lo, 0xffffff83, v93
	v_add_co_ci_u32_e32 v4, vcc_lo, -1, v94, vcc_lo
	s_mov_b32 s8, exec_lo
	s_delay_alu instid0(VALU_DEP_1)
	v_cmpx_gt_i64_e64 s[4:5], v[3:4]
	s_cbranch_execz .LBB113_64
; %bb.63:                               ;   in Loop: Header=BB113_53 Depth=1
	v_add_co_u32 v3, vcc_lo, v83, v25
	v_add_co_ci_u32_e32 v4, vcc_lo, v84, v26, vcc_lo
	v_add_co_u32 v5, vcc_lo, v85, v25
	v_add_co_ci_u32_e32 v6, vcc_lo, v86, v26, vcc_lo
	global_load_u16 v1, v[3:4], off
	global_load_u16 v3, v[5:6], off
	s_waitcnt vmcnt(1)
	v_lshlrev_b32_e32 v19, 16, v1
	s_waitcnt vmcnt(0)
	v_lshlrev_b32_e32 v11, 16, v3
.LBB113_64:                             ;   in Loop: Header=BB113_53 Depth=1
	;; [unrolled: 19-line block ×7, first 2 shown]
	s_or_b32 exec_lo, exec_lo, s8
	s_waitcnt vmcnt(1)
	ds_bpermute_b32 v3, v2, v58
	s_waitcnt vmcnt(0)
	ds_bpermute_b32 v1, v2, v95
	ds_bpermute_b32 v5, v2, v58 offset:4
	ds_bpermute_b32 v4, v2, v95 offset:4
	s_waitcnt lgkmcnt(3)
	v_sub_f32_e32 v3, v9, v3
	s_delay_alu instid0(VALU_DEP_1) | instskip(SKIP_1) | instid1(VALU_DEP_1)
	v_mul_f32_e32 v3, v17, v3
	s_waitcnt lgkmcnt(2)
	v_fma_f32 v1, v3, v1, v91
	v_add_f32_e32 v3, v92, v17
	s_delay_alu instid0(VALU_DEP_1) | instskip(NEXT) | instid1(VALU_DEP_1)
	v_add_f32_e32 v3, v18, v3
	v_add_f32_e32 v3, v19, v3
	s_delay_alu instid0(VALU_DEP_1) | instskip(NEXT) | instid1(VALU_DEP_1)
	v_add_f32_e32 v3, v20, v3
	;; [unrolled: 3-line block ×3, first 2 shown]
	v_add_f32_e32 v3, v23, v3
	s_waitcnt lgkmcnt(1)
	v_sub_f32_e32 v5, v10, v5
	s_delay_alu instid0(VALU_DEP_1) | instskip(SKIP_1) | instid1(VALU_DEP_1)
	v_mul_f32_e32 v5, v18, v5
	s_waitcnt lgkmcnt(0)
	v_fmac_f32_e32 v1, v5, v4
	ds_bpermute_b32 v5, v2, v58 offset:8
	ds_bpermute_b32 v4, v2, v95 offset:8
	s_waitcnt lgkmcnt(1)
	v_sub_f32_e32 v5, v11, v5
	s_delay_alu instid0(VALU_DEP_1) | instskip(SKIP_1) | instid1(VALU_DEP_1)
	v_mul_f32_e32 v5, v19, v5
	s_waitcnt lgkmcnt(0)
	v_fmac_f32_e32 v1, v5, v4
	ds_bpermute_b32 v5, v2, v58 offset:12
	ds_bpermute_b32 v4, v2, v95 offset:12
	s_waitcnt lgkmcnt(1)
	v_sub_f32_e32 v5, v12, v5
	s_delay_alu instid0(VALU_DEP_1) | instskip(SKIP_1) | instid1(VALU_DEP_1)
	v_mul_f32_e32 v5, v20, v5
	s_waitcnt lgkmcnt(0)
	v_fmac_f32_e32 v1, v5, v4
	ds_bpermute_b32 v5, v2, v58 offset:16
	ds_bpermute_b32 v4, v2, v95 offset:16
	s_waitcnt lgkmcnt(1)
	v_sub_f32_e32 v5, v13, v5
	s_delay_alu instid0(VALU_DEP_1) | instskip(SKIP_1) | instid1(VALU_DEP_1)
	v_mul_f32_e32 v5, v21, v5
	s_waitcnt lgkmcnt(0)
	v_fmac_f32_e32 v1, v5, v4
	ds_bpermute_b32 v5, v2, v58 offset:20
	ds_bpermute_b32 v4, v2, v95 offset:20
	s_waitcnt lgkmcnt(1)
	v_sub_f32_e32 v5, v14, v5
	s_delay_alu instid0(VALU_DEP_1) | instskip(SKIP_1) | instid1(VALU_DEP_1)
	v_mul_f32_e32 v5, v22, v5
	s_waitcnt lgkmcnt(0)
	v_fmac_f32_e32 v1, v5, v4
	ds_bpermute_b32 v5, v2, v58 offset:24
	ds_bpermute_b32 v4, v2, v95 offset:24
	s_waitcnt lgkmcnt(1)
	v_sub_f32_e32 v5, v15, v5
	s_delay_alu instid0(VALU_DEP_1) | instskip(SKIP_1) | instid1(VALU_DEP_1)
	v_mul_f32_e32 v5, v23, v5
	s_waitcnt lgkmcnt(0)
	v_fmac_f32_e32 v1, v5, v4
	ds_bpermute_b32 v5, v2, v58 offset:28
	v_add_f32_e32 v58, v24, v3
	ds_bpermute_b32 v4, v2, v95 offset:28
	s_waitcnt lgkmcnt(1)
	v_sub_f32_e32 v5, v16, v5
	s_delay_alu instid0(VALU_DEP_1) | instskip(SKIP_1) | instid1(VALU_DEP_1)
	v_mul_f32_e32 v5, v24, v5
	s_waitcnt lgkmcnt(0)
	v_fmac_f32_e32 v1, v5, v4
	s_branch .LBB113_81
.LBB113_75:                             ;   in Loop: Header=BB113_53 Depth=1
                                        ; implicit-def: $vgpr58
                                        ; implicit-def: $vgpr1
	s_cbranch_execz .LBB113_81
; %bb.76:                               ;   in Loop: Header=BB113_53 Depth=1
	s_load_b32 s8, s[28:29], 0x0
	v_mov_b32_e32 v5, 0
	s_waitcnt lgkmcnt(0)
	s_cmp_lt_u32 s14, s8
	s_cselect_b32 s8, 12, 18
	s_delay_alu instid0(SALU_CYCLE_1)
	s_add_u32 s8, s28, s8
	s_addc_u32 s9, s29, 0
	global_load_u16 v1, v2, s[8:9]
	s_mov_b32 s8, exec_lo
	s_waitcnt vmcnt(0)
	v_mad_u32_u24 v1, v56, v1, v55
	s_delay_alu instid0(VALU_DEP_1) | instskip(SKIP_1) | instid1(VALU_DEP_2)
	v_and_b32_e32 v3, 31, v1
	v_mov_b32_e32 v1, 0
	v_cmpx_gt_u32_e32 8, v3
	s_cbranch_execz .LBB113_80
; %bb.77:                               ;   in Loop: Header=BB113_53 Depth=1
	v_add_co_u32 v1, vcc_lo, v93, v3
	v_add_co_ci_u32_e32 v4, vcc_lo, 0, v94, vcc_lo
	v_mov_b32_e32 v5, 0
	s_delay_alu instid0(VALU_DEP_3) | instskip(NEXT) | instid1(VALU_DEP_3)
	v_add_co_u32 v3, vcc_lo, 0xffffff81, v1
	v_add_co_ci_u32_e32 v4, vcc_lo, -1, v4, vcc_lo
	v_mov_b32_e32 v1, 0
	s_mov_b32 s9, exec_lo
	s_delay_alu instid0(VALU_DEP_2)
	v_cmpx_gt_i64_e64 s[4:5], v[3:4]
	s_cbranch_execz .LBB113_79
; %bb.78:                               ;   in Loop: Header=BB113_53 Depth=1
	v_lshlrev_b64 v[3:4], 2, v[3:4]
	s_delay_alu instid0(VALU_DEP_1) | instskip(NEXT) | instid1(VALU_DEP_2)
	v_add_co_u32 v5, vcc_lo, s24, v3
	v_add_co_ci_u32_e32 v6, vcc_lo, s25, v4, vcc_lo
	v_add_co_u32 v3, vcc_lo, s26, v3
	v_add_co_ci_u32_e32 v4, vcc_lo, s27, v4, vcc_lo
	global_load_b32 v1, v[5:6], off
	global_load_b32 v5, v[3:4], off
.LBB113_79:                             ;   in Loop: Header=BB113_53 Depth=1
	s_or_b32 exec_lo, exec_lo, s9
.LBB113_80:                             ;   in Loop: Header=BB113_53 Depth=1
	s_delay_alu instid0(SALU_CYCLE_1)
	s_or_b32 exec_lo, exec_lo, s8
	v_add_co_u32 v3, vcc_lo, v59, v25
	v_add_co_ci_u32_e32 v4, vcc_lo, v60, v26, vcc_lo
	s_waitcnt vmcnt(1)
	ds_bpermute_b32 v21, v2, v1
	global_load_u16 v3, v[3:4], off
	s_waitcnt vmcnt(0)
	v_lshlrev_b32_e32 v6, 16, v3
	v_add_co_u32 v3, vcc_lo, v61, v25
	v_add_co_ci_u32_e32 v4, vcc_lo, v62, v26, vcc_lo
	global_load_u16 v3, v[3:4], off
	s_waitcnt vmcnt(0)
	v_lshlrev_b32_e32 v7, 16, v3
	v_add_co_u32 v3, vcc_lo, v27, v25
	v_add_co_ci_u32_e32 v4, vcc_lo, v28, v26, vcc_lo
	s_waitcnt lgkmcnt(0)
	s_delay_alu instid0(VALU_DEP_3)
	v_sub_f32_e32 v7, v7, v21
	global_load_u16 v3, v[3:4], off
	s_waitcnt vmcnt(0)
	v_dual_mul_f32 v7, v7, v6 :: v_dual_lshlrev_b32 v8, 16, v3
	v_add_co_u32 v3, vcc_lo, v41, v25
	v_add_co_ci_u32_e32 v4, vcc_lo, v42, v26, vcc_lo
	global_load_u16 v3, v[3:4], off
	s_waitcnt vmcnt(0)
	v_lshlrev_b32_e32 v9, 16, v3
	v_add_co_u32 v3, vcc_lo, v29, v25
	v_add_co_ci_u32_e32 v4, vcc_lo, v30, v26, vcc_lo
	global_load_u16 v3, v[3:4], off
	s_waitcnt vmcnt(0)
	v_lshlrev_b32_e32 v10, 16, v3
	;; [unrolled: 5-line block ×12, first 2 shown]
	v_add_co_u32 v3, vcc_lo, v53, v25
	v_add_co_ci_u32_e32 v4, vcc_lo, v54, v26, vcc_lo
	global_load_u16 v3, v[3:4], off
	ds_bpermute_b32 v4, v2, v5
	s_waitcnt lgkmcnt(0)
	v_fmac_f32_e32 v91, v7, v4
	ds_bpermute_b32 v7, v2, v1 offset:4
	v_add_f32_e32 v4, v92, v6
	ds_bpermute_b32 v6, v2, v5 offset:4
	v_add_f32_e32 v4, v4, v8
	s_waitcnt lgkmcnt(1)
	s_delay_alu instid0(VALU_DEP_1) | instskip(NEXT) | instid1(VALU_DEP_1)
	v_dual_add_f32 v4, v4, v10 :: v_dual_sub_f32 v7, v9, v7
	v_mul_f32_e32 v7, v7, v8
	s_waitcnt lgkmcnt(0)
	s_delay_alu instid0(VALU_DEP_1) | instskip(SKIP_4) | instid1(VALU_DEP_1)
	v_dual_add_f32 v4, v4, v12 :: v_dual_fmac_f32 v91, v7, v6
	ds_bpermute_b32 v7, v2, v1 offset:8
	ds_bpermute_b32 v6, v2, v5 offset:8
	s_waitcnt lgkmcnt(1)
	v_dual_add_f32 v4, v4, v14 :: v_dual_sub_f32 v7, v11, v7
	v_dual_mul_f32 v7, v7, v10 :: v_dual_add_f32 v4, v4, v16
	s_waitcnt lgkmcnt(0)
	s_delay_alu instid0(VALU_DEP_1) | instskip(SKIP_4) | instid1(VALU_DEP_1)
	v_fmac_f32_e32 v91, v7, v6
	ds_bpermute_b32 v7, v2, v1 offset:12
	ds_bpermute_b32 v6, v2, v5 offset:12
	s_waitcnt lgkmcnt(1)
	v_dual_add_f32 v4, v4, v18 :: v_dual_sub_f32 v7, v13, v7
	v_mul_f32_e32 v7, v7, v12
	s_waitcnt lgkmcnt(0)
	s_delay_alu instid0(VALU_DEP_1) | instskip(SKIP_4) | instid1(VALU_DEP_1)
	v_dual_add_f32 v58, v4, v20 :: v_dual_fmac_f32 v91, v7, v6
	ds_bpermute_b32 v7, v2, v1 offset:16
	ds_bpermute_b32 v6, v2, v5 offset:16
	s_waitcnt lgkmcnt(1)
	v_sub_f32_e32 v7, v15, v7
	v_mul_f32_e32 v7, v7, v14
	s_waitcnt lgkmcnt(0)
	s_delay_alu instid0(VALU_DEP_1) | instskip(SKIP_4) | instid1(VALU_DEP_1)
	v_fmac_f32_e32 v91, v7, v6
	ds_bpermute_b32 v7, v2, v1 offset:20
	ds_bpermute_b32 v6, v2, v5 offset:20
	s_waitcnt lgkmcnt(1)
	v_sub_f32_e32 v7, v17, v7
	v_mul_f32_e32 v7, v7, v16
	s_waitcnt lgkmcnt(0)
	s_delay_alu instid0(VALU_DEP_1)
	v_fmac_f32_e32 v91, v7, v6
	ds_bpermute_b32 v7, v2, v1 offset:24
	ds_bpermute_b32 v1, v2, v1 offset:28
	;; [unrolled: 1-line block ×4, first 2 shown]
	s_waitcnt lgkmcnt(3)
	v_sub_f32_e32 v7, v19, v7
	s_delay_alu instid0(VALU_DEP_1) | instskip(SKIP_1) | instid1(VALU_DEP_1)
	v_mul_f32_e32 v7, v7, v18
	s_waitcnt lgkmcnt(1)
	v_fmac_f32_e32 v91, v7, v6
	s_waitcnt vmcnt(0)
	v_lshlrev_b32_e32 v3, 16, v3
	s_delay_alu instid0(VALU_DEP_1) | instskip(NEXT) | instid1(VALU_DEP_1)
	v_sub_f32_e32 v1, v3, v1
	v_mul_f32_e32 v1, v1, v20
	s_waitcnt lgkmcnt(0)
	s_delay_alu instid0(VALU_DEP_1) | instskip(NEXT) | instid1(VALU_DEP_1)
	v_fmac_f32_e32 v91, v1, v5
	v_mov_b32_e32 v1, v91
.LBB113_81:                             ;   in Loop: Header=BB113_53 Depth=1
	v_add_co_u32 v27, vcc_lo, v27, s2
	v_add_co_ci_u32_e32 v28, vcc_lo, s3, v28, vcc_lo
	v_add_co_u32 v29, vcc_lo, v29, s2
	v_add_co_ci_u32_e32 v30, vcc_lo, s3, v30, vcc_lo
	;; [unrolled: 2-line block ×27, first 2 shown]
	v_add_co_u32 v85, vcc_lo, v85, s2
	s_add_u32 s12, s12, s15
	v_add_co_ci_u32_e32 v86, vcc_lo, s3, v86, vcc_lo
	s_addc_u32 s13, s13, 0
	v_add_co_u32 v87, vcc_lo, v87, s2
	v_cmp_ge_i64_e64 s8, s[12:13], s[4:5]
	v_add_co_ci_u32_e32 v88, vcc_lo, s3, v88, vcc_lo
	v_add_co_u32 v89, vcc_lo, v89, s2
	v_add_co_ci_u32_e32 v90, vcc_lo, s3, v90, vcc_lo
	s_add_u32 s30, s30, s15
	s_addc_u32 s31, s31, 0
	s_and_b32 vcc_lo, exec_lo, s8
	s_cbranch_vccnz .LBB113_83
; %bb.82:                               ;   in Loop: Header=BB113_53 Depth=1
	v_dual_mov_b32 v92, v58 :: v_dual_mov_b32 v91, v1
	s_branch .LBB113_53
.LBB113_83:
	v_and_b32_e32 v4, 0x3ff, v0
	v_bfe_u32 v2, v0, 10, 10
	s_mov_b32 s15, 0
	s_mov_b32 s2, exec_lo
	s_delay_alu instid0(VALU_DEP_2) | instskip(NEXT) | instid1(VALU_DEP_2)
	v_lshrrev_b32_e32 v3, 5, v4
	v_mad_u32_u24 v0, v2, 33, v4
	s_delay_alu instid0(VALU_DEP_2) | instskip(NEXT) | instid1(VALU_DEP_2)
	v_add_nc_u32_e32 v5, v3, v2
	v_lshl_add_u32 v0, v0, 2, 0
	ds_store_b32 v0, v1
	ds_store_b32 v0, v58 offset:2112
	s_waitcnt lgkmcnt(0)
	s_barrier
	buffer_gl0_inv
	v_cmpx_gt_u32_e32 32, v5
	s_cbranch_execz .LBB113_93
; %bb.84:
	v_mbcnt_lo_u32_b32 v6, -1, 0
	s_load_b128 s[8:11], s[0:1], 0x30
	v_cmp_eq_u32_e64 s0, 0, v4
	s_lshl_b64 s[4:5], s[14:15], 5
	s_delay_alu instid0(VALU_DEP_2) | instskip(SKIP_2) | instid1(VALU_DEP_3)
	v_xor_b32_e32 v1, 8, v6
	v_xor_b32_e32 v7, 2, v6
	;; [unrolled: 1-line block ×3, first 2 shown]
	v_cmp_gt_i32_e32 vcc_lo, 32, v1
	v_and_b32_e32 v0, 31, v4
	v_add_co_u32 v4, s1, v3, v2
	s_delay_alu instid0(VALU_DEP_1) | instskip(SKIP_1) | instid1(VALU_DEP_4)
	v_add_co_ci_u32_e64 v5, null, 0, 0, s1
	v_cndmask_b32_e32 v9, v6, v1, vcc_lo
	v_cmp_gt_u32_e64 s1, 16, v0
	v_mul_u32_u24_e32 v12, 33, v0
	v_xor_b32_e32 v0, 4, v6
	s_waitcnt lgkmcnt(0)
	s_cmp_lg_u64 s[8:9], 0
	s_delay_alu instid0(VALU_DEP_2) | instskip(NEXT) | instid1(VALU_DEP_2)
	v_add3_u32 v12, v12, v2, v3
	v_cmp_gt_i32_e32 vcc_lo, 32, v0
	s_cselect_b32 s3, -1, 0
	s_cmp_lg_u64 s[10:11], 0
	v_cndmask_b32_e32 v13, v6, v0, vcc_lo
	v_add_co_u32 v0, vcc_lo, v4, s4
	v_add_co_ci_u32_e32 v1, vcc_lo, s5, v5, vcc_lo
	v_cmp_gt_i32_e32 vcc_lo, 32, v7
	s_delay_alu instid0(VALU_DEP_2) | instskip(SKIP_3) | instid1(VALU_DEP_4)
	v_lshlrev_b64 v[10:11], 1, v[0:1]
	v_cndmask_b32_e32 v14, v6, v7, vcc_lo
	v_cmp_gt_i32_e32 vcc_lo, 32, v8
	v_cndmask_b32_e32 v15, v6, v8, vcc_lo
	v_add_co_u32 v0, vcc_lo, s10, v10
	v_add_co_ci_u32_e32 v1, vcc_lo, s11, v11, vcc_lo
	v_add_co_u32 v2, vcc_lo, s8, v10
	v_lshlrev_b32_e32 v6, 2, v9
	v_lshlrev_b32_e32 v7, 2, v13
	;; [unrolled: 1-line block ×4, first 2 shown]
	v_add_co_ci_u32_e32 v3, vcc_lo, s9, v11, vcc_lo
	v_lshl_add_u32 v10, v12, 2, 0
	s_cselect_b32 s8, -1, 0
                                        ; implicit-def: $vgpr11
                                        ; implicit-def: $vgpr12
	s_branch .LBB113_86
.LBB113_85:                             ;   in Loop: Header=BB113_86 Depth=1
	s_or_b32 exec_lo, exec_lo, s2
	v_add_co_u32 v4, vcc_lo, v4, 16
	v_add_co_ci_u32_e32 v5, vcc_lo, 0, v5, vcc_lo
	v_add_co_u32 v0, vcc_lo, v0, 32
	s_delay_alu instid0(VALU_DEP_3) | instskip(SKIP_2) | instid1(VALU_DEP_3)
	v_add_nc_u32_e32 v13, -16, v4
	v_add_co_ci_u32_e32 v1, vcc_lo, 0, v1, vcc_lo
	v_add_co_u32 v2, s2, v2, 32
	v_cmp_lt_u32_e32 vcc_lo, 15, v13
	v_add_co_ci_u32_e64 v3, s2, 0, v3, s2
	v_add_nc_u32_e32 v10, 64, v10
	s_or_b32 s15, vcc_lo, s15
	s_delay_alu instid0(SALU_CYCLE_1)
	s_and_not1_b32 exec_lo, exec_lo, s15
	s_cbranch_execz .LBB113_93
.LBB113_86:                             ; =>This Inner Loop Header: Depth=1
	s_and_saveexec_b32 s2, s1
	s_cbranch_execz .LBB113_88
; %bb.87:                               ;   in Loop: Header=BB113_86 Depth=1
	ds_load_b32 v11, v10
	ds_load_b32 v12, v10 offset:2112
.LBB113_88:                             ;   in Loop: Header=BB113_86 Depth=1
	s_or_b32 exec_lo, exec_lo, s2
	s_waitcnt lgkmcnt(1)
	ds_bpermute_b32 v13, v6, v11
	s_waitcnt lgkmcnt(1)
	ds_bpermute_b32 v14, v6, v12
	s_waitcnt lgkmcnt(0)
	v_dual_add_f32 v11, v11, v13 :: v_dual_add_f32 v12, v12, v14
	ds_bpermute_b32 v13, v7, v11
	ds_bpermute_b32 v14, v7, v12
	s_waitcnt lgkmcnt(0)
	v_dual_add_f32 v11, v11, v13 :: v_dual_add_f32 v12, v12, v14
	ds_bpermute_b32 v13, v8, v11
	ds_bpermute_b32 v14, v8, v12
	s_waitcnt lgkmcnt(0)
	v_dual_add_f32 v13, v11, v13 :: v_dual_add_f32 v14, v12, v14
	v_add_co_u32 v11, vcc_lo, s4, v4
	v_add_co_ci_u32_e32 v12, vcc_lo, s5, v5, vcc_lo
	ds_bpermute_b32 v15, v9, v13
	ds_bpermute_b32 v16, v9, v14
	v_cmp_gt_i64_e32 vcc_lo, s[6:7], v[11:12]
	s_and_b32 s9, s0, vcc_lo
	s_waitcnt lgkmcnt(0)
	v_dual_add_f32 v11, v13, v15 :: v_dual_add_f32 v12, v14, v16
	s_and_saveexec_b32 s2, s9
	s_cbranch_execz .LBB113_85
; %bb.89:                               ;   in Loop: Header=BB113_86 Depth=1
	s_and_not1_b32 vcc_lo, exec_lo, s3
	s_cbranch_vccnz .LBB113_91
; %bb.90:                               ;   in Loop: Header=BB113_86 Depth=1
	v_bfe_u32 v13, v11, 16, 1
	v_cmp_o_f32_e32 vcc_lo, v11, v11
	s_delay_alu instid0(VALU_DEP_2) | instskip(NEXT) | instid1(VALU_DEP_1)
	v_add3_u32 v13, v11, v13, 0x7fff
	v_lshrrev_b32_e32 v13, 16, v13
	s_delay_alu instid0(VALU_DEP_1)
	v_cndmask_b32_e32 v13, 0x7fc0, v13, vcc_lo
	global_store_b16 v[2:3], v13, off
.LBB113_91:                             ;   in Loop: Header=BB113_86 Depth=1
	s_and_not1_b32 vcc_lo, exec_lo, s8
	s_cbranch_vccnz .LBB113_85
; %bb.92:                               ;   in Loop: Header=BB113_86 Depth=1
	v_bfe_u32 v13, v12, 16, 1
	v_cmp_o_f32_e32 vcc_lo, v12, v12
	s_delay_alu instid0(VALU_DEP_2) | instskip(NEXT) | instid1(VALU_DEP_1)
	v_add3_u32 v13, v12, v13, 0x7fff
	v_lshrrev_b32_e32 v13, 16, v13
	s_delay_alu instid0(VALU_DEP_1)
	v_cndmask_b32_e32 v13, 0x7fc0, v13, vcc_lo
	global_store_b16 v[0:1], v13, off
	s_branch .LBB113_85
.LBB113_93:
	s_nop 0
	s_sendmsg sendmsg(MSG_DEALLOC_VGPRS)
	s_endpgm
	.section	.rodata,"a",@progbits
	.p2align	6, 0x0
	.amdhsa_kernel _ZN2at6native12_GLOBAL__N_135GammaBetaBackwardCUDAKernelTemplateIN3c108BFloat16EfLj32ELj16ELj128ELb0ELb0ELb0EEEvllPKT_S7_PKT0_SA_PS5_SB_
		.amdhsa_group_segment_fixed_size 0
		.amdhsa_private_segment_fixed_size 0
		.amdhsa_kernarg_size 320
		.amdhsa_user_sgpr_count 14
		.amdhsa_user_sgpr_dispatch_ptr 0
		.amdhsa_user_sgpr_queue_ptr 0
		.amdhsa_user_sgpr_kernarg_segment_ptr 1
		.amdhsa_user_sgpr_dispatch_id 0
		.amdhsa_user_sgpr_private_segment_size 0
		.amdhsa_wavefront_size32 1
		.amdhsa_uses_dynamic_stack 0
		.amdhsa_enable_private_segment 0
		.amdhsa_system_sgpr_workgroup_id_x 1
		.amdhsa_system_sgpr_workgroup_id_y 1
		.amdhsa_system_sgpr_workgroup_id_z 0
		.amdhsa_system_sgpr_workgroup_info 0
		.amdhsa_system_vgpr_workitem_id 1
		.amdhsa_next_free_vgpr 96
		.amdhsa_next_free_sgpr 40
		.amdhsa_reserve_vcc 1
		.amdhsa_float_round_mode_32 0
		.amdhsa_float_round_mode_16_64 0
		.amdhsa_float_denorm_mode_32 3
		.amdhsa_float_denorm_mode_16_64 3
		.amdhsa_dx10_clamp 1
		.amdhsa_ieee_mode 1
		.amdhsa_fp16_overflow 0
		.amdhsa_workgroup_processor_mode 1
		.amdhsa_memory_ordered 1
		.amdhsa_forward_progress 0
		.amdhsa_shared_vgpr_count 0
		.amdhsa_exception_fp_ieee_invalid_op 0
		.amdhsa_exception_fp_denorm_src 0
		.amdhsa_exception_fp_ieee_div_zero 0
		.amdhsa_exception_fp_ieee_overflow 0
		.amdhsa_exception_fp_ieee_underflow 0
		.amdhsa_exception_fp_ieee_inexact 0
		.amdhsa_exception_int_div_zero 0
	.end_amdhsa_kernel
	.section	.text._ZN2at6native12_GLOBAL__N_135GammaBetaBackwardCUDAKernelTemplateIN3c108BFloat16EfLj32ELj16ELj128ELb0ELb0ELb0EEEvllPKT_S7_PKT0_SA_PS5_SB_,"axG",@progbits,_ZN2at6native12_GLOBAL__N_135GammaBetaBackwardCUDAKernelTemplateIN3c108BFloat16EfLj32ELj16ELj128ELb0ELb0ELb0EEEvllPKT_S7_PKT0_SA_PS5_SB_,comdat
.Lfunc_end113:
	.size	_ZN2at6native12_GLOBAL__N_135GammaBetaBackwardCUDAKernelTemplateIN3c108BFloat16EfLj32ELj16ELj128ELb0ELb0ELb0EEEvllPKT_S7_PKT0_SA_PS5_SB_, .Lfunc_end113-_ZN2at6native12_GLOBAL__N_135GammaBetaBackwardCUDAKernelTemplateIN3c108BFloat16EfLj32ELj16ELj128ELb0ELb0ELb0EEEvllPKT_S7_PKT0_SA_PS5_SB_
                                        ; -- End function
	.section	.AMDGPU.csdata,"",@progbits
; Kernel info:
; codeLenInByte = 8828
; NumSgprs: 42
; NumVgprs: 96
; ScratchSize: 0
; MemoryBound: 0
; FloatMode: 240
; IeeeMode: 1
; LDSByteSize: 0 bytes/workgroup (compile time only)
; SGPRBlocks: 5
; VGPRBlocks: 11
; NumSGPRsForWavesPerEU: 42
; NumVGPRsForWavesPerEU: 96
; Occupancy: 16
; WaveLimiterHint : 0
; COMPUTE_PGM_RSRC2:SCRATCH_EN: 0
; COMPUTE_PGM_RSRC2:USER_SGPR: 14
; COMPUTE_PGM_RSRC2:TRAP_HANDLER: 0
; COMPUTE_PGM_RSRC2:TGID_X_EN: 1
; COMPUTE_PGM_RSRC2:TGID_Y_EN: 1
; COMPUTE_PGM_RSRC2:TGID_Z_EN: 0
; COMPUTE_PGM_RSRC2:TIDIG_COMP_CNT: 1
	.section	.text._ZN2at6native12_GLOBAL__N_135GammaBetaBackwardCUDAKernelTemplateIN3c108BFloat16EfLj32ELj32ELj256ELb0ELb1ELb0EEEvllPKT_S7_PKT0_SA_PS5_SB_,"axG",@progbits,_ZN2at6native12_GLOBAL__N_135GammaBetaBackwardCUDAKernelTemplateIN3c108BFloat16EfLj32ELj32ELj256ELb0ELb1ELb0EEEvllPKT_S7_PKT0_SA_PS5_SB_,comdat
	.globl	_ZN2at6native12_GLOBAL__N_135GammaBetaBackwardCUDAKernelTemplateIN3c108BFloat16EfLj32ELj32ELj256ELb0ELb1ELb0EEEvllPKT_S7_PKT0_SA_PS5_SB_ ; -- Begin function _ZN2at6native12_GLOBAL__N_135GammaBetaBackwardCUDAKernelTemplateIN3c108BFloat16EfLj32ELj32ELj256ELb0ELb1ELb0EEEvllPKT_S7_PKT0_SA_PS5_SB_
	.p2align	8
	.type	_ZN2at6native12_GLOBAL__N_135GammaBetaBackwardCUDAKernelTemplateIN3c108BFloat16EfLj32ELj32ELj256ELb0ELb1ELb0EEEvllPKT_S7_PKT0_SA_PS5_SB_,@function
_ZN2at6native12_GLOBAL__N_135GammaBetaBackwardCUDAKernelTemplateIN3c108BFloat16EfLj32ELj32ELj256ELb0ELb1ELb0EEEvllPKT_S7_PKT0_SA_PS5_SB_: ; @_ZN2at6native12_GLOBAL__N_135GammaBetaBackwardCUDAKernelTemplateIN3c108BFloat16EfLj32ELj32ELj256ELb0ELb1ELb0EEEvllPKT_S7_PKT0_SA_PS5_SB_
; %bb.0:
	s_load_b128 s[20:23], s[0:1], 0x0
	s_mov_b32 s3, 0
	s_lshl_b32 s2, s15, 8
	v_bfe_u32 v7, v0, 10, 10
	s_waitcnt lgkmcnt(0)
	v_cmp_lt_i64_e64 s4, s[2:3], s[20:21]
	s_delay_alu instid0(VALU_DEP_1)
	s_and_b32 vcc_lo, exec_lo, s4
	s_cbranch_vccnz .LBB114_2
; %bb.1:
	v_bfe_u32 v1, v0, 10, 10
	s_mov_b32 s5, 0
	s_mov_b32 s4, s3
	s_branch .LBB114_3
.LBB114_2:
	s_mov_b32 s4, -1
                                        ; implicit-def: $sgpr5
                                        ; implicit-def: $vgpr1
.LBB114_3:
	s_load_b128 s[16:19], s[0:1], 0x30
	v_dual_mov_b32 v15, s5 :: v_dual_and_b32 v6, 0x3ff, v0
	v_mov_b32_e32 v17, s5
	s_and_not1_b32 vcc_lo, exec_lo, s4
	s_cbranch_vccnz .LBB114_11
; %bb.4:
	s_clause 0x2
	s_load_b32 s12, s[0:1], 0x4c
	s_load_b32 s15, s[0:1], 0x44
	s_load_b256 s[4:11], s[0:1], 0x10
	v_dual_mov_b32 v1, 0 :: v_dual_lshlrev_b32 v2, 3, v7
	v_lshl_add_u32 v0, s14, 5, v6
	v_dual_mov_b32 v8, 4 :: v_dual_mov_b32 v9, 8
	s_delay_alu instid0(VALU_DEP_3) | instskip(NEXT) | instid1(VALU_DEP_1)
	v_add_co_u32 v2, s0, v2, s2
	v_add_co_ci_u32_e64 v3, null, 0, 0, s0
	v_dual_mov_b32 v10, 12 :: v_dual_mov_b32 v11, 16
	s_delay_alu instid0(VALU_DEP_3) | instskip(NEXT) | instid1(VALU_DEP_3)
	v_mul_lo_u32 v17, s23, v2
	v_mul_lo_u32 v18, s22, v3
	v_mad_u64_u32 v[4:5], null, s22, v2, 0
	v_dual_mov_b32 v12, 20 :: v_dual_mov_b32 v13, 24
	s_waitcnt lgkmcnt(0)
	s_and_b32 s0, s12, 0xffff
	s_lshl_b32 s12, s15, 8
	v_mad_u32_u24 v15, v7, s0, v6
	v_mov_b32_e32 v14, 28
	s_delay_alu instid0(VALU_DEP_4)
	v_add3_u32 v5, v5, v18, v17
	s_mul_i32 s1, s23, s12
	s_mul_hi_u32 s15, s22, s12
	v_and_b32_e32 v19, 31, v15
	v_lshlrev_b64 v[15:16], 1, v[0:1]
	v_lshlrev_b64 v[17:18], 1, v[4:5]
	s_mov_b32 s13, 0
	s_add_i32 s27, s15, s1
	v_add_co_u32 v2, vcc_lo, v2, v19
	v_add_co_ci_u32_e32 v3, vcc_lo, 0, v3, vcc_lo
	s_delay_alu instid0(VALU_DEP_3) | instskip(SKIP_1) | instid1(VALU_DEP_3)
	v_add_co_u32 v0, vcc_lo, v17, v15
	v_cmp_gt_u32_e64 s0, 8, v19
	v_lshlrev_b64 v[4:5], 2, v[2:3]
	v_add_co_ci_u32_e32 v16, vcc_lo, v18, v16, vcc_lo
	v_mov_b32_e32 v17, 0
	v_mov_b32_e32 v15, 0
	s_mul_i32 s26, s22, s12
	s_lshl_b64 s[24:25], s[12:13], 2
	s_lshl_b64 s[26:27], s[26:27], 1
	;; [unrolled: 1-line block ×3, first 2 shown]
	s_branch .LBB114_7
.LBB114_5:                              ;   in Loop: Header=BB114_7 Depth=1
	s_or_b32 exec_lo, exec_lo, s13
.LBB114_6:                              ;   in Loop: Header=BB114_7 Depth=1
	s_delay_alu instid0(SALU_CYCLE_1) | instskip(SKIP_4) | instid1(VALU_DEP_4)
	s_or_b32 exec_lo, exec_lo, s1
	v_add_co_u32 v20, vcc_lo, s4, v0
	v_add_co_ci_u32_e32 v21, vcc_lo, s5, v16, vcc_lo
	v_add_co_u32 v22, vcc_lo, s6, v0
	v_add_co_ci_u32_e32 v23, vcc_lo, s7, v16, vcc_lo
	v_add_co_u32 v24, vcc_lo, v20, s22
	s_delay_alu instid0(VALU_DEP_4) | instskip(NEXT) | instid1(VALU_DEP_4)
	v_add_co_ci_u32_e32 v25, vcc_lo, s23, v21, vcc_lo
	v_add_co_u32 v26, vcc_lo, v22, s22
	s_delay_alu instid0(VALU_DEP_4) | instskip(NEXT) | instid1(VALU_DEP_4)
	v_add_co_ci_u32_e32 v27, vcc_lo, s23, v23, vcc_lo
	v_add_co_u32 v28, vcc_lo, v24, s22
	s_delay_alu instid0(VALU_DEP_4)
	v_add_co_ci_u32_e32 v29, vcc_lo, s23, v25, vcc_lo
	global_load_u16 v30, v[20:21], off
	global_load_u16 v31, v[22:23], off
	;; [unrolled: 1-line block ×5, first 2 shown]
	v_add_co_u32 v20, vcc_lo, v26, s22
	v_add_co_ci_u32_e32 v21, vcc_lo, s23, v27, vcc_lo
	v_add_co_u32 v22, vcc_lo, v28, s22
	v_add_co_ci_u32_e32 v23, vcc_lo, s23, v29, vcc_lo
	s_delay_alu instid0(VALU_DEP_4) | instskip(NEXT) | instid1(VALU_DEP_4)
	v_add_co_u32 v24, vcc_lo, v20, s22
	v_add_co_ci_u32_e32 v25, vcc_lo, s23, v21, vcc_lo
	s_delay_alu instid0(VALU_DEP_4) | instskip(NEXT) | instid1(VALU_DEP_4)
	;; [unrolled: 3-line block ×3, first 2 shown]
	v_add_co_u32 v28, vcc_lo, v24, s22
	v_add_co_ci_u32_e32 v29, vcc_lo, s23, v25, vcc_lo
	global_load_u16 v35, v[20:21], off
	global_load_u16 v36, v[22:23], off
	;; [unrolled: 1-line block ×5, first 2 shown]
	v_add_co_u32 v20, vcc_lo, v26, s22
	v_add_co_ci_u32_e32 v21, vcc_lo, s23, v27, vcc_lo
	v_add_co_u32 v22, vcc_lo, v28, s22
	v_add_co_ci_u32_e32 v23, vcc_lo, s23, v29, vcc_lo
	s_delay_alu instid0(VALU_DEP_4) | instskip(NEXT) | instid1(VALU_DEP_4)
	v_add_co_u32 v24, vcc_lo, v20, s22
	v_add_co_ci_u32_e32 v25, vcc_lo, s23, v21, vcc_lo
	s_delay_alu instid0(VALU_DEP_4) | instskip(NEXT) | instid1(VALU_DEP_4)
	v_add_co_u32 v26, vcc_lo, v22, s22
	v_add_co_ci_u32_e32 v27, vcc_lo, s23, v23, vcc_lo
	global_load_u16 v28, v[20:21], off
	global_load_u16 v29, v[22:23], off
	;; [unrolled: 1-line block ×4, first 2 shown]
	v_add_co_u32 v20, vcc_lo, v26, s22
	v_add_co_ci_u32_e32 v21, vcc_lo, s23, v27, vcc_lo
	v_add_co_u32 v22, vcc_lo, v24, s22
	v_add_co_ci_u32_e32 v23, vcc_lo, s23, v25, vcc_lo
	global_load_u16 v20, v[20:21], off
	global_load_u16 v21, v[22:23], off
	s_waitcnt vmcnt(17)
	ds_bpermute_b32 v25, v8, v18
	ds_bpermute_b32 v22, v1, v18
	s_waitcnt vmcnt(16)
	ds_bpermute_b32 v23, v1, v19
	ds_bpermute_b32 v24, v8, v19
	;; [unrolled: 1-line block ×14, first 2 shown]
	v_add_co_u32 v4, vcc_lo, v4, s24
	s_add_u32 s2, s2, s12
	v_add_co_ci_u32_e32 v5, vcc_lo, s25, v5, vcc_lo
	s_addc_u32 s3, s3, 0
	v_add_co_u32 v2, vcc_lo, v2, s12
	v_add_co_ci_u32_e32 v3, vcc_lo, 0, v3, vcc_lo
	v_cmp_lt_i64_e64 s1, s[2:3], s[20:21]
	v_add_co_u32 v0, vcc_lo, v0, s26
	v_add_co_ci_u32_e32 v16, vcc_lo, s27, v16, vcc_lo
	s_delay_alu instid0(VALU_DEP_3) | instskip(SKIP_3) | instid1(VALU_DEP_1)
	s_and_b32 vcc_lo, exec_lo, s1
	s_waitcnt vmcnt(12)
	v_lshlrev_b32_e32 v33, 16, v33
	s_waitcnt lgkmcnt(15)
	v_dual_sub_f32 v25, v33, v25 :: v_dual_lshlrev_b32 v30, 16, v30
	v_lshlrev_b32_e32 v31, 16, v31
	s_delay_alu instid0(VALU_DEP_2) | instskip(SKIP_1) | instid1(VALU_DEP_2)
	v_add_f32_e32 v17, v17, v30
	s_waitcnt lgkmcnt(14)
	v_sub_f32_e32 v22, v31, v22
	s_delay_alu instid0(VALU_DEP_1) | instskip(SKIP_1) | instid1(VALU_DEP_1)
	v_mul_f32_e32 v22, v22, v30
	s_waitcnt vmcnt(11) lgkmcnt(13)
	v_dual_fmac_f32 v15, v22, v23 :: v_dual_lshlrev_b32 v30, 16, v34
	v_lshlrev_b32_e32 v31, 16, v32
	s_waitcnt vmcnt(8)
	s_delay_alu instid0(VALU_DEP_1) | instskip(SKIP_1) | instid1(VALU_DEP_1)
	v_dual_mul_f32 v22, v25, v31 :: v_dual_lshlrev_b32 v25, 16, v37
	s_waitcnt lgkmcnt(12)
	v_dual_fmac_f32 v15, v22, v24 :: v_dual_lshlrev_b32 v32, 16, v35
	s_waitcnt vmcnt(6)
	v_lshlrev_b32_e32 v24, 16, v39
	s_waitcnt lgkmcnt(11)
	s_delay_alu instid0(VALU_DEP_2) | instskip(NEXT) | instid1(VALU_DEP_1)
	v_sub_f32_e32 v23, v32, v27
	v_dual_mul_f32 v22, v23, v30 :: v_dual_add_f32 v17, v17, v31
	s_waitcnt lgkmcnt(9)
	v_sub_f32_e32 v23, v25, v43
	s_waitcnt vmcnt(5)
	s_delay_alu instid0(VALU_DEP_2) | instskip(SKIP_3) | instid1(VALU_DEP_1)
	v_dual_fmac_f32 v15, v22, v26 :: v_dual_lshlrev_b32 v26, 16, v28
	s_waitcnt vmcnt(1)
	v_lshlrev_b32_e32 v20, 16, v20
	s_waitcnt vmcnt(0) lgkmcnt(5)
	v_dual_sub_f32 v18, v20, v18 :: v_dual_lshlrev_b32 v21, 16, v21
	s_delay_alu instid0(VALU_DEP_1) | instskip(SKIP_1) | instid1(VALU_DEP_1)
	v_dual_mul_f32 v18, v18, v21 :: v_dual_lshlrev_b32 v25, 16, v38
	v_lshlrev_b32_e32 v27, 16, v36
	v_dual_add_f32 v17, v17, v30 :: v_dual_mul_f32 v22, v23, v27
	v_sub_f32_e32 v23, v24, v45
	s_waitcnt lgkmcnt(4)
	s_delay_alu instid0(VALU_DEP_2) | instskip(NEXT) | instid1(VALU_DEP_1)
	v_dual_fmac_f32 v15, v22, v42 :: v_dual_lshlrev_b32 v24, 16, v29
	v_dual_mul_f32 v22, v23, v25 :: v_dual_sub_f32 v23, v24, v47
	v_dual_add_f32 v17, v17, v27 :: v_dual_lshlrev_b32 v24, 16, v41
	s_waitcnt lgkmcnt(3)
	s_delay_alu instid0(VALU_DEP_2) | instskip(NEXT) | instid1(VALU_DEP_2)
	v_dual_fmac_f32 v15, v22, v44 :: v_dual_mul_f32 v22, v23, v26
	v_add_f32_e32 v17, v17, v25
	v_lshlrev_b32_e32 v25, 16, v40
	v_sub_f32_e32 v23, v24, v49
	s_waitcnt lgkmcnt(2)
	v_fmac_f32_e32 v15, v22, v46
	s_delay_alu instid0(VALU_DEP_2) | instskip(NEXT) | instid1(VALU_DEP_1)
	v_dual_add_f32 v17, v17, v26 :: v_dual_mul_f32 v22, v23, v25
	v_add_f32_e32 v17, v17, v25
	s_waitcnt lgkmcnt(1)
	s_delay_alu instid0(VALU_DEP_2) | instskip(NEXT) | instid1(VALU_DEP_2)
	v_fmac_f32_e32 v15, v22, v48
	v_add_f32_e32 v17, v17, v21
	s_waitcnt lgkmcnt(0)
	s_delay_alu instid0(VALU_DEP_2)
	v_fmac_f32_e32 v15, v18, v19
	s_cbranch_vccz .LBB114_10
.LBB114_7:                              ; =>This Inner Loop Header: Depth=1
	v_dual_mov_b32 v19, 0 :: v_dual_mov_b32 v18, 0
	s_and_saveexec_b32 s1, s0
	s_cbranch_execz .LBB114_6
; %bb.8:                                ;   in Loop: Header=BB114_7 Depth=1
	v_dual_mov_b32 v18, 0 :: v_dual_mov_b32 v19, 0
	s_mov_b32 s13, exec_lo
	v_cmpx_gt_i64_e64 s[20:21], v[2:3]
	s_cbranch_execz .LBB114_5
; %bb.9:                                ;   in Loop: Header=BB114_7 Depth=1
	v_add_co_u32 v18, vcc_lo, s8, v4
	v_add_co_ci_u32_e32 v19, vcc_lo, s9, v5, vcc_lo
	v_add_co_u32 v20, vcc_lo, s10, v4
	v_add_co_ci_u32_e32 v21, vcc_lo, s11, v5, vcc_lo
	global_load_b32 v18, v[18:19], off
	global_load_b32 v19, v[20:21], off
	s_branch .LBB114_5
.LBB114_10:
	v_mov_b32_e32 v1, v7
.LBB114_11:
	s_delay_alu instid0(VALU_DEP_2) | instskip(NEXT) | instid1(VALU_DEP_2)
	v_lshrrev_b32_e32 v0, 5, v6
	v_mad_u32_u24 v2, v1, 33, v6
	s_mov_b32 s0, exec_lo
	s_delay_alu instid0(VALU_DEP_2) | instskip(NEXT) | instid1(VALU_DEP_2)
	v_add_nc_u32_e32 v0, v0, v1
	v_lshl_add_u32 v1, v2, 2, 0
	ds_store_b32 v1, v15
	ds_store_b32 v1, v17 offset:4224
	s_waitcnt lgkmcnt(0)
	s_barrier
	buffer_gl0_inv
	v_cmpx_gt_u32_e32 32, v0
	s_cbranch_execz .LBB114_17
; %bb.12:
	v_mbcnt_lo_u32_b32 v2, -1, 0
	s_delay_alu instid0(VALU_DEP_1) | instskip(SKIP_1) | instid1(VALU_DEP_2)
	v_xor_b32_e32 v4, 16, v2
	v_xor_b32_e32 v7, 8, v2
	v_cmp_gt_i32_e32 vcc_lo, 32, v4
	v_dual_cndmask_b32 v4, v2, v4 :: v_dual_and_b32 v1, 31, v6
	s_delay_alu instid0(VALU_DEP_1) | instskip(NEXT) | instid1(VALU_DEP_4)
	v_mad_u32_u24 v1, v1, 33, v0
	v_cmp_gt_i32_e32 vcc_lo, 32, v7
	s_delay_alu instid0(VALU_DEP_3) | instskip(NEXT) | instid1(VALU_DEP_3)
	v_lshlrev_b32_e32 v4, 2, v4
	v_lshl_add_u32 v1, v1, 2, 0
	v_cndmask_b32_e32 v7, v2, v7, vcc_lo
	ds_load_b32 v3, v1
	ds_load_b32 v1, v1 offset:4224
	v_lshlrev_b32_e32 v7, 2, v7
	s_waitcnt lgkmcnt(1)
	ds_bpermute_b32 v5, v4, v3
	s_waitcnt lgkmcnt(1)
	ds_bpermute_b32 v4, v4, v1
	s_waitcnt lgkmcnt(1)
	v_add_f32_e32 v3, v3, v5
	s_waitcnt lgkmcnt(0)
	v_add_f32_e32 v1, v1, v4
	ds_bpermute_b32 v4, v7, v3
	ds_bpermute_b32 v5, v7, v1
	v_xor_b32_e32 v7, 4, v2
	s_delay_alu instid0(VALU_DEP_1) | instskip(SKIP_1) | instid1(VALU_DEP_1)
	v_cmp_gt_i32_e32 vcc_lo, 32, v7
	v_cndmask_b32_e32 v7, v2, v7, vcc_lo
	v_lshlrev_b32_e32 v7, 2, v7
	s_waitcnt lgkmcnt(1)
	v_add_f32_e32 v3, v3, v4
	s_waitcnt lgkmcnt(0)
	v_add_f32_e32 v1, v1, v5
	ds_bpermute_b32 v4, v7, v3
	ds_bpermute_b32 v5, v7, v1
	v_xor_b32_e32 v7, 2, v2
	s_delay_alu instid0(VALU_DEP_1) | instskip(SKIP_1) | instid1(VALU_DEP_1)
	v_cmp_gt_i32_e32 vcc_lo, 32, v7
	v_cndmask_b32_e32 v7, v2, v7, vcc_lo
	v_lshlrev_b32_e32 v7, 2, v7
	s_waitcnt lgkmcnt(1)
	v_add_f32_e32 v3, v3, v4
	s_waitcnt lgkmcnt(0)
	v_add_f32_e32 v1, v1, v5
	ds_bpermute_b32 v4, v7, v3
	ds_bpermute_b32 v5, v7, v1
	v_xor_b32_e32 v7, 1, v2
	s_delay_alu instid0(VALU_DEP_1) | instskip(SKIP_3) | instid1(VALU_DEP_2)
	v_cmp_gt_i32_e32 vcc_lo, 32, v7
	v_cndmask_b32_e32 v2, v2, v7, vcc_lo
	v_cmp_eq_u32_e32 vcc_lo, 0, v6
	s_waitcnt lgkmcnt(1)
	v_dual_add_f32 v4, v3, v4 :: v_dual_lshlrev_b32 v7, 2, v2
	s_waitcnt lgkmcnt(0)
	v_add_f32_e32 v2, v1, v5
	ds_bpermute_b32 v5, v7, v4
	ds_bpermute_b32 v3, v7, v2
	s_and_b32 exec_lo, exec_lo, vcc_lo
	s_cbranch_execz .LBB114_17
; %bb.13:
	s_mov_b32 s15, 0
	s_delay_alu instid0(SALU_CYCLE_1) | instskip(SKIP_3) | instid1(VALU_DEP_1)
	s_lshl_b64 s[0:1], s[14:15], 5
	s_cmp_eq_u64 s[16:17], 0
	v_or_b32_e32 v0, s0, v0
	v_mov_b32_e32 v1, s1
	v_lshlrev_b64 v[0:1], 1, v[0:1]
	s_cbranch_scc1 .LBB114_15
; %bb.14:
	s_waitcnt lgkmcnt(1)
	v_add_f32_e32 v4, v4, v5
	s_delay_alu instid0(VALU_DEP_1) | instskip(SKIP_1) | instid1(VALU_DEP_2)
	v_bfe_u32 v5, v4, 16, 1
	v_cmp_o_f32_e32 vcc_lo, v4, v4
	v_add3_u32 v5, v4, v5, 0x7fff
	s_delay_alu instid0(VALU_DEP_1) | instskip(NEXT) | instid1(VALU_DEP_1)
	v_lshrrev_b32_e32 v5, 16, v5
	v_cndmask_b32_e32 v6, 0x7fc0, v5, vcc_lo
	v_add_co_u32 v4, vcc_lo, s16, v0
	v_add_co_ci_u32_e32 v5, vcc_lo, s17, v1, vcc_lo
	global_store_b16 v[4:5], v6, off
.LBB114_15:
	s_cmp_eq_u64 s[18:19], 0
	s_cbranch_scc1 .LBB114_17
; %bb.16:
	s_waitcnt lgkmcnt(0)
	v_add_f32_e32 v2, v2, v3
	s_delay_alu instid0(VALU_DEP_1) | instskip(SKIP_1) | instid1(VALU_DEP_2)
	v_bfe_u32 v3, v2, 16, 1
	v_cmp_o_f32_e32 vcc_lo, v2, v2
	v_add3_u32 v3, v2, v3, 0x7fff
	s_delay_alu instid0(VALU_DEP_1) | instskip(NEXT) | instid1(VALU_DEP_1)
	v_lshrrev_b32_e32 v3, 16, v3
	v_cndmask_b32_e32 v2, 0x7fc0, v3, vcc_lo
	v_add_co_u32 v0, vcc_lo, s18, v0
	v_add_co_ci_u32_e32 v1, vcc_lo, s19, v1, vcc_lo
	global_store_b16 v[0:1], v2, off
.LBB114_17:
	s_nop 0
	s_sendmsg sendmsg(MSG_DEALLOC_VGPRS)
	s_endpgm
	.section	.rodata,"a",@progbits
	.p2align	6, 0x0
	.amdhsa_kernel _ZN2at6native12_GLOBAL__N_135GammaBetaBackwardCUDAKernelTemplateIN3c108BFloat16EfLj32ELj32ELj256ELb0ELb1ELb0EEEvllPKT_S7_PKT0_SA_PS5_SB_
		.amdhsa_group_segment_fixed_size 0
		.amdhsa_private_segment_fixed_size 0
		.amdhsa_kernarg_size 320
		.amdhsa_user_sgpr_count 14
		.amdhsa_user_sgpr_dispatch_ptr 0
		.amdhsa_user_sgpr_queue_ptr 0
		.amdhsa_user_sgpr_kernarg_segment_ptr 1
		.amdhsa_user_sgpr_dispatch_id 0
		.amdhsa_user_sgpr_private_segment_size 0
		.amdhsa_wavefront_size32 1
		.amdhsa_uses_dynamic_stack 0
		.amdhsa_enable_private_segment 0
		.amdhsa_system_sgpr_workgroup_id_x 1
		.amdhsa_system_sgpr_workgroup_id_y 1
		.amdhsa_system_sgpr_workgroup_id_z 0
		.amdhsa_system_sgpr_workgroup_info 0
		.amdhsa_system_vgpr_workitem_id 1
		.amdhsa_next_free_vgpr 50
		.amdhsa_next_free_sgpr 28
		.amdhsa_reserve_vcc 1
		.amdhsa_float_round_mode_32 0
		.amdhsa_float_round_mode_16_64 0
		.amdhsa_float_denorm_mode_32 3
		.amdhsa_float_denorm_mode_16_64 3
		.amdhsa_dx10_clamp 1
		.amdhsa_ieee_mode 1
		.amdhsa_fp16_overflow 0
		.amdhsa_workgroup_processor_mode 1
		.amdhsa_memory_ordered 1
		.amdhsa_forward_progress 0
		.amdhsa_shared_vgpr_count 0
		.amdhsa_exception_fp_ieee_invalid_op 0
		.amdhsa_exception_fp_denorm_src 0
		.amdhsa_exception_fp_ieee_div_zero 0
		.amdhsa_exception_fp_ieee_overflow 0
		.amdhsa_exception_fp_ieee_underflow 0
		.amdhsa_exception_fp_ieee_inexact 0
		.amdhsa_exception_int_div_zero 0
	.end_amdhsa_kernel
	.section	.text._ZN2at6native12_GLOBAL__N_135GammaBetaBackwardCUDAKernelTemplateIN3c108BFloat16EfLj32ELj32ELj256ELb0ELb1ELb0EEEvllPKT_S7_PKT0_SA_PS5_SB_,"axG",@progbits,_ZN2at6native12_GLOBAL__N_135GammaBetaBackwardCUDAKernelTemplateIN3c108BFloat16EfLj32ELj32ELj256ELb0ELb1ELb0EEEvllPKT_S7_PKT0_SA_PS5_SB_,comdat
.Lfunc_end114:
	.size	_ZN2at6native12_GLOBAL__N_135GammaBetaBackwardCUDAKernelTemplateIN3c108BFloat16EfLj32ELj32ELj256ELb0ELb1ELb0EEEvllPKT_S7_PKT0_SA_PS5_SB_, .Lfunc_end114-_ZN2at6native12_GLOBAL__N_135GammaBetaBackwardCUDAKernelTemplateIN3c108BFloat16EfLj32ELj32ELj256ELb0ELb1ELb0EEEvllPKT_S7_PKT0_SA_PS5_SB_
                                        ; -- End function
	.section	.AMDGPU.csdata,"",@progbits
; Kernel info:
; codeLenInByte = 1912
; NumSgprs: 30
; NumVgprs: 50
; ScratchSize: 0
; MemoryBound: 0
; FloatMode: 240
; IeeeMode: 1
; LDSByteSize: 0 bytes/workgroup (compile time only)
; SGPRBlocks: 3
; VGPRBlocks: 6
; NumSGPRsForWavesPerEU: 30
; NumVGPRsForWavesPerEU: 50
; Occupancy: 16
; WaveLimiterHint : 0
; COMPUTE_PGM_RSRC2:SCRATCH_EN: 0
; COMPUTE_PGM_RSRC2:USER_SGPR: 14
; COMPUTE_PGM_RSRC2:TRAP_HANDLER: 0
; COMPUTE_PGM_RSRC2:TGID_X_EN: 1
; COMPUTE_PGM_RSRC2:TGID_Y_EN: 1
; COMPUTE_PGM_RSRC2:TGID_Z_EN: 0
; COMPUTE_PGM_RSRC2:TIDIG_COMP_CNT: 1
	.section	.text._ZN2at6native12_GLOBAL__N_135GammaBetaBackwardCUDAKernelTemplateIN3c108BFloat16EfLj32ELj32ELj256ELb0ELb0ELb0EEEvllPKT_S7_PKT0_SA_PS5_SB_,"axG",@progbits,_ZN2at6native12_GLOBAL__N_135GammaBetaBackwardCUDAKernelTemplateIN3c108BFloat16EfLj32ELj32ELj256ELb0ELb0ELb0EEEvllPKT_S7_PKT0_SA_PS5_SB_,comdat
	.globl	_ZN2at6native12_GLOBAL__N_135GammaBetaBackwardCUDAKernelTemplateIN3c108BFloat16EfLj32ELj32ELj256ELb0ELb0ELb0EEEvllPKT_S7_PKT0_SA_PS5_SB_ ; -- Begin function _ZN2at6native12_GLOBAL__N_135GammaBetaBackwardCUDAKernelTemplateIN3c108BFloat16EfLj32ELj32ELj256ELb0ELb0ELb0EEEvllPKT_S7_PKT0_SA_PS5_SB_
	.p2align	8
	.type	_ZN2at6native12_GLOBAL__N_135GammaBetaBackwardCUDAKernelTemplateIN3c108BFloat16EfLj32ELj32ELj256ELb0ELb0ELb0EEEvllPKT_S7_PKT0_SA_PS5_SB_,@function
_ZN2at6native12_GLOBAL__N_135GammaBetaBackwardCUDAKernelTemplateIN3c108BFloat16EfLj32ELj32ELj256ELb0ELb0ELb0EEEvllPKT_S7_PKT0_SA_PS5_SB_: ; @_ZN2at6native12_GLOBAL__N_135GammaBetaBackwardCUDAKernelTemplateIN3c108BFloat16EfLj32ELj32ELj256ELb0ELb0ELb0EEEvllPKT_S7_PKT0_SA_PS5_SB_
; %bb.0:
	s_clause 0x1
	s_load_b256 s[4:11], s[0:1], 0x0
	s_load_b128 s[24:27], s[0:1], 0x20
	s_mov_b32 s29, 0
	s_lshl_b32 s12, s15, 8
	s_mov_b32 s13, s29
	s_lshl_b32 s33, s14, 5
	s_delay_alu instid0(SALU_CYCLE_1) | instskip(SKIP_3) | instid1(VALU_DEP_2)
	s_or_b32 s28, s33, 31
	s_waitcnt lgkmcnt(0)
	v_cmp_lt_i64_e64 s15, s[12:13], s[4:5]
	v_cmp_ge_i64_e64 s2, s[28:29], s[6:7]
	v_cndmask_b32_e64 v1, 0, 1, s15
	s_delay_alu instid0(VALU_DEP_2) | instskip(NEXT) | instid1(VALU_DEP_1)
	s_and_b32 vcc_lo, exec_lo, s2
	v_cmp_ne_u32_e64 s2, 1, v1
	s_cbranch_vccz .LBB115_49
; %bb.1:
	v_dual_mov_b32 v1, 0 :: v_dual_mov_b32 v58, 0
	s_delay_alu instid0(VALU_DEP_2)
	s_and_b32 vcc_lo, exec_lo, s2
	s_cbranch_vccnz .LBB115_50
; %bb.2:
	v_bfe_u32 v27, v0, 10, 10
	s_load_b32 s3, s[0:1], 0x44
	v_dual_mov_b32 v2, 0 :: v_dual_and_b32 v29, 0x3ff, v0
	s_add_u32 s30, s0, 64
	s_delay_alu instid0(VALU_DEP_2) | instskip(NEXT) | instid1(VALU_DEP_2)
	v_dual_mov_b32 v63, 0 :: v_dual_lshlrev_b32 v28, 3, v27
	v_dual_mov_b32 v58, 0 :: v_dual_add_nc_u32 v1, s33, v29
	s_addc_u32 s31, s1, 0
	s_delay_alu instid0(VALU_DEP_2) | instskip(NEXT) | instid1(VALU_DEP_1)
	v_add_co_u32 v9, s2, v28, s12
	v_add_co_ci_u32_e64 v10, null, 0, 0, s2
	s_delay_alu instid0(VALU_DEP_3) | instskip(NEXT) | instid1(VALU_DEP_3)
	v_cmp_gt_i64_e64 s2, s[6:7], v[1:2]
	v_add_co_u32 v5, vcc_lo, v9, 7
	s_delay_alu instid0(VALU_DEP_3) | instskip(SKIP_1) | instid1(VALU_DEP_3)
	v_add_co_ci_u32_e32 v3, vcc_lo, 0, v10, vcc_lo
	v_add_co_u32 v8, vcc_lo, v9, 6
	v_mul_lo_u32 v6, s7, v5
	s_delay_alu instid0(VALU_DEP_3)
	v_mul_lo_u32 v7, s6, v3
	v_mad_u64_u32 v[3:4], null, s6, v5, 0
	v_add_co_ci_u32_e32 v5, vcc_lo, 0, v10, vcc_lo
	v_lshlrev_b64 v[25:26], 1, v[1:2]
	v_mul_lo_u32 v1, s7, v8
	s_waitcnt lgkmcnt(0)
	s_lshl_b32 s28, s3, 8
	s_mov_b32 s16, 0
	s_delay_alu instid0(VALU_DEP_4) | instskip(SKIP_3) | instid1(VALU_DEP_3)
	v_add3_u32 v4, v4, v7, v6
	v_mul_lo_u32 v7, s6, v5
	v_mad_u64_u32 v[5:6], null, s6, v8, 0
	s_mul_i32 s3, s7, s28
	v_lshlrev_b64 v[3:4], 1, v[3:4]
	s_mul_hi_u32 s17, s6, s28
	s_mul_i32 s18, s6, s28
	s_add_i32 s19, s17, s3
	s_mov_b64 s[38:39], s[12:13]
	s_delay_alu instid0(VALU_DEP_2) | instskip(SKIP_4) | instid1(VALU_DEP_1)
	v_add3_u32 v6, v6, v7, v1
	v_add_co_u32 v30, vcc_lo, s8, v3
	v_add_co_ci_u32_e32 v31, vcc_lo, s9, v4, vcc_lo
	v_add_co_u32 v1, vcc_lo, v9, 5
	v_add_co_u32 v32, s3, s10, v3
	v_add_co_ci_u32_e64 v33, s3, s11, v4, s3
	v_lshlrev_b64 v[3:4], 1, v[5:6]
	v_add_co_ci_u32_e32 v5, vcc_lo, 0, v10, vcc_lo
	v_add_co_u32 v12, vcc_lo, v9, 4
	v_mul_lo_u32 v11, s7, v1
	s_delay_alu instid0(VALU_DEP_3) | instskip(SKIP_4) | instid1(VALU_DEP_3)
	v_mul_lo_u32 v13, s6, v5
	v_mad_u64_u32 v[5:6], null, s6, v1, 0
	v_add_co_ci_u32_e32 v7, vcc_lo, 0, v10, vcc_lo
	v_mul_lo_u32 v1, s7, v12
	v_add_co_u32 v34, vcc_lo, s8, v3
	v_mul_lo_u32 v14, s6, v7
	v_mad_u64_u32 v[7:8], null, s6, v12, 0
	v_add3_u32 v6, v6, v13, v11
	v_add_co_ci_u32_e32 v35, vcc_lo, s9, v4, vcc_lo
	v_add_co_u32 v36, vcc_lo, s10, v3
	v_add_co_ci_u32_e32 v37, vcc_lo, s11, v4, vcc_lo
	s_delay_alu instid0(VALU_DEP_4) | instskip(SKIP_3) | instid1(VALU_DEP_4)
	v_lshlrev_b64 v[3:4], 1, v[5:6]
	v_add3_u32 v8, v8, v14, v1
	v_add_co_u32 v1, vcc_lo, v9, 3
	v_add_co_ci_u32_e32 v11, vcc_lo, 0, v10, vcc_lo
	v_add_co_u32 v38, vcc_lo, s8, v3
	s_delay_alu instid0(VALU_DEP_4)
	v_lshlrev_b64 v[5:6], 1, v[7:8]
	v_add_co_ci_u32_e32 v39, vcc_lo, s9, v4, vcc_lo
	v_mul_lo_u32 v12, s7, v1
	v_mul_lo_u32 v11, s6, v11
	v_mad_u64_u32 v[7:8], null, s6, v1, 0
	v_add_co_u32 v40, vcc_lo, s10, v3
	v_add_co_ci_u32_e32 v41, vcc_lo, s11, v4, vcc_lo
	v_add_co_u32 v42, vcc_lo, s8, v5
	v_add_co_ci_u32_e32 v43, vcc_lo, s9, v6, vcc_lo
	v_add_co_u32 v1, vcc_lo, v9, 2
	v_add3_u32 v8, v8, v11, v12
	v_add_co_ci_u32_e32 v11, vcc_lo, 0, v10, vcc_lo
	v_add_co_u32 v44, vcc_lo, s10, v5
	v_add_co_ci_u32_e32 v45, vcc_lo, s11, v6, vcc_lo
	v_mul_lo_u32 v12, s7, v1
	s_delay_alu instid0(VALU_DEP_4)
	v_mul_lo_u32 v11, s6, v11
	v_mad_u64_u32 v[5:6], null, s6, v1, 0
	v_lshlrev_b64 v[3:4], 1, v[7:8]
	v_mul_lo_u32 v1, s7, v9
	v_mul_lo_u32 v10, s6, v10
	v_mad_u64_u32 v[7:8], null, s6, v9, 0
	s_lshl_b64 s[34:35], s[18:19], 1
	s_delay_alu instid0(VALU_DEP_4)
	v_add_co_u32 v46, vcc_lo, s8, v3
	v_add3_u32 v6, v6, v11, v12
	v_add_co_ci_u32_e32 v47, vcc_lo, s9, v4, vcc_lo
	v_add_co_u32 v48, vcc_lo, s10, v3
	v_add3_u32 v8, v8, v10, v1
	v_add_co_ci_u32_e32 v49, vcc_lo, s11, v4, vcc_lo
	v_lshlrev_b64 v[3:4], 1, v[5:6]
	v_add_co_u32 v5, vcc_lo, v7, s6
	s_delay_alu instid0(VALU_DEP_4) | instskip(SKIP_1) | instid1(VALU_DEP_3)
	v_add_co_ci_u32_e32 v6, vcc_lo, s7, v8, vcc_lo
	s_add_u32 s36, s12, 0xff
	v_add_co_u32 v50, vcc_lo, s8, v3
	s_delay_alu instid0(VALU_DEP_2) | instskip(SKIP_3) | instid1(VALU_DEP_4)
	v_lshlrev_b64 v[5:6], 1, v[5:6]
	v_add_co_ci_u32_e32 v51, vcc_lo, s9, v4, vcc_lo
	v_add_co_u32 v52, vcc_lo, s10, v3
	v_add_co_ci_u32_e32 v53, vcc_lo, s11, v4, vcc_lo
	v_add_co_u32 v54, vcc_lo, s8, v5
	v_lshlrev_b64 v[3:4], 1, v[7:8]
	v_add_co_ci_u32_e32 v55, vcc_lo, s9, v6, vcc_lo
	v_add_co_u32 v56, vcc_lo, s10, v5
	v_add_co_ci_u32_e32 v57, vcc_lo, s11, v6, vcc_lo
	s_delay_alu instid0(VALU_DEP_4)
	v_add_co_u32 v59, vcc_lo, s8, v3
	v_add_co_ci_u32_e32 v60, vcc_lo, s9, v4, vcc_lo
	v_add_co_u32 v61, vcc_lo, s10, v3
	v_add_co_ci_u32_e32 v62, vcc_lo, s11, v4, vcc_lo
	s_addc_u32 s37, 0, 0
.LBB115_3:                              ; =>This Inner Loop Header: Depth=1
	s_delay_alu instid0(SALU_CYCLE_1) | instskip(SKIP_1) | instid1(VALU_DEP_1)
	v_cmp_ge_i64_e64 s3, s[36:37], s[4:5]
	v_add_co_u32 v64, s17, v28, s36
	v_add_co_ci_u32_e64 v65, null, 0, s37, s17
	s_delay_alu instid0(VALU_DEP_3)
	s_and_b32 vcc_lo, exec_lo, s3
	s_cbranch_vccz .LBB115_25
; %bb.4:                                ;   in Loop: Header=BB115_3 Depth=1
	s_load_b32 s3, s[30:31], 0xc
	v_dual_mov_b32 v67, 0 :: v_dual_mov_b32 v66, 0
	s_waitcnt lgkmcnt(0)
	s_and_b32 s3, s3, 0xffff
	s_delay_alu instid0(SALU_CYCLE_1) | instskip(SKIP_1) | instid1(VALU_DEP_1)
	v_mad_u32_u24 v1, v27, s3, v29
	s_mov_b32 s3, exec_lo
	v_and_b32_e32 v1, 31, v1
	s_delay_alu instid0(VALU_DEP_1)
	v_cmpx_gt_u32_e32 8, v1
	s_cbranch_execz .LBB115_8
; %bb.5:                                ;   in Loop: Header=BB115_3 Depth=1
	v_add_co_u32 v1, vcc_lo, v64, v1
	v_add_co_ci_u32_e32 v4, vcc_lo, 0, v65, vcc_lo
	v_dual_mov_b32 v66, 0 :: v_dual_mov_b32 v67, 0
	s_delay_alu instid0(VALU_DEP_3) | instskip(NEXT) | instid1(VALU_DEP_3)
	v_add_co_u32 v3, vcc_lo, 0xffffff01, v1
	v_add_co_ci_u32_e32 v4, vcc_lo, -1, v4, vcc_lo
	s_mov_b32 s17, exec_lo
	s_delay_alu instid0(VALU_DEP_1)
	v_cmpx_gt_i64_e64 s[4:5], v[3:4]
	s_cbranch_execz .LBB115_7
; %bb.6:                                ;   in Loop: Header=BB115_3 Depth=1
	v_lshlrev_b64 v[3:4], 2, v[3:4]
	s_delay_alu instid0(VALU_DEP_1) | instskip(NEXT) | instid1(VALU_DEP_2)
	v_add_co_u32 v5, vcc_lo, s24, v3
	v_add_co_ci_u32_e32 v6, vcc_lo, s25, v4, vcc_lo
	v_add_co_u32 v3, vcc_lo, s26, v3
	v_add_co_ci_u32_e32 v4, vcc_lo, s27, v4, vcc_lo
	global_load_b32 v66, v[5:6], off
	global_load_b32 v67, v[3:4], off
.LBB115_7:                              ;   in Loop: Header=BB115_3 Depth=1
	s_or_b32 exec_lo, exec_lo, s17
.LBB115_8:                              ;   in Loop: Header=BB115_3 Depth=1
	s_delay_alu instid0(SALU_CYCLE_1)
	s_or_b32 exec_lo, exec_lo, s3
	v_add_co_u32 v3, vcc_lo, 0xffffff01, v64
	v_add_co_ci_u32_e32 v4, vcc_lo, -1, v65, vcc_lo
	s_mov_b32 s22, s16
	s_mov_b32 s23, s16
	;; [unrolled: 1-line block ×7, first 2 shown]
	v_dual_mov_b32 v9, s16 :: v_dual_mov_b32 v10, s17
	v_dual_mov_b32 v15, s22 :: v_dual_mov_b32 v16, s23
	;; [unrolled: 1-line block ×4, first 2 shown]
	v_cmp_gt_i64_e32 vcc_lo, s[4:5], v[3:4]
	s_delay_alu instid0(VALU_DEP_4) | instskip(NEXT) | instid1(VALU_DEP_3)
	v_dual_mov_b32 v24, v16 :: v_dual_mov_b32 v23, v15
	v_dual_mov_b32 v21, v13 :: v_dual_mov_b32 v22, v14
	;; [unrolled: 1-line block ×4, first 2 shown]
	s_and_b32 s17, s2, vcc_lo
	s_delay_alu instid0(SALU_CYCLE_1)
	s_and_saveexec_b32 s3, s17
	s_cbranch_execz .LBB115_10
; %bb.9:                                ;   in Loop: Header=BB115_3 Depth=1
	v_add_co_u32 v3, vcc_lo, v59, v25
	v_add_co_ci_u32_e32 v4, vcc_lo, v60, v26, vcc_lo
	v_add_co_u32 v5, vcc_lo, v61, v25
	v_add_co_ci_u32_e32 v6, vcc_lo, v62, v26, vcc_lo
	v_mov_b32_e32 v8, v2
	global_load_u16 v1, v[3:4], off
	global_load_u16 v9, v[5:6], off
	v_mov_b32_e32 v3, v2
	v_mov_b32_e32 v4, v2
	;; [unrolled: 1-line block ×6, first 2 shown]
	s_waitcnt vmcnt(1)
	v_lshlrev_b32_e32 v1, 16, v1
	s_waitcnt vmcnt(0)
	v_lshlrev_b32_e32 v9, 16, v9
	v_dual_mov_b32 v11, v2 :: v_dual_mov_b32 v24, v8
	v_dual_mov_b32 v10, v2 :: v_dual_mov_b32 v23, v7
	;; [unrolled: 1-line block ×6, first 2 shown]
	v_mov_b32_e32 v22, v6
	v_mov_b32_e32 v18, v2
.LBB115_10:                             ;   in Loop: Header=BB115_3 Depth=1
	s_or_b32 exec_lo, exec_lo, s3
	v_add_co_u32 v3, vcc_lo, 0xffffff02, v64
	v_add_co_ci_u32_e32 v4, vcc_lo, -1, v65, vcc_lo
	s_delay_alu instid0(VALU_DEP_1) | instskip(SKIP_1) | instid1(SALU_CYCLE_1)
	v_cmp_gt_i64_e32 vcc_lo, s[4:5], v[3:4]
	s_and_b32 s17, s2, vcc_lo
	s_and_saveexec_b32 s3, s17
	s_cbranch_execz .LBB115_12
; %bb.11:                               ;   in Loop: Header=BB115_3 Depth=1
	v_add_co_u32 v3, vcc_lo, v54, v25
	v_add_co_ci_u32_e32 v4, vcc_lo, v55, v26, vcc_lo
	v_add_co_u32 v5, vcc_lo, v56, v25
	v_add_co_ci_u32_e32 v6, vcc_lo, v57, v26, vcc_lo
	global_load_u16 v1, v[3:4], off
	global_load_u16 v3, v[5:6], off
	s_waitcnt vmcnt(1)
	v_lshlrev_b32_e32 v18, 16, v1
	s_waitcnt vmcnt(0)
	v_lshlrev_b32_e32 v10, 16, v3
.LBB115_12:                             ;   in Loop: Header=BB115_3 Depth=1
	s_or_b32 exec_lo, exec_lo, s3
	v_add_co_u32 v3, vcc_lo, 0xffffff03, v64
	v_add_co_ci_u32_e32 v4, vcc_lo, -1, v65, vcc_lo
	s_delay_alu instid0(VALU_DEP_1) | instskip(SKIP_1) | instid1(SALU_CYCLE_1)
	v_cmp_gt_i64_e32 vcc_lo, s[4:5], v[3:4]
	s_and_b32 s17, s2, vcc_lo
	s_and_saveexec_b32 s3, s17
	s_cbranch_execz .LBB115_14
; %bb.13:                               ;   in Loop: Header=BB115_3 Depth=1
	v_add_co_u32 v3, vcc_lo, v50, v25
	v_add_co_ci_u32_e32 v4, vcc_lo, v51, v26, vcc_lo
	v_add_co_u32 v5, vcc_lo, v52, v25
	v_add_co_ci_u32_e32 v6, vcc_lo, v53, v26, vcc_lo
	global_load_u16 v1, v[3:4], off
	global_load_u16 v3, v[5:6], off
	s_waitcnt vmcnt(1)
	v_lshlrev_b32_e32 v19, 16, v1
	s_waitcnt vmcnt(0)
	v_lshlrev_b32_e32 v11, 16, v3
.LBB115_14:                             ;   in Loop: Header=BB115_3 Depth=1
	;; [unrolled: 20-line block ×7, first 2 shown]
	s_or_b32 exec_lo, exec_lo, s3
	s_waitcnt vmcnt(1)
	ds_bpermute_b32 v1, v2, v66
	ds_bpermute_b32 v3, v2, v66 offset:4
	ds_bpermute_b32 v4, v2, v66 offset:8
	;; [unrolled: 1-line block ×3, first 2 shown]
	s_waitcnt vmcnt(0)
	ds_bpermute_b32 v5, v2, v67
	ds_bpermute_b32 v7, v2, v67 offset:4
	ds_bpermute_b32 v8, v2, v66 offset:16
	;; [unrolled: 1-line block ×5, first 2 shown]
	s_waitcnt lgkmcnt(9)
	v_sub_f32_e32 v1, v9, v1
	s_waitcnt lgkmcnt(7)
	v_dual_add_f32 v9, v58, v17 :: v_dual_sub_f32 v4, v11, v4
	s_waitcnt lgkmcnt(6)
	v_dual_sub_f32 v6, v12, v6 :: v_dual_sub_f32 v3, v10, v3
	v_mul_f32_e32 v1, v17, v1
	ds_bpermute_b32 v10, v2, v67 offset:16
	ds_bpermute_b32 v17, v2, v66 offset:24
	v_mul_f32_e32 v6, v20, v6
	v_dual_mul_f32 v4, v19, v4 :: v_dual_mul_f32 v3, v18, v3
	s_waitcnt lgkmcnt(5)
	v_sub_f32_e32 v8, v13, v8
	v_fma_f32 v1, v1, v5, v63
	ds_bpermute_b32 v5, v2, v67 offset:20
	ds_bpermute_b32 v11, v2, v67 offset:24
	v_dual_mul_f32 v8, v21, v8 :: v_dual_fmac_f32 v1, v3, v7
	v_add_f32_e32 v7, v18, v9
	ds_bpermute_b32 v3, v2, v67 offset:28
	s_waitcnt lgkmcnt(7)
	v_fmac_f32_e32 v1, v4, v68
	v_add_f32_e32 v7, v19, v7
	ds_bpermute_b32 v4, v2, v66 offset:28
	s_waitcnt lgkmcnt(6)
	v_sub_f32_e32 v9, v14, v70
	v_dual_fmac_f32 v1, v6, v69 :: v_dual_add_f32 v6, v20, v7
	s_waitcnt lgkmcnt(4)
	v_sub_f32_e32 v7, v15, v17
	s_delay_alu instid0(VALU_DEP_3) | instskip(NEXT) | instid1(VALU_DEP_3)
	v_mul_f32_e32 v9, v22, v9
	v_fmac_f32_e32 v1, v8, v10
	s_delay_alu instid0(VALU_DEP_3) | instskip(SKIP_1) | instid1(VALU_DEP_2)
	v_dual_add_f32 v6, v21, v6 :: v_dual_mul_f32 v7, v23, v7
	s_waitcnt lgkmcnt(3)
	v_fmac_f32_e32 v1, v9, v5
	s_delay_alu instid0(VALU_DEP_2) | instskip(SKIP_1) | instid1(VALU_DEP_2)
	v_add_f32_e32 v5, v22, v6
	s_waitcnt lgkmcnt(2)
	v_fmac_f32_e32 v1, v7, v11
	s_delay_alu instid0(VALU_DEP_2)
	v_add_f32_e32 v5, v23, v5
	s_branch .LBB115_40
.LBB115_25:                             ;   in Loop: Header=BB115_3 Depth=1
                                        ; implicit-def: $vgpr3
                                        ; implicit-def: $vgpr9_vgpr10_vgpr11_vgpr12_vgpr13_vgpr14_vgpr15_vgpr16
                                        ; implicit-def: $vgpr17_vgpr18_vgpr19_vgpr20_vgpr21_vgpr22_vgpr23_vgpr24
                                        ; implicit-def: $vgpr4
                                        ; implicit-def: $vgpr1
                                        ; implicit-def: $vgpr5
	s_cbranch_execz .LBB115_40
; %bb.26:                               ;   in Loop: Header=BB115_3 Depth=1
	s_load_b32 s3, s[30:31], 0x0
	v_dual_mov_b32 v67, 0 :: v_dual_mov_b32 v66, 0
	s_waitcnt lgkmcnt(0)
	s_cmp_lt_u32 s14, s3
	s_cselect_b32 s3, 12, 18
	s_delay_alu instid0(SALU_CYCLE_1)
	s_add_u32 s18, s30, s3
	s_addc_u32 s19, s31, 0
	s_mov_b32 s3, exec_lo
	global_load_u16 v1, v2, s[18:19]
	s_waitcnt vmcnt(0)
	v_mad_u32_u24 v1, v27, v1, v29
	s_delay_alu instid0(VALU_DEP_1) | instskip(NEXT) | instid1(VALU_DEP_1)
	v_and_b32_e32 v1, 31, v1
	v_cmpx_gt_u32_e32 8, v1
	s_cbranch_execz .LBB115_30
; %bb.27:                               ;   in Loop: Header=BB115_3 Depth=1
	v_add_co_u32 v1, vcc_lo, v64, v1
	v_add_co_ci_u32_e32 v4, vcc_lo, 0, v65, vcc_lo
	v_dual_mov_b32 v66, 0 :: v_dual_mov_b32 v67, 0
	s_delay_alu instid0(VALU_DEP_3) | instskip(NEXT) | instid1(VALU_DEP_3)
	v_add_co_u32 v3, vcc_lo, 0xffffff01, v1
	v_add_co_ci_u32_e32 v4, vcc_lo, -1, v4, vcc_lo
	s_mov_b32 s17, exec_lo
	s_delay_alu instid0(VALU_DEP_1)
	v_cmpx_gt_i64_e64 s[4:5], v[3:4]
	s_cbranch_execz .LBB115_29
; %bb.28:                               ;   in Loop: Header=BB115_3 Depth=1
	v_lshlrev_b64 v[3:4], 2, v[3:4]
	s_delay_alu instid0(VALU_DEP_1) | instskip(NEXT) | instid1(VALU_DEP_2)
	v_add_co_u32 v5, vcc_lo, s24, v3
	v_add_co_ci_u32_e32 v6, vcc_lo, s25, v4, vcc_lo
	v_add_co_u32 v3, vcc_lo, s26, v3
	v_add_co_ci_u32_e32 v4, vcc_lo, s27, v4, vcc_lo
	global_load_b32 v66, v[5:6], off
	global_load_b32 v67, v[3:4], off
.LBB115_29:                             ;   in Loop: Header=BB115_3 Depth=1
	s_or_b32 exec_lo, exec_lo, s17
.LBB115_30:                             ;   in Loop: Header=BB115_3 Depth=1
	s_delay_alu instid0(SALU_CYCLE_1)
	s_or_b32 exec_lo, exec_lo, s3
	s_mov_b32 s22, s16
	s_mov_b32 s23, s16
	;; [unrolled: 1-line block ×7, first 2 shown]
	v_dual_mov_b32 v9, s16 :: v_dual_mov_b32 v10, s17
	v_dual_mov_b32 v15, s22 :: v_dual_mov_b32 v16, s23
	;; [unrolled: 1-line block ×4, first 2 shown]
	s_delay_alu instid0(VALU_DEP_3) | instskip(NEXT) | instid1(VALU_DEP_3)
	v_dual_mov_b32 v24, v16 :: v_dual_mov_b32 v23, v15
	v_dual_mov_b32 v20, v12 :: v_dual_mov_b32 v19, v11
	s_delay_alu instid0(VALU_DEP_3)
	v_dual_mov_b32 v22, v14 :: v_dual_mov_b32 v21, v13
	v_dual_mov_b32 v18, v10 :: v_dual_mov_b32 v17, v9
	s_and_saveexec_b32 s3, s2
	s_cbranch_execnz .LBB115_42
; %bb.31:                               ;   in Loop: Header=BB115_3 Depth=1
	s_or_b32 exec_lo, exec_lo, s3
	s_and_saveexec_b32 s3, s2
	s_cbranch_execnz .LBB115_43
.LBB115_32:                             ;   in Loop: Header=BB115_3 Depth=1
	s_or_b32 exec_lo, exec_lo, s3
	s_and_saveexec_b32 s3, s2
	s_cbranch_execnz .LBB115_44
.LBB115_33:                             ;   in Loop: Header=BB115_3 Depth=1
	s_or_b32 exec_lo, exec_lo, s3
	s_and_saveexec_b32 s3, s2
	s_cbranch_execnz .LBB115_45
.LBB115_34:                             ;   in Loop: Header=BB115_3 Depth=1
	s_or_b32 exec_lo, exec_lo, s3
	s_and_saveexec_b32 s3, s2
	s_cbranch_execnz .LBB115_46
.LBB115_35:                             ;   in Loop: Header=BB115_3 Depth=1
	s_or_b32 exec_lo, exec_lo, s3
	s_and_saveexec_b32 s3, s2
	s_cbranch_execnz .LBB115_47
.LBB115_36:                             ;   in Loop: Header=BB115_3 Depth=1
	s_or_b32 exec_lo, exec_lo, s3
	s_and_saveexec_b32 s3, s2
	s_cbranch_execnz .LBB115_48
.LBB115_37:                             ;   in Loop: Header=BB115_3 Depth=1
	s_or_b32 exec_lo, exec_lo, s3
	s_and_saveexec_b32 s3, s2
	s_cbranch_execz .LBB115_39
.LBB115_38:                             ;   in Loop: Header=BB115_3 Depth=1
	v_add_co_u32 v3, vcc_lo, v30, v25
	v_add_co_ci_u32_e32 v4, vcc_lo, v31, v26, vcc_lo
	v_add_co_u32 v5, vcc_lo, v32, v25
	v_add_co_ci_u32_e32 v6, vcc_lo, v33, v26, vcc_lo
	global_load_u16 v1, v[3:4], off
	global_load_u16 v3, v[5:6], off
	s_waitcnt vmcnt(1)
	v_lshlrev_b32_e32 v24, 16, v1
	s_waitcnt vmcnt(0)
	v_lshlrev_b32_e32 v16, 16, v3
.LBB115_39:                             ;   in Loop: Header=BB115_3 Depth=1
	s_or_b32 exec_lo, exec_lo, s3
	s_waitcnt vmcnt(1)
	ds_bpermute_b32 v1, v2, v66
	ds_bpermute_b32 v3, v2, v66 offset:4
	ds_bpermute_b32 v4, v2, v66 offset:8
	;; [unrolled: 1-line block ×3, first 2 shown]
	s_waitcnt vmcnt(0)
	ds_bpermute_b32 v5, v2, v67
	ds_bpermute_b32 v7, v2, v67 offset:4
	ds_bpermute_b32 v8, v2, v66 offset:16
	;; [unrolled: 1-line block ×4, first 2 shown]
	s_waitcnt lgkmcnt(8)
	v_sub_f32_e32 v1, v9, v1
	ds_bpermute_b32 v9, v2, v67 offset:12
	s_waitcnt lgkmcnt(7)
	v_dual_sub_f32 v4, v11, v4 :: v_dual_sub_f32 v3, v10, v3
	s_waitcnt lgkmcnt(6)
	v_dual_sub_f32 v6, v12, v6 :: v_dual_mul_f32 v1, v17, v1
	s_delay_alu instid0(VALU_DEP_2) | instskip(SKIP_1) | instid1(VALU_DEP_2)
	v_dual_mul_f32 v4, v19, v4 :: v_dual_mul_f32 v3, v18, v3
	s_waitcnt lgkmcnt(5)
	v_dual_mul_f32 v6, v20, v6 :: v_dual_fmac_f32 v63, v1, v5
	v_add_f32_e32 v10, v58, v17
	ds_bpermute_b32 v17, v2, v67 offset:16
	ds_bpermute_b32 v1, v2, v66 offset:24
	;; [unrolled: 1-line block ×3, first 2 shown]
	s_waitcnt lgkmcnt(7)
	v_fmac_f32_e32 v63, v3, v7
	v_add_f32_e32 v3, v18, v10
	s_waitcnt lgkmcnt(4)
	v_sub_f32_e32 v11, v14, v65
	s_delay_alu instid0(VALU_DEP_2)
	v_dual_fmac_f32 v63, v4, v64 :: v_dual_add_f32 v10, v19, v3
	v_sub_f32_e32 v7, v13, v8
	ds_bpermute_b32 v8, v2, v67 offset:24
	ds_bpermute_b32 v3, v2, v67 offset:28
	s_waitcnt lgkmcnt(5)
	v_dual_fmac_f32 v63, v6, v9 :: v_dual_add_f32 v6, v20, v10
	v_mul_f32_e32 v7, v21, v7
	v_mul_f32_e32 v9, v22, v11
	ds_bpermute_b32 v4, v2, v66 offset:28
	s_waitcnt lgkmcnt(5)
	v_dual_add_f32 v6, v21, v6 :: v_dual_fmac_f32 v63, v7, v17
	s_waitcnt lgkmcnt(4)
	v_sub_f32_e32 v1, v15, v1
	s_waitcnt lgkmcnt(3)
	s_delay_alu instid0(VALU_DEP_2) | instskip(NEXT) | instid1(VALU_DEP_2)
	v_fmac_f32_e32 v63, v9, v5
	v_mul_f32_e32 v1, v23, v1
	v_add_f32_e32 v5, v22, v6
	s_waitcnt lgkmcnt(2)
	s_delay_alu instid0(VALU_DEP_2) | instskip(NEXT) | instid1(VALU_DEP_2)
	v_fmac_f32_e32 v63, v1, v8
	v_add_f32_e32 v5, v23, v5
	s_delay_alu instid0(VALU_DEP_2)
	v_mov_b32_e32 v1, v63
.LBB115_40:                             ;   in Loop: Header=BB115_3 Depth=1
	v_add_co_u32 v30, vcc_lo, v30, s34
	v_add_co_ci_u32_e32 v31, vcc_lo, s35, v31, vcc_lo
	v_add_co_u32 v32, vcc_lo, v32, s34
	v_add_co_ci_u32_e32 v33, vcc_lo, s35, v33, vcc_lo
	v_add_co_u32 v34, vcc_lo, v34, s34
	v_add_co_ci_u32_e32 v35, vcc_lo, s35, v35, vcc_lo
	v_add_co_u32 v36, vcc_lo, v36, s34
	v_add_co_ci_u32_e32 v37, vcc_lo, s35, v37, vcc_lo
	v_add_co_u32 v38, vcc_lo, v38, s34
	v_add_co_ci_u32_e32 v39, vcc_lo, s35, v39, vcc_lo
	v_add_co_u32 v40, vcc_lo, v40, s34
	v_add_co_ci_u32_e32 v41, vcc_lo, s35, v41, vcc_lo
	v_add_co_u32 v42, vcc_lo, v42, s34
	v_add_co_ci_u32_e32 v43, vcc_lo, s35, v43, vcc_lo
	v_add_co_u32 v44, vcc_lo, v44, s34
	v_add_co_ci_u32_e32 v45, vcc_lo, s35, v45, vcc_lo
	v_add_co_u32 v46, vcc_lo, v46, s34
	v_add_co_ci_u32_e32 v47, vcc_lo, s35, v47, vcc_lo
	v_add_co_u32 v48, vcc_lo, v48, s34
	v_add_co_ci_u32_e32 v49, vcc_lo, s35, v49, vcc_lo
	v_add_co_u32 v50, vcc_lo, v50, s34
	v_add_co_ci_u32_e32 v51, vcc_lo, s35, v51, vcc_lo
	v_add_co_u32 v52, vcc_lo, v52, s34
	v_add_co_ci_u32_e32 v53, vcc_lo, s35, v53, vcc_lo
	v_add_co_u32 v54, vcc_lo, v54, s34
	s_waitcnt lgkmcnt(0)
	v_sub_f32_e32 v4, v16, v4
	v_add_co_ci_u32_e32 v55, vcc_lo, s35, v55, vcc_lo
	v_add_co_u32 v56, vcc_lo, v56, s34
	s_add_u32 s38, s38, s28
	v_add_co_ci_u32_e32 v57, vcc_lo, s35, v57, vcc_lo
	v_mul_f32_e32 v4, v24, v4
	s_addc_u32 s39, s39, 0
	v_add_co_u32 v59, vcc_lo, v59, s34
	v_cmp_lt_i64_e64 s3, s[38:39], s[4:5]
	v_add_co_ci_u32_e32 v60, vcc_lo, s35, v60, vcc_lo
	v_add_co_u32 v61, vcc_lo, v61, s34
	v_dual_add_f32 v58, v5, v24 :: v_dual_fmac_f32 v1, v4, v3
	v_add_co_ci_u32_e32 v62, vcc_lo, s35, v62, vcc_lo
	s_add_u32 s36, s36, s28
	s_addc_u32 s37, s37, 0
	s_and_b32 vcc_lo, exec_lo, s3
	s_cbranch_vccz .LBB115_50
; %bb.41:                               ;   in Loop: Header=BB115_3 Depth=1
	v_mov_b32_e32 v63, v1
	s_branch .LBB115_3
.LBB115_42:                             ;   in Loop: Header=BB115_3 Depth=1
	v_add_co_u32 v3, vcc_lo, v59, v25
	v_add_co_ci_u32_e32 v4, vcc_lo, v60, v26, vcc_lo
	v_add_co_u32 v5, vcc_lo, v61, v25
	v_add_co_ci_u32_e32 v6, vcc_lo, v62, v26, vcc_lo
	v_mov_b32_e32 v8, v2
	global_load_u16 v1, v[3:4], off
	global_load_u16 v9, v[5:6], off
	v_mov_b32_e32 v3, v2
	v_mov_b32_e32 v4, v2
	;; [unrolled: 1-line block ×6, first 2 shown]
	s_waitcnt vmcnt(1)
	v_lshlrev_b32_e32 v1, 16, v1
	s_waitcnt vmcnt(0)
	v_lshlrev_b32_e32 v9, 16, v9
	v_dual_mov_b32 v11, v2 :: v_dual_mov_b32 v24, v8
	v_dual_mov_b32 v10, v2 :: v_dual_mov_b32 v23, v7
	;; [unrolled: 1-line block ×6, first 2 shown]
	v_mov_b32_e32 v22, v6
	v_mov_b32_e32 v18, v2
	s_or_b32 exec_lo, exec_lo, s3
	s_and_saveexec_b32 s3, s2
	s_cbranch_execz .LBB115_32
.LBB115_43:                             ;   in Loop: Header=BB115_3 Depth=1
	v_add_co_u32 v3, vcc_lo, v54, v25
	v_add_co_ci_u32_e32 v4, vcc_lo, v55, v26, vcc_lo
	v_add_co_u32 v5, vcc_lo, v56, v25
	v_add_co_ci_u32_e32 v6, vcc_lo, v57, v26, vcc_lo
	global_load_u16 v1, v[3:4], off
	global_load_u16 v3, v[5:6], off
	s_waitcnt vmcnt(1)
	v_lshlrev_b32_e32 v18, 16, v1
	s_waitcnt vmcnt(0)
	v_lshlrev_b32_e32 v10, 16, v3
	s_or_b32 exec_lo, exec_lo, s3
	s_and_saveexec_b32 s3, s2
	s_cbranch_execz .LBB115_33
.LBB115_44:                             ;   in Loop: Header=BB115_3 Depth=1
	v_add_co_u32 v3, vcc_lo, v50, v25
	v_add_co_ci_u32_e32 v4, vcc_lo, v51, v26, vcc_lo
	v_add_co_u32 v5, vcc_lo, v52, v25
	v_add_co_ci_u32_e32 v6, vcc_lo, v53, v26, vcc_lo
	global_load_u16 v1, v[3:4], off
	global_load_u16 v3, v[5:6], off
	s_waitcnt vmcnt(1)
	v_lshlrev_b32_e32 v19, 16, v1
	s_waitcnt vmcnt(0)
	v_lshlrev_b32_e32 v11, 16, v3
	s_or_b32 exec_lo, exec_lo, s3
	s_and_saveexec_b32 s3, s2
	s_cbranch_execz .LBB115_34
.LBB115_45:                             ;   in Loop: Header=BB115_3 Depth=1
	v_add_co_u32 v3, vcc_lo, v46, v25
	v_add_co_ci_u32_e32 v4, vcc_lo, v47, v26, vcc_lo
	v_add_co_u32 v5, vcc_lo, v48, v25
	v_add_co_ci_u32_e32 v6, vcc_lo, v49, v26, vcc_lo
	global_load_u16 v1, v[3:4], off
	global_load_u16 v3, v[5:6], off
	s_waitcnt vmcnt(1)
	v_lshlrev_b32_e32 v20, 16, v1
	s_waitcnt vmcnt(0)
	v_lshlrev_b32_e32 v12, 16, v3
	s_or_b32 exec_lo, exec_lo, s3
	s_and_saveexec_b32 s3, s2
	s_cbranch_execz .LBB115_35
.LBB115_46:                             ;   in Loop: Header=BB115_3 Depth=1
	v_add_co_u32 v3, vcc_lo, v42, v25
	v_add_co_ci_u32_e32 v4, vcc_lo, v43, v26, vcc_lo
	v_add_co_u32 v5, vcc_lo, v44, v25
	v_add_co_ci_u32_e32 v6, vcc_lo, v45, v26, vcc_lo
	global_load_u16 v1, v[3:4], off
	global_load_u16 v3, v[5:6], off
	s_waitcnt vmcnt(1)
	v_lshlrev_b32_e32 v21, 16, v1
	s_waitcnt vmcnt(0)
	v_lshlrev_b32_e32 v13, 16, v3
	s_or_b32 exec_lo, exec_lo, s3
	s_and_saveexec_b32 s3, s2
	s_cbranch_execz .LBB115_36
.LBB115_47:                             ;   in Loop: Header=BB115_3 Depth=1
	v_add_co_u32 v3, vcc_lo, v38, v25
	v_add_co_ci_u32_e32 v4, vcc_lo, v39, v26, vcc_lo
	v_add_co_u32 v5, vcc_lo, v40, v25
	v_add_co_ci_u32_e32 v6, vcc_lo, v41, v26, vcc_lo
	global_load_u16 v1, v[3:4], off
	global_load_u16 v3, v[5:6], off
	s_waitcnt vmcnt(1)
	v_lshlrev_b32_e32 v22, 16, v1
	s_waitcnt vmcnt(0)
	v_lshlrev_b32_e32 v14, 16, v3
	s_or_b32 exec_lo, exec_lo, s3
	s_and_saveexec_b32 s3, s2
	s_cbranch_execz .LBB115_37
.LBB115_48:                             ;   in Loop: Header=BB115_3 Depth=1
	v_add_co_u32 v3, vcc_lo, v34, v25
	v_add_co_ci_u32_e32 v4, vcc_lo, v35, v26, vcc_lo
	v_add_co_u32 v5, vcc_lo, v36, v25
	v_add_co_ci_u32_e32 v6, vcc_lo, v37, v26, vcc_lo
	global_load_u16 v1, v[3:4], off
	global_load_u16 v3, v[5:6], off
	s_waitcnt vmcnt(1)
	v_lshlrev_b32_e32 v23, 16, v1
	s_waitcnt vmcnt(0)
	v_lshlrev_b32_e32 v15, 16, v3
	s_or_b32 exec_lo, exec_lo, s3
	s_and_saveexec_b32 s3, s2
	s_cbranch_execnz .LBB115_38
	s_branch .LBB115_39
.LBB115_49:
	s_mov_b32 s29, -1
                                        ; implicit-def: $vgpr1
                                        ; implicit-def: $vgpr58
.LBB115_50:
	s_delay_alu instid0(SALU_CYCLE_1)
	s_and_not1_b32 vcc_lo, exec_lo, s29
	s_cbranch_vccnz .LBB115_83
; %bb.51:
	v_dual_mov_b32 v1, 0 :: v_dual_mov_b32 v58, 0
	s_and_not1_b32 vcc_lo, exec_lo, s15
	s_mov_b32 s16, 0
	s_cbranch_vccnz .LBB115_83
; %bb.52:
	s_load_b32 s2, s[0:1], 0x44
	v_dual_mov_b32 v2, 0 :: v_dual_and_b32 v55, 0x3ff, v0
	v_bfe_u32 v56, v0, 10, 10
	s_add_u32 s28, s0, 64
	s_addc_u32 s29, s1, 0
	s_delay_alu instid0(VALU_DEP_2) | instskip(NEXT) | instid1(VALU_DEP_2)
	v_dual_mov_b32 v92, 0 :: v_dual_add_nc_u32 v1, s33, v55
	v_lshlrev_b32_e32 v3, 4, v56
	v_lshlrev_b32_e32 v57, 3, v56
	v_mov_b32_e32 v91, 0
	s_delay_alu instid0(VALU_DEP_4)
	v_lshlrev_b64 v[25:26], 1, v[1:2]
	s_waitcnt lgkmcnt(0)
	s_lshl_b32 s15, s2, 8
	s_add_u32 s30, s12, 0xff
	s_addc_u32 s31, 0, 0
	s_lshl_b64 s[2:3], s[12:13], 1
	s_mul_i32 s17, s7, s15
	v_add_co_u32 v1, s2, v3, s2
	s_delay_alu instid0(VALU_DEP_1) | instskip(SKIP_1) | instid1(VALU_DEP_3)
	v_add_co_ci_u32_e64 v3, null, 0, s3, s2
	v_add_co_u32 v58, s3, v57, s12
	v_add_co_u32 v7, vcc_lo, v1, 2
	s_delay_alu instid0(VALU_DEP_3) | instskip(SKIP_3) | instid1(VALU_DEP_4)
	v_add_co_ci_u32_e32 v4, vcc_lo, 0, v3, vcc_lo
	v_add_co_u32 v8, vcc_lo, v1, 4
	v_add_co_ci_u32_e32 v5, vcc_lo, 0, v3, vcc_lo
	v_add_co_u32 v11, vcc_lo, v1, 6
	v_mul_lo_u32 v9, s6, v4
	v_add_co_ci_u32_e32 v4, vcc_lo, 0, v3, vcc_lo
	v_add_co_u32 v14, vcc_lo, v1, 8
	v_mul_lo_u32 v12, s6, v5
	;; [unrolled: 3-line block ×4, first 2 shown]
	v_add_co_ci_u32_e32 v5, vcc_lo, 0, v3, vcc_lo
	v_add_co_ci_u32_e64 v75, null, 0, 0, s3
	v_add_co_u32 v1, vcc_lo, v1, 14
	v_mul_lo_u32 v21, s6, v4
	s_delay_alu instid0(VALU_DEP_4) | instskip(SKIP_4) | instid1(VALU_DEP_4)
	v_mul_lo_u32 v23, s6, v5
	v_add_co_ci_u32_e32 v5, vcc_lo, 0, v3, vcc_lo
	v_mul_lo_u32 v6, s7, v58
	v_mul_lo_u32 v41, s6, v75
	v_mad_u64_u32 v[3:4], null, s6, v58, 0
	v_mul_lo_u32 v61, s6, v5
	v_mad_u64_u32 v[27:28], null, s6, v7, s[8:9]
	;; [unrolled: 2-line block ×3, first 2 shown]
	v_add3_u32 v4, v4, v41, v6
	v_mad_u64_u32 v[41:42], null, s6, v7, s[10:11]
	v_mul_lo_u32 v13, s7, v8
	v_mad_u64_u32 v[43:44], null, s6, v8, s[10:11]
	s_delay_alu instid0(VALU_DEP_4)
	v_lshlrev_b64 v[5:6], 1, v[3:4]
	v_add3_u32 v28, v10, v28, v9
	v_mad_u64_u32 v[31:32], null, s6, v11, s[8:9]
	v_add3_u32 v42, v10, v42, v9
	v_add3_u32 v30, v13, v30, v12
	v_add_co_u32 v59, vcc_lo, s8, v5
	v_add_co_ci_u32_e32 v60, vcc_lo, s9, v6, vcc_lo
	v_add_co_u32 v9, vcc_lo, v58, 7
	v_add_co_ci_u32_e32 v7, vcc_lo, 0, v75, vcc_lo
	v_add3_u32 v44, v13, v44, v12
	v_add_co_u32 v12, vcc_lo, v58, 6
	v_mul_lo_u32 v16, s7, v11
	v_mad_u64_u32 v[39:40], null, s6, v1, s[8:9]
	v_mul_lo_u32 v62, s7, v1
	v_mad_u64_u32 v[45:46], null, s6, v11, s[10:11]
	v_mad_u64_u32 v[53:54], null, s6, v1, s[10:11]
	v_mul_lo_u32 v1, s7, v9
	v_mul_lo_u32 v11, s6, v7
	v_mad_u64_u32 v[7:8], null, s6, v9, 0
	v_add_co_ci_u32_e32 v10, vcc_lo, 0, v75, vcc_lo
	v_mad_u64_u32 v[33:34], null, s6, v14, s[8:9]
	v_mul_lo_u32 v19, s7, v14
	v_mad_u64_u32 v[47:48], null, s6, v14, s[10:11]
	v_mul_lo_u32 v13, s7, v12
	v_mul_lo_u32 v14, s6, v10
	v_mad_u64_u32 v[9:10], null, s6, v12, 0
	v_add3_u32 v8, v8, v11, v1
	v_add3_u32 v40, v62, v40, v61
	;; [unrolled: 1-line block ×3, first 2 shown]
	v_add_co_u32 v61, vcc_lo, s10, v5
	v_add_co_ci_u32_e32 v62, vcc_lo, s11, v6, vcc_lo
	v_lshlrev_b64 v[5:6], 1, v[7:8]
	v_add3_u32 v10, v10, v14, v13
	v_add_co_u32 v1, vcc_lo, v58, 5
	v_add_co_ci_u32_e32 v11, vcc_lo, 0, v75, vcc_lo
	s_delay_alu instid0(VALU_DEP_4) | instskip(NEXT) | instid1(VALU_DEP_4)
	v_add_co_u32 v63, vcc_lo, s8, v5
	v_lshlrev_b64 v[7:8], 1, v[9:10]
	v_add_co_ci_u32_e32 v64, vcc_lo, s9, v6, vcc_lo
	v_mul_lo_u32 v12, s7, v1
	v_mul_lo_u32 v11, s6, v11
	v_mad_u64_u32 v[9:10], null, s6, v1, 0
	v_add_co_u32 v65, vcc_lo, s10, v5
	v_add_co_ci_u32_e32 v66, vcc_lo, s11, v6, vcc_lo
	v_add_co_u32 v67, vcc_lo, s8, v7
	v_add_co_ci_u32_e32 v68, vcc_lo, s9, v8, vcc_lo
	s_mul_hi_u32 s2, s6, s15
	v_add_co_u32 v1, vcc_lo, v58, 4
	v_add3_u32 v10, v10, v11, v12
	s_add_i32 s3, s2, s17
	v_add_co_u32 v69, s2, s10, v7
	v_add_co_ci_u32_e32 v7, vcc_lo, 0, v75, vcc_lo
	v_add_co_u32 v12, vcc_lo, v58, 3
	v_lshlrev_b64 v[5:6], 1, v[9:10]
	v_add_co_ci_u32_e32 v9, vcc_lo, 0, v75, vcc_lo
	v_add_co_ci_u32_e64 v70, s2, s11, v8, s2
	v_mul_lo_u32 v11, s7, v1
	v_mul_lo_u32 v13, s6, v7
	v_mad_u64_u32 v[7:8], null, s6, v1, 0
	v_mul_lo_u32 v1, s7, v12
	v_mul_lo_u32 v14, s6, v9
	v_mad_u64_u32 v[9:10], null, s6, v12, 0
	v_add_co_u32 v71, vcc_lo, s8, v5
	v_add_co_ci_u32_e32 v72, vcc_lo, s9, v6, vcc_lo
	v_add3_u32 v8, v8, v13, v11
	v_add_co_u32 v73, vcc_lo, s10, v5
	v_add_co_ci_u32_e32 v74, vcc_lo, s11, v6, vcc_lo
	v_add3_u32 v10, v10, v14, v1
	v_add_co_u32 v1, vcc_lo, v58, 2
	v_lshlrev_b64 v[5:6], 1, v[7:8]
	v_add_co_ci_u32_e32 v11, vcc_lo, 0, v75, vcc_lo
	s_delay_alu instid0(VALU_DEP_4) | instskip(NEXT) | instid1(VALU_DEP_4)
	v_lshlrev_b64 v[7:8], 1, v[9:10]
	v_mul_lo_u32 v12, s7, v1
	v_mad_u64_u32 v[9:10], null, s6, v1, 0
	v_add_co_u32 v75, vcc_lo, s8, v5
	v_mul_lo_u32 v11, s6, v11
	v_add_co_ci_u32_e32 v76, vcc_lo, s9, v6, vcc_lo
	v_add_co_u32 v77, vcc_lo, s10, v5
	v_add_co_ci_u32_e32 v78, vcc_lo, s11, v6, vcc_lo
	v_add_co_u32 v79, vcc_lo, s8, v7
	v_add_co_ci_u32_e32 v80, vcc_lo, s9, v8, vcc_lo
	v_add3_u32 v10, v10, v11, v12
	v_add_co_u32 v81, vcc_lo, s10, v7
	v_add_co_ci_u32_e32 v82, vcc_lo, s11, v8, vcc_lo
	v_add_co_u32 v3, vcc_lo, v3, s6
	s_delay_alu instid0(VALU_DEP_4) | instskip(SKIP_3) | instid1(VALU_DEP_4)
	v_lshlrev_b64 v[5:6], 1, v[9:10]
	v_add_co_ci_u32_e32 v4, vcc_lo, s7, v4, vcc_lo
	v_mad_u64_u32 v[35:36], null, s6, v18, s[8:9]
	v_mul_lo_u32 v22, s7, v18
	v_add_co_u32 v83, vcc_lo, s8, v5
	s_delay_alu instid0(VALU_DEP_4)
	v_lshlrev_b64 v[3:4], 1, v[3:4]
	v_add_co_ci_u32_e32 v84, vcc_lo, s9, v6, vcc_lo
	v_mad_u64_u32 v[37:38], null, s6, v20, s[8:9]
	v_mul_lo_u32 v24, s7, v20
	v_mad_u64_u32 v[49:50], null, s6, v18, s[10:11]
	v_mad_u64_u32 v[51:52], null, s6, v20, s[10:11]
	v_add_co_u32 v85, vcc_lo, s10, v5
	v_add_co_ci_u32_e32 v86, vcc_lo, s11, v6, vcc_lo
	v_add_co_u32 v87, vcc_lo, s8, v3
	v_add_co_ci_u32_e32 v88, vcc_lo, s9, v4, vcc_lo
	v_add_co_u32 v89, vcc_lo, s10, v3
	v_add3_u32 v32, v16, v32, v15
	v_add3_u32 v34, v19, v34, v17
	v_add3_u32 v36, v22, v36, v21
	v_add3_u32 v38, v24, v38, v23
	v_add3_u32 v46, v16, v46, v15
	v_add3_u32 v48, v19, v48, v17
	v_add3_u32 v50, v22, v50, v21
	v_add3_u32 v52, v24, v52, v23
	v_add_co_ci_u32_e32 v90, vcc_lo, s11, v4, vcc_lo
	s_mul_i32 s2, s6, s15
	s_delay_alu instid0(SALU_CYCLE_1)
	s_lshl_b64 s[2:3], s[2:3], 1
.LBB115_53:                             ; =>This Inner Loop Header: Depth=1
	v_cmp_ge_i64_e64 s8, s[30:31], s[4:5]
	v_add_co_u32 v93, s9, v57, s30
	s_delay_alu instid0(VALU_DEP_1) | instskip(NEXT) | instid1(VALU_DEP_3)
	v_add_co_ci_u32_e64 v94, null, 0, s31, s9
	s_and_b32 vcc_lo, exec_lo, s8
	s_cbranch_vccz .LBB115_75
; %bb.54:                               ;   in Loop: Header=BB115_53 Depth=1
	s_load_b32 s8, s[28:29], 0xc
	v_dual_mov_b32 v95, 0 :: v_dual_mov_b32 v58, 0
	s_waitcnt lgkmcnt(0)
	s_and_b32 s8, s8, 0xffff
	s_delay_alu instid0(SALU_CYCLE_1) | instskip(SKIP_1) | instid1(VALU_DEP_1)
	v_mad_u32_u24 v1, v56, s8, v55
	s_mov_b32 s8, exec_lo
	v_and_b32_e32 v1, 31, v1
	s_delay_alu instid0(VALU_DEP_1)
	v_cmpx_gt_u32_e32 8, v1
	s_cbranch_execz .LBB115_58
; %bb.55:                               ;   in Loop: Header=BB115_53 Depth=1
	v_add_co_u32 v1, vcc_lo, v93, v1
	v_add_co_ci_u32_e32 v4, vcc_lo, 0, v94, vcc_lo
	v_dual_mov_b32 v58, 0 :: v_dual_mov_b32 v95, 0
	s_delay_alu instid0(VALU_DEP_3) | instskip(NEXT) | instid1(VALU_DEP_3)
	v_add_co_u32 v3, vcc_lo, 0xffffff01, v1
	v_add_co_ci_u32_e32 v4, vcc_lo, -1, v4, vcc_lo
	s_mov_b32 s9, exec_lo
	s_delay_alu instid0(VALU_DEP_1)
	v_cmpx_gt_i64_e64 s[4:5], v[3:4]
	s_cbranch_execz .LBB115_57
; %bb.56:                               ;   in Loop: Header=BB115_53 Depth=1
	v_lshlrev_b64 v[3:4], 2, v[3:4]
	s_delay_alu instid0(VALU_DEP_1) | instskip(NEXT) | instid1(VALU_DEP_2)
	v_add_co_u32 v5, vcc_lo, s24, v3
	v_add_co_ci_u32_e32 v6, vcc_lo, s25, v4, vcc_lo
	v_add_co_u32 v3, vcc_lo, s26, v3
	v_add_co_ci_u32_e32 v4, vcc_lo, s27, v4, vcc_lo
	global_load_b32 v58, v[5:6], off
	global_load_b32 v95, v[3:4], off
.LBB115_57:                             ;   in Loop: Header=BB115_53 Depth=1
	s_or_b32 exec_lo, exec_lo, s9
.LBB115_58:                             ;   in Loop: Header=BB115_53 Depth=1
	s_delay_alu instid0(SALU_CYCLE_1)
	s_or_b32 exec_lo, exec_lo, s8
	s_mov_b32 s22, s16
	s_mov_b32 s23, s16
	;; [unrolled: 1-line block ×7, first 2 shown]
	v_dual_mov_b32 v9, s16 :: v_dual_mov_b32 v10, s17
	v_dual_mov_b32 v15, s22 :: v_dual_mov_b32 v16, s23
	;; [unrolled: 1-line block ×4, first 2 shown]
	v_add_co_u32 v3, vcc_lo, 0xffffff01, v93
	s_delay_alu instid0(VALU_DEP_4) | instskip(SKIP_1) | instid1(VALU_DEP_4)
	v_dual_mov_b32 v24, v16 :: v_dual_mov_b32 v23, v15
	v_add_co_ci_u32_e32 v4, vcc_lo, -1, v94, vcc_lo
	v_dual_mov_b32 v22, v14 :: v_dual_mov_b32 v21, v13
	v_dual_mov_b32 v20, v12 :: v_dual_mov_b32 v19, v11
	;; [unrolled: 1-line block ×3, first 2 shown]
	s_mov_b32 s8, exec_lo
	v_cmpx_gt_i64_e64 s[4:5], v[3:4]
	s_cbranch_execz .LBB115_60
; %bb.59:                               ;   in Loop: Header=BB115_53 Depth=1
	v_add_co_u32 v3, vcc_lo, v59, v25
	v_add_co_ci_u32_e32 v4, vcc_lo, v60, v26, vcc_lo
	v_add_co_u32 v5, vcc_lo, v61, v25
	v_add_co_ci_u32_e32 v6, vcc_lo, v62, v26, vcc_lo
	v_mov_b32_e32 v8, v2
	global_load_u16 v1, v[3:4], off
	global_load_u16 v9, v[5:6], off
	v_mov_b32_e32 v3, v2
	v_mov_b32_e32 v4, v2
	;; [unrolled: 1-line block ×6, first 2 shown]
	s_waitcnt vmcnt(1)
	v_lshlrev_b32_e32 v1, 16, v1
	s_waitcnt vmcnt(0)
	v_lshlrev_b32_e32 v9, 16, v9
	v_dual_mov_b32 v11, v2 :: v_dual_mov_b32 v24, v8
	v_dual_mov_b32 v10, v2 :: v_dual_mov_b32 v23, v7
	;; [unrolled: 1-line block ×6, first 2 shown]
	v_mov_b32_e32 v22, v6
	v_mov_b32_e32 v18, v2
.LBB115_60:                             ;   in Loop: Header=BB115_53 Depth=1
	s_or_b32 exec_lo, exec_lo, s8
	v_add_co_u32 v3, vcc_lo, 0xffffff02, v93
	v_add_co_ci_u32_e32 v4, vcc_lo, -1, v94, vcc_lo
	s_mov_b32 s8, exec_lo
	s_delay_alu instid0(VALU_DEP_1)
	v_cmpx_gt_i64_e64 s[4:5], v[3:4]
	s_cbranch_execz .LBB115_62
; %bb.61:                               ;   in Loop: Header=BB115_53 Depth=1
	v_add_co_u32 v3, vcc_lo, v87, v25
	v_add_co_ci_u32_e32 v4, vcc_lo, v88, v26, vcc_lo
	v_add_co_u32 v5, vcc_lo, v89, v25
	v_add_co_ci_u32_e32 v6, vcc_lo, v90, v26, vcc_lo
	global_load_u16 v1, v[3:4], off
	global_load_u16 v3, v[5:6], off
	s_waitcnt vmcnt(1)
	v_lshlrev_b32_e32 v18, 16, v1
	s_waitcnt vmcnt(0)
	v_lshlrev_b32_e32 v10, 16, v3
.LBB115_62:                             ;   in Loop: Header=BB115_53 Depth=1
	s_or_b32 exec_lo, exec_lo, s8
	v_add_co_u32 v3, vcc_lo, 0xffffff03, v93
	v_add_co_ci_u32_e32 v4, vcc_lo, -1, v94, vcc_lo
	s_mov_b32 s8, exec_lo
	s_delay_alu instid0(VALU_DEP_1)
	v_cmpx_gt_i64_e64 s[4:5], v[3:4]
	s_cbranch_execz .LBB115_64
; %bb.63:                               ;   in Loop: Header=BB115_53 Depth=1
	v_add_co_u32 v3, vcc_lo, v83, v25
	v_add_co_ci_u32_e32 v4, vcc_lo, v84, v26, vcc_lo
	v_add_co_u32 v5, vcc_lo, v85, v25
	v_add_co_ci_u32_e32 v6, vcc_lo, v86, v26, vcc_lo
	global_load_u16 v1, v[3:4], off
	global_load_u16 v3, v[5:6], off
	s_waitcnt vmcnt(1)
	v_lshlrev_b32_e32 v19, 16, v1
	s_waitcnt vmcnt(0)
	v_lshlrev_b32_e32 v11, 16, v3
.LBB115_64:                             ;   in Loop: Header=BB115_53 Depth=1
	;; [unrolled: 19-line block ×7, first 2 shown]
	s_or_b32 exec_lo, exec_lo, s8
	s_waitcnt vmcnt(1)
	ds_bpermute_b32 v3, v2, v58
	s_waitcnt vmcnt(0)
	ds_bpermute_b32 v1, v2, v95
	ds_bpermute_b32 v5, v2, v58 offset:4
	ds_bpermute_b32 v4, v2, v95 offset:4
	s_waitcnt lgkmcnt(3)
	v_sub_f32_e32 v3, v9, v3
	s_delay_alu instid0(VALU_DEP_1) | instskip(SKIP_1) | instid1(VALU_DEP_1)
	v_mul_f32_e32 v3, v17, v3
	s_waitcnt lgkmcnt(2)
	v_fma_f32 v1, v3, v1, v91
	v_add_f32_e32 v3, v92, v17
	s_delay_alu instid0(VALU_DEP_1) | instskip(NEXT) | instid1(VALU_DEP_1)
	v_add_f32_e32 v3, v18, v3
	v_add_f32_e32 v3, v19, v3
	s_delay_alu instid0(VALU_DEP_1) | instskip(NEXT) | instid1(VALU_DEP_1)
	v_add_f32_e32 v3, v20, v3
	;; [unrolled: 3-line block ×3, first 2 shown]
	v_add_f32_e32 v3, v23, v3
	s_waitcnt lgkmcnt(1)
	v_sub_f32_e32 v5, v10, v5
	s_delay_alu instid0(VALU_DEP_1) | instskip(SKIP_1) | instid1(VALU_DEP_1)
	v_mul_f32_e32 v5, v18, v5
	s_waitcnt lgkmcnt(0)
	v_fmac_f32_e32 v1, v5, v4
	ds_bpermute_b32 v5, v2, v58 offset:8
	ds_bpermute_b32 v4, v2, v95 offset:8
	s_waitcnt lgkmcnt(1)
	v_sub_f32_e32 v5, v11, v5
	s_delay_alu instid0(VALU_DEP_1) | instskip(SKIP_1) | instid1(VALU_DEP_1)
	v_mul_f32_e32 v5, v19, v5
	s_waitcnt lgkmcnt(0)
	v_fmac_f32_e32 v1, v5, v4
	ds_bpermute_b32 v5, v2, v58 offset:12
	ds_bpermute_b32 v4, v2, v95 offset:12
	;; [unrolled: 8-line block ×5, first 2 shown]
	s_waitcnt lgkmcnt(1)
	v_sub_f32_e32 v5, v15, v5
	s_delay_alu instid0(VALU_DEP_1) | instskip(SKIP_1) | instid1(VALU_DEP_1)
	v_mul_f32_e32 v5, v23, v5
	s_waitcnt lgkmcnt(0)
	v_fmac_f32_e32 v1, v5, v4
	ds_bpermute_b32 v5, v2, v58 offset:28
	v_add_f32_e32 v58, v24, v3
	ds_bpermute_b32 v4, v2, v95 offset:28
	s_waitcnt lgkmcnt(1)
	v_sub_f32_e32 v5, v16, v5
	s_delay_alu instid0(VALU_DEP_1) | instskip(SKIP_1) | instid1(VALU_DEP_1)
	v_mul_f32_e32 v5, v24, v5
	s_waitcnt lgkmcnt(0)
	v_fmac_f32_e32 v1, v5, v4
	s_branch .LBB115_81
.LBB115_75:                             ;   in Loop: Header=BB115_53 Depth=1
                                        ; implicit-def: $vgpr58
                                        ; implicit-def: $vgpr1
	s_cbranch_execz .LBB115_81
; %bb.76:                               ;   in Loop: Header=BB115_53 Depth=1
	s_load_b32 s8, s[28:29], 0x0
	v_mov_b32_e32 v5, 0
	s_waitcnt lgkmcnt(0)
	s_cmp_lt_u32 s14, s8
	s_cselect_b32 s8, 12, 18
	s_delay_alu instid0(SALU_CYCLE_1)
	s_add_u32 s8, s28, s8
	s_addc_u32 s9, s29, 0
	global_load_u16 v1, v2, s[8:9]
	s_mov_b32 s8, exec_lo
	s_waitcnt vmcnt(0)
	v_mad_u32_u24 v1, v56, v1, v55
	s_delay_alu instid0(VALU_DEP_1) | instskip(SKIP_1) | instid1(VALU_DEP_2)
	v_and_b32_e32 v3, 31, v1
	v_mov_b32_e32 v1, 0
	v_cmpx_gt_u32_e32 8, v3
	s_cbranch_execz .LBB115_80
; %bb.77:                               ;   in Loop: Header=BB115_53 Depth=1
	v_add_co_u32 v1, vcc_lo, v93, v3
	v_add_co_ci_u32_e32 v4, vcc_lo, 0, v94, vcc_lo
	v_mov_b32_e32 v5, 0
	s_delay_alu instid0(VALU_DEP_3) | instskip(NEXT) | instid1(VALU_DEP_3)
	v_add_co_u32 v3, vcc_lo, 0xffffff01, v1
	v_add_co_ci_u32_e32 v4, vcc_lo, -1, v4, vcc_lo
	v_mov_b32_e32 v1, 0
	s_mov_b32 s9, exec_lo
	s_delay_alu instid0(VALU_DEP_2)
	v_cmpx_gt_i64_e64 s[4:5], v[3:4]
	s_cbranch_execz .LBB115_79
; %bb.78:                               ;   in Loop: Header=BB115_53 Depth=1
	v_lshlrev_b64 v[3:4], 2, v[3:4]
	s_delay_alu instid0(VALU_DEP_1) | instskip(NEXT) | instid1(VALU_DEP_2)
	v_add_co_u32 v5, vcc_lo, s24, v3
	v_add_co_ci_u32_e32 v6, vcc_lo, s25, v4, vcc_lo
	v_add_co_u32 v3, vcc_lo, s26, v3
	v_add_co_ci_u32_e32 v4, vcc_lo, s27, v4, vcc_lo
	global_load_b32 v1, v[5:6], off
	global_load_b32 v5, v[3:4], off
.LBB115_79:                             ;   in Loop: Header=BB115_53 Depth=1
	s_or_b32 exec_lo, exec_lo, s9
.LBB115_80:                             ;   in Loop: Header=BB115_53 Depth=1
	s_delay_alu instid0(SALU_CYCLE_1)
	s_or_b32 exec_lo, exec_lo, s8
	v_add_co_u32 v3, vcc_lo, v59, v25
	v_add_co_ci_u32_e32 v4, vcc_lo, v60, v26, vcc_lo
	s_waitcnt vmcnt(1)
	ds_bpermute_b32 v21, v2, v1
	global_load_u16 v3, v[3:4], off
	s_waitcnt vmcnt(0)
	v_lshlrev_b32_e32 v6, 16, v3
	v_add_co_u32 v3, vcc_lo, v61, v25
	v_add_co_ci_u32_e32 v4, vcc_lo, v62, v26, vcc_lo
	global_load_u16 v3, v[3:4], off
	s_waitcnt vmcnt(0)
	v_lshlrev_b32_e32 v7, 16, v3
	v_add_co_u32 v3, vcc_lo, v27, v25
	v_add_co_ci_u32_e32 v4, vcc_lo, v28, v26, vcc_lo
	s_waitcnt lgkmcnt(0)
	s_delay_alu instid0(VALU_DEP_3)
	v_sub_f32_e32 v7, v7, v21
	global_load_u16 v3, v[3:4], off
	s_waitcnt vmcnt(0)
	v_dual_mul_f32 v7, v7, v6 :: v_dual_lshlrev_b32 v8, 16, v3
	v_add_co_u32 v3, vcc_lo, v41, v25
	v_add_co_ci_u32_e32 v4, vcc_lo, v42, v26, vcc_lo
	global_load_u16 v3, v[3:4], off
	s_waitcnt vmcnt(0)
	v_lshlrev_b32_e32 v9, 16, v3
	v_add_co_u32 v3, vcc_lo, v29, v25
	v_add_co_ci_u32_e32 v4, vcc_lo, v30, v26, vcc_lo
	global_load_u16 v3, v[3:4], off
	s_waitcnt vmcnt(0)
	v_lshlrev_b32_e32 v10, 16, v3
	;; [unrolled: 5-line block ×12, first 2 shown]
	v_add_co_u32 v3, vcc_lo, v53, v25
	v_add_co_ci_u32_e32 v4, vcc_lo, v54, v26, vcc_lo
	global_load_u16 v3, v[3:4], off
	ds_bpermute_b32 v4, v2, v5
	s_waitcnt lgkmcnt(0)
	v_fmac_f32_e32 v91, v7, v4
	ds_bpermute_b32 v7, v2, v1 offset:4
	v_add_f32_e32 v4, v92, v6
	ds_bpermute_b32 v6, v2, v5 offset:4
	v_add_f32_e32 v4, v4, v8
	s_waitcnt lgkmcnt(1)
	s_delay_alu instid0(VALU_DEP_1) | instskip(NEXT) | instid1(VALU_DEP_1)
	v_dual_add_f32 v4, v4, v10 :: v_dual_sub_f32 v7, v9, v7
	v_mul_f32_e32 v7, v7, v8
	s_waitcnt lgkmcnt(0)
	s_delay_alu instid0(VALU_DEP_1) | instskip(SKIP_4) | instid1(VALU_DEP_1)
	v_dual_add_f32 v4, v4, v12 :: v_dual_fmac_f32 v91, v7, v6
	ds_bpermute_b32 v7, v2, v1 offset:8
	ds_bpermute_b32 v6, v2, v5 offset:8
	s_waitcnt lgkmcnt(1)
	v_dual_add_f32 v4, v4, v14 :: v_dual_sub_f32 v7, v11, v7
	v_dual_mul_f32 v7, v7, v10 :: v_dual_add_f32 v4, v4, v16
	s_waitcnt lgkmcnt(0)
	s_delay_alu instid0(VALU_DEP_1) | instskip(SKIP_4) | instid1(VALU_DEP_1)
	v_fmac_f32_e32 v91, v7, v6
	ds_bpermute_b32 v7, v2, v1 offset:12
	ds_bpermute_b32 v6, v2, v5 offset:12
	s_waitcnt lgkmcnt(1)
	v_dual_add_f32 v4, v4, v18 :: v_dual_sub_f32 v7, v13, v7
	v_mul_f32_e32 v7, v7, v12
	s_waitcnt lgkmcnt(0)
	s_delay_alu instid0(VALU_DEP_1) | instskip(SKIP_4) | instid1(VALU_DEP_1)
	v_dual_add_f32 v58, v4, v20 :: v_dual_fmac_f32 v91, v7, v6
	ds_bpermute_b32 v7, v2, v1 offset:16
	ds_bpermute_b32 v6, v2, v5 offset:16
	s_waitcnt lgkmcnt(1)
	v_sub_f32_e32 v7, v15, v7
	v_mul_f32_e32 v7, v7, v14
	s_waitcnt lgkmcnt(0)
	s_delay_alu instid0(VALU_DEP_1) | instskip(SKIP_4) | instid1(VALU_DEP_1)
	v_fmac_f32_e32 v91, v7, v6
	ds_bpermute_b32 v7, v2, v1 offset:20
	ds_bpermute_b32 v6, v2, v5 offset:20
	s_waitcnt lgkmcnt(1)
	v_sub_f32_e32 v7, v17, v7
	v_mul_f32_e32 v7, v7, v16
	s_waitcnt lgkmcnt(0)
	s_delay_alu instid0(VALU_DEP_1)
	v_fmac_f32_e32 v91, v7, v6
	ds_bpermute_b32 v7, v2, v1 offset:24
	ds_bpermute_b32 v1, v2, v1 offset:28
	;; [unrolled: 1-line block ×4, first 2 shown]
	s_waitcnt lgkmcnt(3)
	v_sub_f32_e32 v7, v19, v7
	s_delay_alu instid0(VALU_DEP_1) | instskip(SKIP_1) | instid1(VALU_DEP_1)
	v_mul_f32_e32 v7, v7, v18
	s_waitcnt lgkmcnt(1)
	v_fmac_f32_e32 v91, v7, v6
	s_waitcnt vmcnt(0)
	v_lshlrev_b32_e32 v3, 16, v3
	s_delay_alu instid0(VALU_DEP_1) | instskip(NEXT) | instid1(VALU_DEP_1)
	v_sub_f32_e32 v1, v3, v1
	v_mul_f32_e32 v1, v1, v20
	s_waitcnt lgkmcnt(0)
	s_delay_alu instid0(VALU_DEP_1) | instskip(NEXT) | instid1(VALU_DEP_1)
	v_fmac_f32_e32 v91, v1, v5
	v_mov_b32_e32 v1, v91
.LBB115_81:                             ;   in Loop: Header=BB115_53 Depth=1
	v_add_co_u32 v27, vcc_lo, v27, s2
	v_add_co_ci_u32_e32 v28, vcc_lo, s3, v28, vcc_lo
	v_add_co_u32 v29, vcc_lo, v29, s2
	v_add_co_ci_u32_e32 v30, vcc_lo, s3, v30, vcc_lo
	;; [unrolled: 2-line block ×27, first 2 shown]
	v_add_co_u32 v85, vcc_lo, v85, s2
	s_add_u32 s12, s12, s15
	v_add_co_ci_u32_e32 v86, vcc_lo, s3, v86, vcc_lo
	s_addc_u32 s13, s13, 0
	v_add_co_u32 v87, vcc_lo, v87, s2
	v_cmp_ge_i64_e64 s8, s[12:13], s[4:5]
	v_add_co_ci_u32_e32 v88, vcc_lo, s3, v88, vcc_lo
	v_add_co_u32 v89, vcc_lo, v89, s2
	v_add_co_ci_u32_e32 v90, vcc_lo, s3, v90, vcc_lo
	s_add_u32 s30, s30, s15
	s_addc_u32 s31, s31, 0
	s_and_b32 vcc_lo, exec_lo, s8
	s_cbranch_vccnz .LBB115_83
; %bb.82:                               ;   in Loop: Header=BB115_53 Depth=1
	v_dual_mov_b32 v92, v58 :: v_dual_mov_b32 v91, v1
	s_branch .LBB115_53
.LBB115_83:
	v_and_b32_e32 v2, 0x3ff, v0
	v_bfe_u32 v0, v0, 10, 10
	s_mov_b32 s15, 0
	s_mov_b32 s2, exec_lo
	s_delay_alu instid0(VALU_DEP_2) | instskip(NEXT) | instid1(VALU_DEP_2)
	v_lshrrev_b32_e32 v3, 5, v2
	v_mad_u32_u24 v4, v0, 33, v2
	s_delay_alu instid0(VALU_DEP_2) | instskip(NEXT) | instid1(VALU_DEP_2)
	v_add_nc_u32_e32 v0, v3, v0
	v_lshl_add_u32 v3, v4, 2, 0
	ds_store_b32 v3, v1
	ds_store_b32 v3, v58 offset:4224
	s_waitcnt lgkmcnt(0)
	s_barrier
	buffer_gl0_inv
	v_cmpx_gt_u32_e32 32, v0
	s_cbranch_execz .LBB115_89
; %bb.84:
	v_and_b32_e32 v1, 31, v2
	v_mbcnt_lo_u32_b32 v3, -1, 0
	s_lshl_b64 s[2:3], s[14:15], 5
	s_delay_alu instid0(VALU_DEP_2) | instskip(NEXT) | instid1(VALU_DEP_2)
	v_mad_u32_u24 v1, v1, 33, v0
	v_xor_b32_e32 v5, 16, v3
	v_xor_b32_e32 v7, 8, v3
	v_or_b32_e32 v0, s2, v0
	v_cmp_eq_u32_e64 s2, 0, v2
	v_lshl_add_u32 v1, v1, 2, 0
	v_cmp_gt_i32_e32 vcc_lo, 32, v5
	ds_load_b32 v4, v1
	ds_load_b32 v1, v1 offset:4224
	v_cndmask_b32_e32 v5, v3, v5, vcc_lo
	v_cmp_gt_i32_e32 vcc_lo, 32, v7
	s_delay_alu instid0(VALU_DEP_2) | instskip(SKIP_1) | instid1(VALU_DEP_1)
	v_lshlrev_b32_e32 v5, 2, v5
	v_cndmask_b32_e32 v7, v3, v7, vcc_lo
	v_lshlrev_b32_e32 v7, 2, v7
	s_waitcnt lgkmcnt(1)
	ds_bpermute_b32 v6, v5, v4
	s_waitcnt lgkmcnt(1)
	ds_bpermute_b32 v5, v5, v1
	s_waitcnt lgkmcnt(0)
	v_dual_add_f32 v4, v4, v6 :: v_dual_add_f32 v1, v1, v5
	ds_bpermute_b32 v5, v7, v4
	ds_bpermute_b32 v6, v7, v1
	v_xor_b32_e32 v7, 4, v3
	s_delay_alu instid0(VALU_DEP_1) | instskip(SKIP_2) | instid1(VALU_DEP_1)
	v_cmp_gt_i32_e32 vcc_lo, 32, v7
	v_cndmask_b32_e32 v7, v3, v7, vcc_lo
	s_waitcnt lgkmcnt(1)
	v_dual_add_f32 v4, v4, v5 :: v_dual_lshlrev_b32 v7, 2, v7
	s_waitcnt lgkmcnt(0)
	v_add_f32_e32 v1, v1, v6
	ds_bpermute_b32 v5, v7, v4
	ds_bpermute_b32 v6, v7, v1
	v_xor_b32_e32 v7, 2, v3
	s_delay_alu instid0(VALU_DEP_1) | instskip(SKIP_2) | instid1(VALU_DEP_1)
	v_cmp_gt_i32_e32 vcc_lo, 32, v7
	v_cndmask_b32_e32 v7, v3, v7, vcc_lo
	s_waitcnt lgkmcnt(1)
	v_dual_add_f32 v4, v4, v5 :: v_dual_lshlrev_b32 v7, 2, v7
	s_waitcnt lgkmcnt(0)
	v_add_f32_e32 v1, v1, v6
	ds_bpermute_b32 v5, v7, v4
	ds_bpermute_b32 v6, v7, v1
	v_xor_b32_e32 v7, 1, v3
	s_delay_alu instid0(VALU_DEP_1) | instskip(SKIP_1) | instid1(VALU_DEP_1)
	v_cmp_gt_i32_e32 vcc_lo, 32, v7
	v_cndmask_b32_e32 v3, v3, v7, vcc_lo
	v_lshlrev_b32_e32 v7, 2, v3
	s_waitcnt lgkmcnt(1)
	v_add_f32_e32 v5, v4, v5
	s_waitcnt lgkmcnt(0)
	v_add_f32_e32 v3, v1, v6
	v_mov_b32_e32 v1, s3
	ds_bpermute_b32 v6, v7, v5
	ds_bpermute_b32 v4, v7, v3
	v_cmp_gt_i64_e32 vcc_lo, s[6:7], v[0:1]
	s_and_b32 s2, s2, vcc_lo
	s_delay_alu instid0(SALU_CYCLE_1)
	s_and_b32 exec_lo, exec_lo, s2
	s_cbranch_execz .LBB115_89
; %bb.85:
	s_load_b128 s[0:3], s[0:1], 0x30
	v_lshlrev_b64 v[0:1], 1, v[0:1]
	s_waitcnt lgkmcnt(0)
	s_cmp_eq_u64 s[0:1], 0
	s_cbranch_scc1 .LBB115_87
; %bb.86:
	v_add_f32_e32 v2, v5, v6
	s_delay_alu instid0(VALU_DEP_1) | instskip(SKIP_1) | instid1(VALU_DEP_2)
	v_bfe_u32 v5, v2, 16, 1
	v_cmp_o_f32_e32 vcc_lo, v2, v2
	v_add3_u32 v5, v2, v5, 0x7fff
	s_delay_alu instid0(VALU_DEP_1) | instskip(NEXT) | instid1(VALU_DEP_1)
	v_lshrrev_b32_e32 v5, 16, v5
	v_cndmask_b32_e32 v2, 0x7fc0, v5, vcc_lo
	v_add_co_u32 v5, vcc_lo, s0, v0
	v_add_co_ci_u32_e32 v6, vcc_lo, s1, v1, vcc_lo
	global_store_b16 v[5:6], v2, off
.LBB115_87:
	s_cmp_eq_u64 s[2:3], 0
	s_cbranch_scc1 .LBB115_89
; %bb.88:
	v_add_f32_e32 v2, v3, v4
	s_delay_alu instid0(VALU_DEP_1) | instskip(SKIP_1) | instid1(VALU_DEP_2)
	v_bfe_u32 v3, v2, 16, 1
	v_cmp_o_f32_e32 vcc_lo, v2, v2
	v_add3_u32 v3, v2, v3, 0x7fff
	s_delay_alu instid0(VALU_DEP_1) | instskip(NEXT) | instid1(VALU_DEP_1)
	v_lshrrev_b32_e32 v3, 16, v3
	v_cndmask_b32_e32 v2, 0x7fc0, v3, vcc_lo
	v_add_co_u32 v0, vcc_lo, s2, v0
	v_add_co_ci_u32_e32 v1, vcc_lo, s3, v1, vcc_lo
	global_store_b16 v[0:1], v2, off
.LBB115_89:
	s_nop 0
	s_sendmsg sendmsg(MSG_DEALLOC_VGPRS)
	s_endpgm
	.section	.rodata,"a",@progbits
	.p2align	6, 0x0
	.amdhsa_kernel _ZN2at6native12_GLOBAL__N_135GammaBetaBackwardCUDAKernelTemplateIN3c108BFloat16EfLj32ELj32ELj256ELb0ELb0ELb0EEEvllPKT_S7_PKT0_SA_PS5_SB_
		.amdhsa_group_segment_fixed_size 0
		.amdhsa_private_segment_fixed_size 0
		.amdhsa_kernarg_size 320
		.amdhsa_user_sgpr_count 14
		.amdhsa_user_sgpr_dispatch_ptr 0
		.amdhsa_user_sgpr_queue_ptr 0
		.amdhsa_user_sgpr_kernarg_segment_ptr 1
		.amdhsa_user_sgpr_dispatch_id 0
		.amdhsa_user_sgpr_private_segment_size 0
		.amdhsa_wavefront_size32 1
		.amdhsa_uses_dynamic_stack 0
		.amdhsa_enable_private_segment 0
		.amdhsa_system_sgpr_workgroup_id_x 1
		.amdhsa_system_sgpr_workgroup_id_y 1
		.amdhsa_system_sgpr_workgroup_id_z 0
		.amdhsa_system_sgpr_workgroup_info 0
		.amdhsa_system_vgpr_workitem_id 1
		.amdhsa_next_free_vgpr 96
		.amdhsa_next_free_sgpr 40
		.amdhsa_reserve_vcc 1
		.amdhsa_float_round_mode_32 0
		.amdhsa_float_round_mode_16_64 0
		.amdhsa_float_denorm_mode_32 3
		.amdhsa_float_denorm_mode_16_64 3
		.amdhsa_dx10_clamp 1
		.amdhsa_ieee_mode 1
		.amdhsa_fp16_overflow 0
		.amdhsa_workgroup_processor_mode 1
		.amdhsa_memory_ordered 1
		.amdhsa_forward_progress 0
		.amdhsa_shared_vgpr_count 0
		.amdhsa_exception_fp_ieee_invalid_op 0
		.amdhsa_exception_fp_denorm_src 0
		.amdhsa_exception_fp_ieee_div_zero 0
		.amdhsa_exception_fp_ieee_overflow 0
		.amdhsa_exception_fp_ieee_underflow 0
		.amdhsa_exception_fp_ieee_inexact 0
		.amdhsa_exception_int_div_zero 0
	.end_amdhsa_kernel
	.section	.text._ZN2at6native12_GLOBAL__N_135GammaBetaBackwardCUDAKernelTemplateIN3c108BFloat16EfLj32ELj32ELj256ELb0ELb0ELb0EEEvllPKT_S7_PKT0_SA_PS5_SB_,"axG",@progbits,_ZN2at6native12_GLOBAL__N_135GammaBetaBackwardCUDAKernelTemplateIN3c108BFloat16EfLj32ELj32ELj256ELb0ELb0ELb0EEEvllPKT_S7_PKT0_SA_PS5_SB_,comdat
.Lfunc_end115:
	.size	_ZN2at6native12_GLOBAL__N_135GammaBetaBackwardCUDAKernelTemplateIN3c108BFloat16EfLj32ELj32ELj256ELb0ELb0ELb0EEEvllPKT_S7_PKT0_SA_PS5_SB_, .Lfunc_end115-_ZN2at6native12_GLOBAL__N_135GammaBetaBackwardCUDAKernelTemplateIN3c108BFloat16EfLj32ELj32ELj256ELb0ELb0ELb0EEEvllPKT_S7_PKT0_SA_PS5_SB_
                                        ; -- End function
	.section	.AMDGPU.csdata,"",@progbits
; Kernel info:
; codeLenInByte = 8732
; NumSgprs: 42
; NumVgprs: 96
; ScratchSize: 0
; MemoryBound: 0
; FloatMode: 240
; IeeeMode: 1
; LDSByteSize: 0 bytes/workgroup (compile time only)
; SGPRBlocks: 5
; VGPRBlocks: 11
; NumSGPRsForWavesPerEU: 42
; NumVGPRsForWavesPerEU: 96
; Occupancy: 16
; WaveLimiterHint : 0
; COMPUTE_PGM_RSRC2:SCRATCH_EN: 0
; COMPUTE_PGM_RSRC2:USER_SGPR: 14
; COMPUTE_PGM_RSRC2:TRAP_HANDLER: 0
; COMPUTE_PGM_RSRC2:TGID_X_EN: 1
; COMPUTE_PGM_RSRC2:TGID_Y_EN: 1
; COMPUTE_PGM_RSRC2:TGID_Z_EN: 0
; COMPUTE_PGM_RSRC2:TIDIG_COMP_CNT: 1
	.section	.text._ZN2at6native12_GLOBAL__N_118cuComputeGradInputIddLb1EEEvPKT_S5_llPKT0_S8_S5_PS3_,"axG",@progbits,_ZN2at6native12_GLOBAL__N_118cuComputeGradInputIddLb1EEEvPKT_S5_llPKT0_S8_S5_PS3_,comdat
	.globl	_ZN2at6native12_GLOBAL__N_118cuComputeGradInputIddLb1EEEvPKT_S5_llPKT0_S8_S5_PS3_ ; -- Begin function _ZN2at6native12_GLOBAL__N_118cuComputeGradInputIddLb1EEEvPKT_S5_llPKT0_S8_S5_PS3_
	.p2align	8
	.type	_ZN2at6native12_GLOBAL__N_118cuComputeGradInputIddLb1EEEvPKT_S5_llPKT0_S8_S5_PS3_,@function
_ZN2at6native12_GLOBAL__N_118cuComputeGradInputIddLb1EEEvPKT_S5_llPKT0_S8_S5_PS3_: ; @_ZN2at6native12_GLOBAL__N_118cuComputeGradInputIddLb1EEEvPKT_S5_llPKT0_S8_S5_PS3_
; %bb.0:
	s_load_b128 s[8:11], s[0:1], 0x10
	s_mov_b32 s6, s15
	s_ashr_i32 s7, s15, 31
	s_waitcnt lgkmcnt(0)
	v_cmp_ge_i64_e64 s2, s[6:7], s[8:9]
	s_delay_alu instid0(VALU_DEP_1)
	s_and_b32 vcc_lo, exec_lo, s2
	s_cbranch_vccnz .LBB116_49
; %bb.1:
	v_cvt_f64_i32_e32 v[1:2], s11
	v_cvt_f64_u32_e32 v[3:4], s10
	s_clause 0x1
	s_load_b32 s3, s[0:1], 0x4c
	s_load_b128 s[12:15], s[0:1], 0x30
	v_and_b32_e32 v21, 0x3ff, v0
	v_bfe_u32 v0, v0, 10, 10
	s_clause 0x2
	s_load_b32 s26, s[0:1], 0x44
	s_load_b128 s[16:19], s[0:1], 0x0
	s_load_b64 s[20:21], s[0:1], 0x28
	v_cmp_gt_i64_e64 s33, s[10:11], 0
	v_mbcnt_lo_u32_b32 v25, -1, 0
	v_cmp_eq_u32_e64 s0, 0, v0
	v_cmp_ne_u32_e64 s1, 0, v0
	s_delay_alu instid0(VALU_DEP_4)
	v_cndmask_b32_e64 v24, 0, 1, s33
	s_waitcnt lgkmcnt(0)
	s_and_b32 s27, s3, 0xffff
	s_lshr_b32 s28, s3, 16
	s_cmp_lg_u64 s[12:13], 0
	s_mul_i32 s29, s28, s27
	s_cselect_b32 s30, -1, 0
	s_ashr_i32 s31, s29, 31
	v_cmp_gt_u16_e64 s34, s3, 1
	v_cmp_gt_u16_e64 s35, s28, 1
	v_ldexp_f64 v[1:2], v[1:2], 32
	s_delay_alu instid0(VALU_DEP_1) | instskip(NEXT) | instid1(VALU_DEP_1)
	v_add_f64 v[1:2], v[1:2], v[3:4]
	v_div_scale_f64 v[3:4], null, v[1:2], v[1:2], 1.0
	s_delay_alu instid0(VALU_DEP_1) | instskip(SKIP_2) | instid1(VALU_DEP_1)
	v_rcp_f64_e32 v[5:6], v[3:4]
	s_waitcnt_depctr 0xfff
	v_fma_f64 v[7:8], -v[3:4], v[5:6], 1.0
	v_fma_f64 v[5:6], v[5:6], v[7:8], v[5:6]
	s_delay_alu instid0(VALU_DEP_1) | instskip(NEXT) | instid1(VALU_DEP_1)
	v_fma_f64 v[7:8], -v[3:4], v[5:6], 1.0
	v_fma_f64 v[5:6], v[5:6], v[7:8], v[5:6]
	v_div_scale_f64 v[7:8], vcc_lo, 1.0, v[1:2], 1.0
	s_delay_alu instid0(VALU_DEP_1) | instskip(NEXT) | instid1(VALU_DEP_1)
	v_mul_f64 v[9:10], v[7:8], v[5:6]
	v_fma_f64 v[3:4], -v[3:4], v[9:10], v[7:8]
	s_delay_alu instid0(VALU_DEP_1) | instskip(SKIP_3) | instid1(VALU_DEP_2)
	v_div_fmas_f64 v[3:4], v[3:4], v[5:6], v[9:10]
	v_mov_b32_e32 v6, 0
	v_mad_u32_u24 v5, v0, s27, v21
	v_lshl_add_u32 v23, v21, 4, 0
	v_add_nc_u32_e32 v7, s29, v5
	s_delay_alu instid0(VALU_DEP_4) | instskip(SKIP_1) | instid1(VALU_DEP_3)
	v_cmp_gt_i64_e64 s2, s[10:11], v[5:6]
	v_lshl_add_u32 v22, v5, 4, 0
	v_ashrrev_i32_e32 v8, 31, v7
	v_sub_co_u32 v7, vcc_lo, v7, s29
	s_delay_alu instid0(VALU_DEP_2)
	v_subrev_co_ci_u32_e32 v8, vcc_lo, s31, v8, vcc_lo
	v_div_fixup_f64 v[3:4], v[3:4], v[1:2], 1.0
	s_branch .LBB116_4
.LBB116_2:                              ;   in Loop: Header=BB116_4 Depth=1
	s_set_inst_prefetch_distance 0x2
	s_or_b32 exec_lo, exec_lo, s24
.LBB116_3:                              ;   in Loop: Header=BB116_4 Depth=1
	s_add_i32 s6, s26, s6
	s_waitcnt_vscnt null, 0x0
	s_ashr_i32 s7, s6, 31
	s_barrier
	v_cmp_ge_i64_e64 s3, s[6:7], s[8:9]
	buffer_gl0_inv
	s_and_b32 vcc_lo, exec_lo, s3
	s_cbranch_vccnz .LBB116_49
.LBB116_4:                              ; =>This Loop Header: Depth=1
                                        ;     Child Loop BB116_8 Depth 2
                                        ;     Child Loop BB116_20 Depth 2
	;; [unrolled: 1-line block ×6, first 2 shown]
	s_mul_i32 s3, s6, s11
	s_mul_hi_u32 s4, s6, s10
	s_mul_i32 s22, s7, s10
	s_add_i32 s3, s4, s3
	s_lshl_b64 s[4:5], s[6:7], 3
	s_add_i32 s25, s3, s22
	s_add_u32 s4, s20, s4
	s_addc_u32 s5, s21, s5
	s_mul_i32 s24, s6, s10
	s_load_b64 s[22:23], s[4:5], 0x0
	s_lshl_b64 s[24:25], s[24:25], 3
	v_cmp_ne_u32_e64 s3, 1, v24
	s_add_u32 s7, s18, s24
	s_addc_u32 s36, s19, s25
	s_add_u32 s37, s16, s24
	s_addc_u32 s38, s17, s25
	s_and_not1_b32 vcc_lo, exec_lo, s30
	s_cbranch_vccnz .LBB116_14
; %bb.5:                                ;   in Loop: Header=BB116_4 Depth=1
	s_and_b32 vcc_lo, exec_lo, s3
	s_cbranch_vccnz .LBB116_15
; %bb.6:                                ;   in Loop: Header=BB116_4 Depth=1
	v_mov_b32_e32 v11, 0
	v_mov_b32_e32 v12, 0
	s_delay_alu instid0(VALU_DEP_2) | instskip(SKIP_1) | instid1(VALU_DEP_2)
	v_mov_b32_e32 v9, v11
	s_mov_b32 s4, 0
	v_mov_b32_e32 v10, v12
	s_branch .LBB116_8
.LBB116_7:                              ;   in Loop: Header=BB116_8 Depth=2
	s_or_b32 exec_lo, exec_lo, s3
	s_waitcnt vmcnt(0)
	v_mul_f64 v[13:14], v[13:14], v[19:20]
	s_add_i32 s4, s4, s29
	s_delay_alu instid0(SALU_CYCLE_1) | instskip(NEXT) | instid1(SALU_CYCLE_1)
	s_ashr_i32 s5, s4, 31
	v_cmp_ge_i64_e64 s3, s[4:5], s[10:11]
	s_delay_alu instid0(VALU_DEP_1) | instskip(NEXT) | instid1(VALU_DEP_2)
	s_and_b32 vcc_lo, exec_lo, s3
	v_mul_f64 v[13:14], v[17:18], v[13:14]
	s_waitcnt lgkmcnt(0)
	s_delay_alu instid0(VALU_DEP_1)
	v_fma_f64 v[9:10], s[22:23], v[13:14], v[9:10]
	s_cbranch_vccnz .LBB116_16
.LBB116_8:                              ;   Parent Loop BB116_4 Depth=1
                                        ; =>  This Inner Loop Header: Depth=2
	v_add_nc_u32_e32 v13, s4, v5
	s_delay_alu instid0(VALU_DEP_1) | instskip(NEXT) | instid1(VALU_DEP_1)
	v_ashrrev_i32_e32 v14, 31, v13
	v_cmp_gt_i64_e32 vcc_lo, s[10:11], v[13:14]
	v_lshlrev_b64 v[15:16], 3, v[13:14]
	v_dual_mov_b32 v14, v12 :: v_dual_mov_b32 v13, v11
	s_and_saveexec_b32 s5, vcc_lo
	s_cbranch_execz .LBB116_10
; %bb.9:                                ;   in Loop: Header=BB116_8 Depth=2
	s_delay_alu instid0(VALU_DEP_2) | instskip(NEXT) | instid1(VALU_DEP_1)
	v_add_co_u32 v13, s3, s12, v15
	v_add_co_ci_u32_e64 v14, s3, s13, v16, s3
	global_load_b64 v[13:14], v[13:14], off
.LBB116_10:                             ;   in Loop: Header=BB116_8 Depth=2
	s_or_b32 exec_lo, exec_lo, s5
	v_mov_b32_e32 v19, 0
	v_mov_b32_e32 v20, 0
	s_delay_alu instid0(VALU_DEP_1)
	v_dual_mov_b32 v17, v19 :: v_dual_mov_b32 v18, v20
	s_and_saveexec_b32 s5, vcc_lo
	s_cbranch_execz .LBB116_12
; %bb.11:                               ;   in Loop: Header=BB116_8 Depth=2
	v_add_co_u32 v17, s3, s7, v15
	s_delay_alu instid0(VALU_DEP_1)
	v_add_co_ci_u32_e64 v18, s3, s36, v16, s3
	global_load_b64 v[17:18], v[17:18], off
.LBB116_12:                             ;   in Loop: Header=BB116_8 Depth=2
	s_or_b32 exec_lo, exec_lo, s5
	s_and_saveexec_b32 s3, vcc_lo
	s_cbranch_execz .LBB116_7
; %bb.13:                               ;   in Loop: Header=BB116_8 Depth=2
	v_add_co_u32 v15, vcc_lo, s37, v15
	v_add_co_ci_u32_e32 v16, vcc_lo, s38, v16, vcc_lo
	global_load_b64 v[19:20], v[15:16], off
	s_branch .LBB116_7
.LBB116_14:                             ;   in Loop: Header=BB116_4 Depth=1
                                        ; implicit-def: $vgpr9_vgpr10
	s_branch .LBB116_17
.LBB116_15:                             ;   in Loop: Header=BB116_4 Depth=1
	v_mov_b32_e32 v9, 0
	v_mov_b32_e32 v10, 0
.LBB116_16:                             ;   in Loop: Header=BB116_4 Depth=1
	s_cbranch_execnz .LBB116_25
.LBB116_17:                             ;   in Loop: Header=BB116_4 Depth=1
	s_and_not1_b32 vcc_lo, exec_lo, s33
	s_cbranch_vccnz .LBB116_24
; %bb.18:                               ;   in Loop: Header=BB116_4 Depth=1
	v_mov_b32_e32 v11, 0
	v_mov_b32_e32 v12, 0
	s_delay_alu instid0(VALU_DEP_2) | instskip(SKIP_1) | instid1(VALU_DEP_2)
	v_mov_b32_e32 v9, v11
	s_mov_b32 s4, 0
	v_mov_b32_e32 v10, v12
	s_set_inst_prefetch_distance 0x1
	s_branch .LBB116_20
	.p2align	6
.LBB116_19:                             ;   in Loop: Header=BB116_20 Depth=2
	s_or_b32 exec_lo, exec_lo, s3
	s_waitcnt vmcnt(0)
	v_mul_f64 v[13:14], v[13:14], v[17:18]
	s_add_i32 s4, s4, s29
	s_delay_alu instid0(SALU_CYCLE_1) | instskip(NEXT) | instid1(SALU_CYCLE_1)
	s_ashr_i32 s5, s4, 31
	v_cmp_ge_i64_e64 s3, s[4:5], s[10:11]
	s_delay_alu instid0(VALU_DEP_1) | instskip(SKIP_1) | instid1(VALU_DEP_2)
	s_and_b32 vcc_lo, exec_lo, s3
	s_waitcnt lgkmcnt(0)
	v_fma_f64 v[9:10], s[22:23], v[13:14], v[9:10]
	s_cbranch_vccnz .LBB116_25
.LBB116_20:                             ;   Parent Loop BB116_4 Depth=1
                                        ; =>  This Inner Loop Header: Depth=2
	v_add_nc_u32_e32 v13, s4, v5
	s_delay_alu instid0(VALU_DEP_1) | instskip(NEXT) | instid1(VALU_DEP_1)
	v_ashrrev_i32_e32 v14, 31, v13
	v_cmp_gt_i64_e32 vcc_lo, s[10:11], v[13:14]
	v_lshlrev_b64 v[15:16], 3, v[13:14]
	v_dual_mov_b32 v14, v12 :: v_dual_mov_b32 v13, v11
	s_and_saveexec_b32 s5, vcc_lo
	s_cbranch_execz .LBB116_22
; %bb.21:                               ;   in Loop: Header=BB116_20 Depth=2
	s_delay_alu instid0(VALU_DEP_2) | instskip(NEXT) | instid1(VALU_DEP_1)
	v_add_co_u32 v13, s3, s7, v15
	v_add_co_ci_u32_e64 v14, s3, s36, v16, s3
	global_load_b64 v[13:14], v[13:14], off
.LBB116_22:                             ;   in Loop: Header=BB116_20 Depth=2
	s_or_b32 exec_lo, exec_lo, s5
	v_mov_b32_e32 v17, 0
	v_mov_b32_e32 v18, 0
	s_and_saveexec_b32 s3, vcc_lo
	s_cbranch_execz .LBB116_19
; %bb.23:                               ;   in Loop: Header=BB116_20 Depth=2
	v_add_co_u32 v15, vcc_lo, s37, v15
	v_add_co_ci_u32_e32 v16, vcc_lo, s38, v16, vcc_lo
	global_load_b64 v[17:18], v[15:16], off
	s_branch .LBB116_19
.LBB116_24:                             ;   in Loop: Header=BB116_4 Depth=1
	v_mov_b32_e32 v9, 0
	v_mov_b32_e32 v10, 0
.LBB116_25:                             ;   in Loop: Header=BB116_4 Depth=1
	s_set_inst_prefetch_distance 0x2
	s_and_not1_b32 vcc_lo, exec_lo, s34
	s_cbranch_vccnz .LBB116_28
; %bb.26:                               ;   in Loop: Header=BB116_4 Depth=1
	s_mov_b32 s3, s27
.LBB116_27:                             ;   Parent Loop BB116_4 Depth=1
                                        ; =>  This Inner Loop Header: Depth=2
	s_delay_alu instid0(SALU_CYCLE_1) | instskip(SKIP_3) | instid1(VALU_DEP_1)
	s_lshr_b32 s4, s3, 1
	s_cmp_lt_u32 s3, 4
	v_xor_b32_e32 v11, s4, v25
	s_mov_b32 s3, s4
	v_cmp_gt_i32_e32 vcc_lo, 32, v11
	v_cndmask_b32_e32 v11, v25, v11, vcc_lo
	s_delay_alu instid0(VALU_DEP_1)
	v_lshlrev_b32_e32 v12, 2, v11
	ds_bpermute_b32 v11, v12, v9
	ds_bpermute_b32 v12, v12, v10
	s_waitcnt lgkmcnt(0)
	v_add_f64 v[9:10], v[9:10], v[11:12]
	s_cbranch_scc0 .LBB116_27
.LBB116_28:                             ;   in Loop: Header=BB116_4 Depth=1
	s_and_not1_b32 vcc_lo, exec_lo, s35
	s_mov_b32 s5, s28
	s_cbranch_vccnz .LBB116_40
	.p2align	6
.LBB116_29:                             ;   Parent Loop BB116_4 Depth=1
                                        ; =>  This Inner Loop Header: Depth=2
	s_lshr_b32 s39, s5, 1
	s_and_b32 s4, s5, 0xfffe
	v_cmp_le_u32_e64 s3, s39, v0
	v_cmp_gt_u32_e64 s4, s4, v0
	v_cmp_gt_u32_e32 vcc_lo, s39, v0
	s_delay_alu instid0(VALU_DEP_2) | instskip(NEXT) | instid1(SALU_CYCLE_1)
	s_and_b32 s4, s3, s4
	s_and_saveexec_b32 s3, s4
	s_cbranch_execz .LBB116_31
; %bb.30:                               ;   in Loop: Header=BB116_29 Depth=2
	v_subrev_nc_u32_e32 v11, s39, v0
	s_delay_alu instid0(VALU_DEP_1) | instskip(NEXT) | instid1(VALU_DEP_1)
	v_mad_i32_i24 v11, v11, s27, v21
	v_lshl_add_u32 v11, v11, 4, 0
	ds_store_b64 v11, v[9:10] offset:8
.LBB116_31:                             ;   in Loop: Header=BB116_29 Depth=2
	s_or_b32 exec_lo, exec_lo, s3
	s_waitcnt lgkmcnt(0)
	s_barrier
	buffer_gl0_inv
	s_and_saveexec_b32 s3, vcc_lo
	s_cbranch_execz .LBB116_33
; %bb.32:                               ;   in Loop: Header=BB116_29 Depth=2
	ds_load_b64 v[11:12], v22 offset:8
	s_waitcnt lgkmcnt(0)
	v_add_f64 v[9:10], v[9:10], v[11:12]
.LBB116_33:                             ;   in Loop: Header=BB116_29 Depth=2
	s_or_b32 exec_lo, exec_lo, s3
	s_cmp_lt_u32 s5, 4
	s_barrier
	buffer_gl0_inv
	s_cbranch_scc1 .LBB116_35
; %bb.34:                               ;   in Loop: Header=BB116_29 Depth=2
	s_mov_b32 s5, s39
	s_branch .LBB116_29
.LBB116_35:                             ;   in Loop: Header=BB116_4 Depth=1
	s_and_saveexec_b32 s3, s0
	s_cbranch_execz .LBB116_37
; %bb.36:                               ;   in Loop: Header=BB116_4 Depth=1
	ds_store_b64 v23, v[9:10] offset:8
.LBB116_37:                             ;   in Loop: Header=BB116_4 Depth=1
	s_or_b32 exec_lo, exec_lo, s3
	s_waitcnt lgkmcnt(0)
	s_barrier
	buffer_gl0_inv
	s_and_saveexec_b32 s3, s1
	s_cbranch_execz .LBB116_39
; %bb.38:                               ;   in Loop: Header=BB116_4 Depth=1
	ds_load_b64 v[9:10], v23 offset:8
.LBB116_39:                             ;   in Loop: Header=BB116_4 Depth=1
	s_or_b32 exec_lo, exec_lo, s3
.LBB116_40:                             ;   in Loop: Header=BB116_4 Depth=1
	s_waitcnt lgkmcnt(0)
	s_delay_alu instid0(VALU_DEP_4)
	v_mul_f64 v[11:12], v[3:4], s[22:23]
	s_add_u32 s4, s14, s24
	s_addc_u32 s5, s15, s25
	s_and_not1_b32 vcc_lo, exec_lo, s30
	s_cbranch_vccnz .LBB116_45
; %bb.41:                               ;   in Loop: Header=BB116_4 Depth=1
	s_and_saveexec_b32 s24, s2
	s_cbranch_execz .LBB116_44
; %bb.42:                               ;   in Loop: Header=BB116_4 Depth=1
	v_dual_mov_b32 v14, v8 :: v_dual_mov_b32 v13, v7
	v_dual_mov_b32 v16, v6 :: v_dual_mov_b32 v15, v5
	s_mov_b32 s25, 0
	s_set_inst_prefetch_distance 0x1
	.p2align	6
.LBB116_43:                             ;   Parent Loop BB116_4 Depth=1
                                        ; =>  This Inner Loop Header: Depth=2
	s_delay_alu instid0(VALU_DEP_1) | instskip(NEXT) | instid1(VALU_DEP_1)
	v_lshlrev_b64 v[17:18], 3, v[15:16]
	v_add_co_u32 v15, vcc_lo, s7, v17
	s_delay_alu instid0(VALU_DEP_2)
	v_add_co_ci_u32_e32 v16, vcc_lo, s36, v18, vcc_lo
	v_add_co_u32 v19, vcc_lo, s37, v17
	v_add_co_ci_u32_e32 v20, vcc_lo, s38, v18, vcc_lo
	global_load_b64 v[15:16], v[15:16], off
	v_add_co_u32 v26, vcc_lo, s12, v17
	global_load_b64 v[19:20], v[19:20], off
	v_add_co_ci_u32_e32 v27, vcc_lo, s13, v18, vcc_lo
	v_add_co_u32 v13, vcc_lo, v13, s29
	v_add_co_ci_u32_e32 v14, vcc_lo, s31, v14, vcc_lo
	global_load_b64 v[26:27], v[26:27], off
	v_add_co_u32 v17, s3, s4, v17
	v_cmp_le_i64_e32 vcc_lo, s[10:11], v[13:14]
	v_add_co_ci_u32_e64 v18, s3, s5, v18, s3
	s_or_b32 s25, vcc_lo, s25
	s_waitcnt vmcnt(2)
	v_mul_f64 v[15:16], s[22:23], v[15:16]
	s_waitcnt vmcnt(1)
	v_mul_f64 v[19:20], v[19:20], v[1:2]
	s_delay_alu instid0(VALU_DEP_2) | instskip(SKIP_1) | instid1(VALU_DEP_1)
	v_mul_f64 v[15:16], v[9:10], v[15:16]
	s_waitcnt vmcnt(0)
	v_fma_f64 v[15:16], v[19:20], v[26:27], -v[15:16]
	s_delay_alu instid0(VALU_DEP_1)
	v_mul_f64 v[19:20], v[11:12], v[15:16]
	v_ashrrev_i32_e32 v16, 31, v13
	v_mov_b32_e32 v15, v13
	global_store_b64 v[17:18], v[19:20], off
	s_and_not1_b32 exec_lo, exec_lo, s25
	s_cbranch_execnz .LBB116_43
.LBB116_44:                             ;   in Loop: Header=BB116_4 Depth=1
	s_set_inst_prefetch_distance 0x2
	s_or_b32 exec_lo, exec_lo, s24
	s_cbranch_execnz .LBB116_3
	s_branch .LBB116_46
.LBB116_45:                             ;   in Loop: Header=BB116_4 Depth=1
.LBB116_46:                             ;   in Loop: Header=BB116_4 Depth=1
	s_and_saveexec_b32 s24, s2
	s_cbranch_execz .LBB116_2
; %bb.47:                               ;   in Loop: Header=BB116_4 Depth=1
	v_dual_mov_b32 v14, v8 :: v_dual_mov_b32 v13, v7
	v_dual_mov_b32 v16, v6 :: v_dual_mov_b32 v15, v5
	s_mov_b32 s25, 0
	s_set_inst_prefetch_distance 0x1
	.p2align	6
.LBB116_48:                             ;   Parent Loop BB116_4 Depth=1
                                        ; =>  This Inner Loop Header: Depth=2
	s_delay_alu instid0(VALU_DEP_1) | instskip(NEXT) | instid1(VALU_DEP_1)
	v_lshlrev_b64 v[17:18], 3, v[15:16]
	v_add_co_u32 v15, vcc_lo, s7, v17
	s_delay_alu instid0(VALU_DEP_2)
	v_add_co_ci_u32_e32 v16, vcc_lo, s36, v18, vcc_lo
	v_add_co_u32 v19, vcc_lo, s37, v17
	v_add_co_ci_u32_e32 v20, vcc_lo, s38, v18, vcc_lo
	global_load_b64 v[15:16], v[15:16], off
	v_add_co_u32 v13, vcc_lo, v13, s29
	global_load_b64 v[19:20], v[19:20], off
	v_add_co_ci_u32_e32 v14, vcc_lo, s31, v14, vcc_lo
	v_add_co_u32 v17, s3, s4, v17
	s_delay_alu instid0(VALU_DEP_1) | instskip(NEXT) | instid1(VALU_DEP_3)
	v_add_co_ci_u32_e64 v18, s3, s5, v18, s3
	v_cmp_le_i64_e32 vcc_lo, s[10:11], v[13:14]
	s_or_b32 s25, vcc_lo, s25
	s_waitcnt vmcnt(1)
	v_mul_f64 v[15:16], s[22:23], v[15:16]
	s_delay_alu instid0(VALU_DEP_1) | instskip(SKIP_1) | instid1(VALU_DEP_1)
	v_mul_f64 v[15:16], v[9:10], v[15:16]
	s_waitcnt vmcnt(0)
	v_fma_f64 v[15:16], v[19:20], v[1:2], -v[15:16]
	s_delay_alu instid0(VALU_DEP_1)
	v_mul_f64 v[19:20], v[11:12], v[15:16]
	v_ashrrev_i32_e32 v16, 31, v13
	v_mov_b32_e32 v15, v13
	global_store_b64 v[17:18], v[19:20], off
	s_and_not1_b32 exec_lo, exec_lo, s25
	s_cbranch_execnz .LBB116_48
	s_branch .LBB116_2
.LBB116_49:
	s_endpgm
	.section	.rodata,"a",@progbits
	.p2align	6, 0x0
	.amdhsa_kernel _ZN2at6native12_GLOBAL__N_118cuComputeGradInputIddLb1EEEvPKT_S5_llPKT0_S8_S5_PS3_
		.amdhsa_group_segment_fixed_size 0
		.amdhsa_private_segment_fixed_size 0
		.amdhsa_kernarg_size 320
		.amdhsa_user_sgpr_count 14
		.amdhsa_user_sgpr_dispatch_ptr 0
		.amdhsa_user_sgpr_queue_ptr 0
		.amdhsa_user_sgpr_kernarg_segment_ptr 1
		.amdhsa_user_sgpr_dispatch_id 0
		.amdhsa_user_sgpr_private_segment_size 0
		.amdhsa_wavefront_size32 1
		.amdhsa_uses_dynamic_stack 0
		.amdhsa_enable_private_segment 0
		.amdhsa_system_sgpr_workgroup_id_x 1
		.amdhsa_system_sgpr_workgroup_id_y 1
		.amdhsa_system_sgpr_workgroup_id_z 0
		.amdhsa_system_sgpr_workgroup_info 0
		.amdhsa_system_vgpr_workitem_id 1
		.amdhsa_next_free_vgpr 28
		.amdhsa_next_free_sgpr 40
		.amdhsa_reserve_vcc 1
		.amdhsa_float_round_mode_32 0
		.amdhsa_float_round_mode_16_64 0
		.amdhsa_float_denorm_mode_32 3
		.amdhsa_float_denorm_mode_16_64 3
		.amdhsa_dx10_clamp 1
		.amdhsa_ieee_mode 1
		.amdhsa_fp16_overflow 0
		.amdhsa_workgroup_processor_mode 1
		.amdhsa_memory_ordered 1
		.amdhsa_forward_progress 0
		.amdhsa_shared_vgpr_count 0
		.amdhsa_exception_fp_ieee_invalid_op 0
		.amdhsa_exception_fp_denorm_src 0
		.amdhsa_exception_fp_ieee_div_zero 0
		.amdhsa_exception_fp_ieee_overflow 0
		.amdhsa_exception_fp_ieee_underflow 0
		.amdhsa_exception_fp_ieee_inexact 0
		.amdhsa_exception_int_div_zero 0
	.end_amdhsa_kernel
	.section	.text._ZN2at6native12_GLOBAL__N_118cuComputeGradInputIddLb1EEEvPKT_S5_llPKT0_S8_S5_PS3_,"axG",@progbits,_ZN2at6native12_GLOBAL__N_118cuComputeGradInputIddLb1EEEvPKT_S5_llPKT0_S8_S5_PS3_,comdat
.Lfunc_end116:
	.size	_ZN2at6native12_GLOBAL__N_118cuComputeGradInputIddLb1EEEvPKT_S5_llPKT0_S8_S5_PS3_, .Lfunc_end116-_ZN2at6native12_GLOBAL__N_118cuComputeGradInputIddLb1EEEvPKT_S5_llPKT0_S8_S5_PS3_
                                        ; -- End function
	.section	.AMDGPU.csdata,"",@progbits
; Kernel info:
; codeLenInByte = 1828
; NumSgprs: 42
; NumVgprs: 28
; ScratchSize: 0
; MemoryBound: 0
; FloatMode: 240
; IeeeMode: 1
; LDSByteSize: 0 bytes/workgroup (compile time only)
; SGPRBlocks: 5
; VGPRBlocks: 3
; NumSGPRsForWavesPerEU: 42
; NumVGPRsForWavesPerEU: 28
; Occupancy: 16
; WaveLimiterHint : 0
; COMPUTE_PGM_RSRC2:SCRATCH_EN: 0
; COMPUTE_PGM_RSRC2:USER_SGPR: 14
; COMPUTE_PGM_RSRC2:TRAP_HANDLER: 0
; COMPUTE_PGM_RSRC2:TGID_X_EN: 1
; COMPUTE_PGM_RSRC2:TGID_Y_EN: 1
; COMPUTE_PGM_RSRC2:TGID_Z_EN: 0
; COMPUTE_PGM_RSRC2:TIDIG_COMP_CNT: 1
	.section	.text._ZN2at6native12_GLOBAL__N_128layer_norm_grad_input_kernelIddLb1EEEvPKT_S5_PKT0_S8_S5_PS3_i,"axG",@progbits,_ZN2at6native12_GLOBAL__N_128layer_norm_grad_input_kernelIddLb1EEEvPKT_S5_PKT0_S8_S5_PS3_i,comdat
	.globl	_ZN2at6native12_GLOBAL__N_128layer_norm_grad_input_kernelIddLb1EEEvPKT_S5_PKT0_S8_S5_PS3_i ; -- Begin function _ZN2at6native12_GLOBAL__N_128layer_norm_grad_input_kernelIddLb1EEEvPKT_S5_PKT0_S8_S5_PS3_i
	.p2align	8
	.type	_ZN2at6native12_GLOBAL__N_128layer_norm_grad_input_kernelIddLb1EEEvPKT_S5_PKT0_S8_S5_PS3_i,@function
_ZN2at6native12_GLOBAL__N_128layer_norm_grad_input_kernelIddLb1EEEvPKT_S5_PKT0_S8_S5_PS3_i: ; @_ZN2at6native12_GLOBAL__N_128layer_norm_grad_input_kernelIddLb1EEEvPKT_S5_PKT0_S8_S5_PS3_i
; %bb.0:
	s_clause 0x2
	s_load_b32 s14, s[0:1], 0x30
	s_load_b128 s[4:7], s[0:1], 0x18
	s_load_b128 s[8:11], s[0:1], 0x0
	s_mov_b32 s2, s15
	s_mov_b32 s3, 0
	v_lshlrev_b32_e32 v1, 2, v0
	v_mov_b32_e32 v3, 0
	v_mov_b32_e32 v4, 0
	s_delay_alu instid0(VALU_DEP_3)
	v_or_b32_e32 v2, 3, v1
	s_waitcnt lgkmcnt(0)
	s_ashr_i32 s12, s14, 31
	s_mul_hi_u32 s15, s14, s15
	s_mul_i32 s16, s12, s2
	s_lshl_b64 s[12:13], s[2:3], 3
	s_add_i32 s17, s15, s16
	s_add_u32 s4, s4, s12
	s_addc_u32 s5, s5, s13
	s_mul_i32 s16, s14, s2
	s_load_b64 s[4:5], s[4:5], 0x0
	s_lshl_b64 s[12:13], s[16:17], 3
	s_mov_b32 s2, exec_lo
	s_add_u32 s15, s10, s12
	s_addc_u32 s16, s11, s13
	s_add_u32 s17, s8, s12
	s_addc_u32 s18, s9, s13
	v_cmpx_gt_u32_e64 s14, v2
	s_cbranch_execz .LBB117_12
; %bb.1:
	s_load_b32 s20, s[0:1], 0x44
	s_cmp_lg_u64 s[6:7], 0
	v_dual_mov_b32 v3, 0 :: v_dual_mov_b32 v2, 0
	s_cselect_b32 s19, -1, 0
	v_mov_b32_e32 v4, 0
	s_waitcnt lgkmcnt(0)
	s_and_b32 s20, s20, 0xffff
	s_delay_alu instid0(SALU_CYCLE_1)
	s_lshl_b32 s20, s20, 2
	s_add_u32 s21, s6, 8
	s_addc_u32 s22, s7, 0
	s_add_u32 s23, s6, 16
	s_addc_u32 s24, s7, 0
	;; [unrolled: 2-line block ×3, first 2 shown]
	s_branch .LBB117_3
.LBB117_2:                              ;   in Loop: Header=BB117_3 Depth=1
	global_load_b64 v[11:12], v[15:16], off offset:24
	global_load_b64 v[9:10], v[9:10], off offset:24
	s_waitcnt vmcnt(6)
	v_mul_f64 v[7:8], v[7:8], v[17:18]
	s_waitcnt vmcnt(4)
	v_mul_f64 v[5:6], v[5:6], v[21:22]
	v_add_nc_u32_e32 v1, s20, v1
	s_delay_alu instid0(VALU_DEP_3) | instskip(NEXT) | instid1(VALU_DEP_3)
	v_mul_f64 v[7:8], v[13:14], v[7:8]
	v_mul_f64 v[5:6], v[19:20], v[5:6]
	s_delay_alu instid0(VALU_DEP_2) | instskip(SKIP_2) | instid1(VALU_DEP_2)
	v_fma_f64 v[3:4], s[4:5], v[7:8], v[3:4]
	s_waitcnt vmcnt(2)
	v_mul_f64 v[7:8], v[25:26], v[29:30]
	v_fma_f64 v[3:4], s[4:5], v[5:6], v[3:4]
	s_delay_alu instid0(VALU_DEP_2) | instskip(NEXT) | instid1(VALU_DEP_1)
	v_mul_f64 v[5:6], v[27:28], v[7:8]
	v_fma_f64 v[3:4], s[4:5], v[5:6], v[3:4]
	s_waitcnt vmcnt(1)
	v_mul_f64 v[7:8], v[23:24], v[11:12]
	s_waitcnt vmcnt(0)
	s_delay_alu instid0(VALU_DEP_1) | instskip(NEXT) | instid1(VALU_DEP_1)
	v_mul_f64 v[5:6], v[9:10], v[7:8]
	v_fma_f64 v[3:4], s[4:5], v[5:6], v[3:4]
	v_add_nc_u32_e32 v5, 3, v1
	s_delay_alu instid0(VALU_DEP_1) | instskip(SKIP_1) | instid1(SALU_CYCLE_1)
	v_cmp_le_u32_e32 vcc_lo, s14, v5
	s_or_b32 s3, vcc_lo, s3
	s_and_not1_b32 exec_lo, exec_lo, s3
	s_cbranch_execz .LBB117_11
.LBB117_3:                              ; =>This Inner Loop Header: Depth=1
	v_mov_b32_e32 v5, 0
	v_mov_b32_e32 v6, 0x3ff00000
	v_lshlrev_b64 v[11:12], 3, v[1:2]
	s_and_b32 vcc_lo, exec_lo, s19
	s_delay_alu instid0(VALU_DEP_2)
	v_dual_mov_b32 v8, v6 :: v_dual_mov_b32 v7, v5
	s_cbranch_vccz .LBB117_5
; %bb.4:                                ;   in Loop: Header=BB117_3 Depth=1
	s_delay_alu instid0(VALU_DEP_2) | instskip(NEXT) | instid1(VALU_DEP_3)
	v_add_co_u32 v7, vcc_lo, s6, v11
	v_add_co_ci_u32_e32 v8, vcc_lo, s7, v12, vcc_lo
	global_load_b64 v[7:8], v[7:8], off
.LBB117_5:                              ;   in Loop: Header=BB117_3 Depth=1
	s_delay_alu instid0(VALU_DEP_2) | instskip(NEXT) | instid1(VALU_DEP_3)
	v_add_co_u32 v9, vcc_lo, s15, v11
	v_add_co_ci_u32_e32 v10, vcc_lo, s16, v12, vcc_lo
	v_add_co_u32 v15, vcc_lo, s17, v11
	v_add_co_ci_u32_e32 v16, vcc_lo, s18, v12, vcc_lo
	s_and_not1_b32 vcc_lo, exec_lo, s19
	global_load_b64 v[13:14], v[9:10], off
	global_load_b64 v[17:18], v[15:16], off
	s_cbranch_vccnz .LBB117_7
; %bb.6:                                ;   in Loop: Header=BB117_3 Depth=1
	v_add_co_u32 v5, vcc_lo, s21, v11
	v_add_co_ci_u32_e32 v6, vcc_lo, s22, v12, vcc_lo
	global_load_b64 v[5:6], v[5:6], off
.LBB117_7:                              ;   in Loop: Header=BB117_3 Depth=1
	global_load_b64 v[19:20], v[9:10], off offset:8
	global_load_b64 v[21:22], v[15:16], off offset:8
	v_mov_b32_e32 v23, 0
	v_mov_b32_e32 v24, 0x3ff00000
	s_and_not1_b32 vcc_lo, exec_lo, s19
	s_delay_alu instid0(VALU_DEP_1)
	v_dual_mov_b32 v26, v24 :: v_dual_mov_b32 v25, v23
	s_cbranch_vccnz .LBB117_9
; %bb.8:                                ;   in Loop: Header=BB117_3 Depth=1
	v_add_co_u32 v25, vcc_lo, s23, v11
	v_add_co_ci_u32_e32 v26, vcc_lo, s24, v12, vcc_lo
	global_load_b64 v[25:26], v[25:26], off
.LBB117_9:                              ;   in Loop: Header=BB117_3 Depth=1
	global_load_b64 v[27:28], v[9:10], off offset:16
	global_load_b64 v[29:30], v[15:16], off offset:16
	s_and_not1_b32 vcc_lo, exec_lo, s19
	s_cbranch_vccnz .LBB117_2
; %bb.10:                               ;   in Loop: Header=BB117_3 Depth=1
	v_add_co_u32 v11, vcc_lo, s25, v11
	v_add_co_ci_u32_e32 v12, vcc_lo, s26, v12, vcc_lo
	global_load_b64 v[23:24], v[11:12], off
	s_branch .LBB117_2
.LBB117_11:
	s_or_b32 exec_lo, exec_lo, s3
.LBB117_12:
	s_delay_alu instid0(SALU_CYCLE_1) | instskip(NEXT) | instid1(SALU_CYCLE_1)
	s_or_b32 exec_lo, exec_lo, s2
	s_mov_b32 s3, exec_lo
	v_cmpx_gt_u32_e64 s14, v1
	s_cbranch_execz .LBB117_19
; %bb.13:
	v_mov_b32_e32 v2, 0
	s_cmp_lg_u64 s[6:7], 0
	s_delay_alu instid0(VALU_DEP_1) | instskip(NEXT) | instid1(VALU_DEP_1)
	v_lshlrev_b64 v[5:6], 3, v[1:2]
	v_add_co_u32 v2, vcc_lo, s12, v5
	s_delay_alu instid0(VALU_DEP_2) | instskip(SKIP_2) | instid1(VALU_DEP_4)
	v_add_co_ci_u32_e32 v10, vcc_lo, s13, v6, vcc_lo
	v_add_co_u32 v5, vcc_lo, s6, v5
	v_add_co_ci_u32_e32 v6, vcc_lo, s7, v6, vcc_lo
	v_add_co_u32 v7, vcc_lo, s10, v2
	s_delay_alu instid0(VALU_DEP_4)
	v_add_co_ci_u32_e32 v8, vcc_lo, s11, v10, vcc_lo
	v_add_co_u32 v9, vcc_lo, s8, v2
	v_add_co_ci_u32_e32 v10, vcc_lo, s9, v10, vcc_lo
	s_cselect_b32 s8, -1, 0
	s_mov_b32 s9, 0
	s_set_inst_prefetch_distance 0x1
	s_branch .LBB117_16
	.p2align	6
.LBB117_14:                             ;   in Loop: Header=BB117_16 Depth=1
	global_load_b64 v[11:12], v[5:6], off
.LBB117_15:                             ;   in Loop: Header=BB117_16 Depth=1
	global_load_b64 v[13:14], v[9:10], off
	global_load_b64 v[15:16], v[7:8], off
	v_add_co_u32 v5, vcc_lo, v5, 8
	v_add_nc_u32_e32 v1, 1, v1
	v_add_co_ci_u32_e32 v6, vcc_lo, 0, v6, vcc_lo
	v_add_co_u32 v7, vcc_lo, v7, 8
	v_add_co_ci_u32_e32 v8, vcc_lo, 0, v8, vcc_lo
	s_delay_alu instid0(VALU_DEP_4) | instskip(SKIP_1) | instid1(VALU_DEP_1)
	v_cmp_le_u32_e32 vcc_lo, s14, v1
	v_add_co_u32 v9, s2, v9, 8
	v_add_co_ci_u32_e64 v10, s2, 0, v10, s2
	s_or_b32 s9, vcc_lo, s9
	s_waitcnt vmcnt(1)
	v_mul_f64 v[11:12], v[11:12], v[13:14]
	s_waitcnt vmcnt(0)
	s_delay_alu instid0(VALU_DEP_1) | instskip(SKIP_1) | instid1(VALU_DEP_1)
	v_mul_f64 v[11:12], v[15:16], v[11:12]
	s_waitcnt lgkmcnt(0)
	v_fma_f64 v[3:4], s[4:5], v[11:12], v[3:4]
	s_and_not1_b32 exec_lo, exec_lo, s9
	s_cbranch_execz .LBB117_18
.LBB117_16:                             ; =>This Inner Loop Header: Depth=1
	s_and_not1_b32 vcc_lo, exec_lo, s8
	s_cbranch_vccz .LBB117_14
; %bb.17:                               ;   in Loop: Header=BB117_16 Depth=1
	v_mov_b32_e32 v11, 0
	v_mov_b32_e32 v12, 0x3ff00000
	s_branch .LBB117_15
.LBB117_18:
	s_set_inst_prefetch_distance 0x2
	s_or_b32 exec_lo, exec_lo, s9
.LBB117_19:
	s_delay_alu instid0(SALU_CYCLE_1)
	s_or_b32 exec_lo, exec_lo, s3
	v_mbcnt_lo_u32_b32 v9, -1, 0
	v_and_b32_e32 v10, 31, v0
	s_mov_b32 s2, exec_lo
	s_waitcnt lgkmcnt(0)
	s_barrier
	v_cmp_gt_u32_e32 vcc_lo, 16, v9
	buffer_gl0_inv
	v_cndmask_b32_e64 v1, 0, 1, vcc_lo
	v_cmp_gt_u32_e32 vcc_lo, 24, v9
	s_delay_alu instid0(VALU_DEP_2) | instskip(NEXT) | instid1(VALU_DEP_1)
	v_lshlrev_b32_e32 v1, 4, v1
	v_add_lshl_u32 v5, v1, v9, 2
	ds_bpermute_b32 v1, v5, v3
	ds_bpermute_b32 v2, v5, v4
	s_waitcnt lgkmcnt(0)
	v_add_f64 v[1:2], v[3:4], v[1:2]
	v_cndmask_b32_e64 v3, 0, 1, vcc_lo
	v_cmp_gt_u32_e32 vcc_lo, 28, v9
	s_delay_alu instid0(VALU_DEP_2) | instskip(NEXT) | instid1(VALU_DEP_1)
	v_lshlrev_b32_e32 v3, 3, v3
	v_add_lshl_u32 v6, v3, v9, 2
	ds_bpermute_b32 v3, v6, v1
	ds_bpermute_b32 v4, v6, v2
	s_waitcnt lgkmcnt(0)
	v_add_f64 v[1:2], v[1:2], v[3:4]
	;; [unrolled: 9-line block ×3, first 2 shown]
	v_cndmask_b32_e64 v3, 0, 1, vcc_lo
	v_cmp_ne_u32_e32 vcc_lo, 31, v9
	s_delay_alu instid0(VALU_DEP_2) | instskip(NEXT) | instid1(VALU_DEP_1)
	v_lshlrev_b32_e32 v3, 1, v3
	v_add_lshl_u32 v8, v3, v9, 2
	ds_bpermute_b32 v3, v8, v1
	ds_bpermute_b32 v4, v8, v2
	s_waitcnt lgkmcnt(0)
	v_add_f64 v[1:2], v[1:2], v[3:4]
	v_add_co_ci_u32_e32 v3, vcc_lo, 0, v9, vcc_lo
	s_delay_alu instid0(VALU_DEP_1)
	v_lshlrev_b32_e32 v9, 2, v3
	ds_bpermute_b32 v3, v9, v1
	ds_bpermute_b32 v4, v9, v2
	v_cmpx_eq_u32_e32 0, v10
	s_cbranch_execz .LBB117_21
; %bb.20:
	s_waitcnt lgkmcnt(0)
	v_add_f64 v[1:2], v[1:2], v[3:4]
	v_lshrrev_b32_e32 v3, 2, v0
	s_delay_alu instid0(VALU_DEP_1)
	v_add_nc_u32_e32 v3, 0, v3
	ds_store_b64 v3, v[1:2]
.LBB117_21:
	s_or_b32 exec_lo, exec_lo, s2
	s_waitcnt lgkmcnt(0)
	s_barrier
	buffer_gl0_inv
	s_load_b32 s2, s[0:1], 0x44
	v_mov_b32_e32 v1, 0
	v_mov_b32_e32 v2, 0
	s_waitcnt lgkmcnt(0)
	s_bfe_u32 s3, s2, 0xb0005
	s_delay_alu instid0(SALU_CYCLE_1)
	v_cmp_gt_u32_e32 vcc_lo, s3, v0
	s_and_saveexec_b32 s3, vcc_lo
	s_cbranch_execz .LBB117_23
; %bb.22:
	v_lshl_add_u32 v1, v10, 3, 0
	ds_load_b64 v[1:2], v1
.LBB117_23:
	s_or_b32 exec_lo, exec_lo, s3
	s_delay_alu instid0(SALU_CYCLE_1)
	s_mov_b32 s3, exec_lo
	v_cmpx_gt_u32_e32 32, v0
	s_cbranch_execz .LBB117_25
; %bb.24:
	s_waitcnt lgkmcnt(0)
	ds_bpermute_b32 v3, v5, v1
	ds_bpermute_b32 v4, v5, v2
	s_waitcnt lgkmcnt(0)
	v_add_f64 v[1:2], v[1:2], v[3:4]
	ds_bpermute_b32 v3, v6, v1
	ds_bpermute_b32 v4, v6, v2
	s_waitcnt lgkmcnt(0)
	v_add_f64 v[1:2], v[1:2], v[3:4]
	;; [unrolled: 4-line block ×5, first 2 shown]
.LBB117_25:
	s_or_b32 exec_lo, exec_lo, s3
	s_delay_alu instid0(SALU_CYCLE_1)
	s_mov_b32 s3, exec_lo
	v_cmpx_eq_u32_e32 0, v0
	s_cbranch_execz .LBB117_27
; %bb.26:
	v_mov_b32_e32 v3, 0
	s_waitcnt lgkmcnt(0)
	ds_store_b64 v3, v[1:2] offset:8
.LBB117_27:
	s_or_b32 exec_lo, exec_lo, s3
	s_waitcnt lgkmcnt(0)
	s_barrier
	buffer_gl0_inv
	s_mov_b32 s3, exec_lo
	v_cmpx_gt_i32_e64 s14, v0
	s_cbranch_execz .LBB117_33
; %bb.28:
	v_cvt_f64_i32_e32 v[2:3], s14
	s_load_b64 s[8:9], s[0:1], 0x28
	v_mov_b32_e32 v1, 0
	s_and_b32 s1, s2, 0xffff
	s_waitcnt lgkmcnt(0)
	s_add_u32 s2, s8, s12
	s_addc_u32 s3, s9, s13
	s_cmp_lg_u64 s[6:7], 0
	s_mov_b32 s9, 0
	s_cselect_b32 s8, -1, 0
	s_delay_alu instid0(VALU_DEP_2) | instskip(NEXT) | instid1(VALU_DEP_1)
	v_div_scale_f64 v[4:5], null, v[2:3], v[2:3], 1.0
	v_rcp_f64_e32 v[6:7], v[4:5]
	s_waitcnt_depctr 0xfff
	v_fma_f64 v[8:9], -v[4:5], v[6:7], 1.0
	s_delay_alu instid0(VALU_DEP_1) | instskip(NEXT) | instid1(VALU_DEP_1)
	v_fma_f64 v[6:7], v[6:7], v[8:9], v[6:7]
	v_fma_f64 v[8:9], -v[4:5], v[6:7], 1.0
	s_delay_alu instid0(VALU_DEP_1) | instskip(SKIP_1) | instid1(VALU_DEP_1)
	v_fma_f64 v[6:7], v[6:7], v[8:9], v[6:7]
	v_div_scale_f64 v[8:9], vcc_lo, 1.0, v[2:3], 1.0
	v_mul_f64 v[10:11], v[8:9], v[6:7]
	s_delay_alu instid0(VALU_DEP_1) | instskip(NEXT) | instid1(VALU_DEP_1)
	v_fma_f64 v[4:5], -v[4:5], v[10:11], v[8:9]
	v_div_fmas_f64 v[4:5], v[4:5], v[6:7], v[10:11]
	ds_load_b64 v[6:7], v1 offset:8
	v_div_fixup_f64 v[4:5], v[4:5], v[2:3], 1.0
	s_delay_alu instid0(VALU_DEP_1)
	v_mul_f64 v[4:5], v[4:5], s[4:5]
	s_set_inst_prefetch_distance 0x1
	s_branch .LBB117_31
	.p2align	6
.LBB117_29:                             ;   in Loop: Header=BB117_31 Depth=1
	v_add_co_u32 v14, vcc_lo, s6, v8
	v_add_co_ci_u32_e32 v15, vcc_lo, s7, v9, vcc_lo
	global_load_b64 v[14:15], v[14:15], off
.LBB117_30:                             ;   in Loop: Header=BB117_31 Depth=1
	s_waitcnt vmcnt(1)
	v_mul_f64 v[10:11], s[4:5], v[10:11]
	s_waitcnt vmcnt(0)
	v_mul_f64 v[14:15], v[14:15], v[2:3]
	v_add_nc_u32_e32 v0, s1, v0
	v_add_co_u32 v8, s0, s2, v8
	s_delay_alu instid0(VALU_DEP_1) | instskip(NEXT) | instid1(VALU_DEP_3)
	v_add_co_ci_u32_e64 v9, s0, s3, v9, s0
	v_cmp_le_i32_e32 vcc_lo, s14, v0
	s_or_b32 s9, vcc_lo, s9
	s_waitcnt lgkmcnt(0)
	v_mul_f64 v[10:11], v[6:7], v[10:11]
	s_delay_alu instid0(VALU_DEP_1) | instskip(NEXT) | instid1(VALU_DEP_1)
	v_fma_f64 v[10:11], v[12:13], v[14:15], -v[10:11]
	v_mul_f64 v[10:11], v[4:5], v[10:11]
	global_store_b64 v[8:9], v[10:11], off
	s_and_not1_b32 exec_lo, exec_lo, s9
	s_cbranch_execz .LBB117_33
.LBB117_31:                             ; =>This Inner Loop Header: Depth=1
	v_ashrrev_i32_e32 v1, 31, v0
	s_delay_alu instid0(VALU_DEP_1) | instskip(NEXT) | instid1(VALU_DEP_1)
	v_lshlrev_b64 v[8:9], 3, v[0:1]
	v_add_co_u32 v10, vcc_lo, s15, v8
	s_delay_alu instid0(VALU_DEP_2)
	v_add_co_ci_u32_e32 v11, vcc_lo, s16, v9, vcc_lo
	v_add_co_u32 v12, vcc_lo, s17, v8
	v_add_co_ci_u32_e32 v13, vcc_lo, s18, v9, vcc_lo
	s_and_not1_b32 vcc_lo, exec_lo, s8
	global_load_b64 v[10:11], v[10:11], off
	global_load_b64 v[12:13], v[12:13], off
	s_cbranch_vccz .LBB117_29
; %bb.32:                               ;   in Loop: Header=BB117_31 Depth=1
	v_mov_b32_e32 v14, 0
	v_mov_b32_e32 v15, 0x3ff00000
	s_branch .LBB117_30
.LBB117_33:
	s_set_inst_prefetch_distance 0x2
	s_nop 0
	s_sendmsg sendmsg(MSG_DEALLOC_VGPRS)
	s_endpgm
	.section	.rodata,"a",@progbits
	.p2align	6, 0x0
	.amdhsa_kernel _ZN2at6native12_GLOBAL__N_128layer_norm_grad_input_kernelIddLb1EEEvPKT_S5_PKT0_S8_S5_PS3_i
		.amdhsa_group_segment_fixed_size 0
		.amdhsa_private_segment_fixed_size 0
		.amdhsa_kernarg_size 312
		.amdhsa_user_sgpr_count 15
		.amdhsa_user_sgpr_dispatch_ptr 0
		.amdhsa_user_sgpr_queue_ptr 0
		.amdhsa_user_sgpr_kernarg_segment_ptr 1
		.amdhsa_user_sgpr_dispatch_id 0
		.amdhsa_user_sgpr_private_segment_size 0
		.amdhsa_wavefront_size32 1
		.amdhsa_uses_dynamic_stack 0
		.amdhsa_enable_private_segment 0
		.amdhsa_system_sgpr_workgroup_id_x 1
		.amdhsa_system_sgpr_workgroup_id_y 0
		.amdhsa_system_sgpr_workgroup_id_z 0
		.amdhsa_system_sgpr_workgroup_info 0
		.amdhsa_system_vgpr_workitem_id 0
		.amdhsa_next_free_vgpr 31
		.amdhsa_next_free_sgpr 27
		.amdhsa_reserve_vcc 1
		.amdhsa_float_round_mode_32 0
		.amdhsa_float_round_mode_16_64 0
		.amdhsa_float_denorm_mode_32 3
		.amdhsa_float_denorm_mode_16_64 3
		.amdhsa_dx10_clamp 1
		.amdhsa_ieee_mode 1
		.amdhsa_fp16_overflow 0
		.amdhsa_workgroup_processor_mode 1
		.amdhsa_memory_ordered 1
		.amdhsa_forward_progress 0
		.amdhsa_shared_vgpr_count 0
		.amdhsa_exception_fp_ieee_invalid_op 0
		.amdhsa_exception_fp_denorm_src 0
		.amdhsa_exception_fp_ieee_div_zero 0
		.amdhsa_exception_fp_ieee_overflow 0
		.amdhsa_exception_fp_ieee_underflow 0
		.amdhsa_exception_fp_ieee_inexact 0
		.amdhsa_exception_int_div_zero 0
	.end_amdhsa_kernel
	.section	.text._ZN2at6native12_GLOBAL__N_128layer_norm_grad_input_kernelIddLb1EEEvPKT_S5_PKT0_S8_S5_PS3_i,"axG",@progbits,_ZN2at6native12_GLOBAL__N_128layer_norm_grad_input_kernelIddLb1EEEvPKT_S5_PKT0_S8_S5_PS3_i,comdat
.Lfunc_end117:
	.size	_ZN2at6native12_GLOBAL__N_128layer_norm_grad_input_kernelIddLb1EEEvPKT_S5_PKT0_S8_S5_PS3_i, .Lfunc_end117-_ZN2at6native12_GLOBAL__N_128layer_norm_grad_input_kernelIddLb1EEEvPKT_S5_PKT0_S8_S5_PS3_i
                                        ; -- End function
	.section	.AMDGPU.csdata,"",@progbits
; Kernel info:
; codeLenInByte = 1976
; NumSgprs: 29
; NumVgprs: 31
; ScratchSize: 0
; MemoryBound: 0
; FloatMode: 240
; IeeeMode: 1
; LDSByteSize: 0 bytes/workgroup (compile time only)
; SGPRBlocks: 3
; VGPRBlocks: 3
; NumSGPRsForWavesPerEU: 29
; NumVGPRsForWavesPerEU: 31
; Occupancy: 16
; WaveLimiterHint : 0
; COMPUTE_PGM_RSRC2:SCRATCH_EN: 0
; COMPUTE_PGM_RSRC2:USER_SGPR: 15
; COMPUTE_PGM_RSRC2:TRAP_HANDLER: 0
; COMPUTE_PGM_RSRC2:TGID_X_EN: 1
; COMPUTE_PGM_RSRC2:TGID_Y_EN: 0
; COMPUTE_PGM_RSRC2:TGID_Z_EN: 0
; COMPUTE_PGM_RSRC2:TIDIG_COMP_CNT: 0
	.section	.text._ZN2at6native12_GLOBAL__N_133GammaBetaBackwardSimpleCUDAKernelIddLb1EEEvllPKT_S5_PKT0_S8_PS3_S9_,"axG",@progbits,_ZN2at6native12_GLOBAL__N_133GammaBetaBackwardSimpleCUDAKernelIddLb1EEEvllPKT_S5_PKT0_S8_PS3_S9_,comdat
	.globl	_ZN2at6native12_GLOBAL__N_133GammaBetaBackwardSimpleCUDAKernelIddLb1EEEvllPKT_S5_PKT0_S8_PS3_S9_ ; -- Begin function _ZN2at6native12_GLOBAL__N_133GammaBetaBackwardSimpleCUDAKernelIddLb1EEEvllPKT_S5_PKT0_S8_PS3_S9_
	.p2align	8
	.type	_ZN2at6native12_GLOBAL__N_133GammaBetaBackwardSimpleCUDAKernelIddLb1EEEvllPKT_S5_PKT0_S8_PS3_S9_,@function
_ZN2at6native12_GLOBAL__N_133GammaBetaBackwardSimpleCUDAKernelIddLb1EEEvllPKT_S5_PKT0_S8_PS3_S9_: ; @_ZN2at6native12_GLOBAL__N_133GammaBetaBackwardSimpleCUDAKernelIddLb1EEEvllPKT_S5_PKT0_S8_PS3_S9_
; %bb.0:
	s_clause 0x1
	s_load_b32 s2, s[0:1], 0x4c
	s_load_b256 s[4:11], s[0:1], 0x0
	v_mov_b32_e32 v1, 0
	s_waitcnt lgkmcnt(0)
	s_and_b32 s2, s2, 0xffff
	s_delay_alu instid0(VALU_DEP_1) | instid1(SALU_CYCLE_1)
	v_mad_u64_u32 v[2:3], null, s2, s15, v[0:1]
	s_mov_b32 s2, exec_lo
	s_delay_alu instid0(VALU_DEP_1)
	v_cmpx_gt_i64_e64 s[6:7], v[2:3]
	s_cbranch_execz .LBB118_9
; %bb.1:
	s_load_b128 s[0:3], s[0:1], 0x28
	v_cmp_lt_i64_e64 s12, s[4:5], 1
	v_lshlrev_b64 v[0:1], 3, v[2:3]
	s_delay_alu instid0(VALU_DEP_2)
	s_and_b32 vcc_lo, exec_lo, s12
	s_cbranch_vccnz .LBB118_6
; %bb.2:
	s_delay_alu instid0(VALU_DEP_1) | instskip(NEXT) | instid1(VALU_DEP_2)
	v_dual_mov_b32 v4, 0 :: v_dual_mov_b32 v7, v1
	v_dual_mov_b32 v5, 0 :: v_dual_mov_b32 v6, v0
	s_delay_alu instid0(VALU_DEP_2) | instskip(SKIP_2) | instid1(VALU_DEP_2)
	v_mov_b32_e32 v2, v4
	s_waitcnt lgkmcnt(0)
	s_cmp_lg_u64 s[2:3], 0
	v_mov_b32_e32 v3, v5
	s_cselect_b32 s12, -1, 0
	s_lshl_b64 s[6:7], s[6:7], 3
	s_set_inst_prefetch_distance 0x1
	s_branch .LBB118_4
	.p2align	6
.LBB118_3:                              ;   in Loop: Header=BB118_4 Depth=1
	s_delay_alu instid0(VALU_DEP_1)
	v_add_f64 v[2:3], v[2:3], v[8:9]
	v_add_co_u32 v6, vcc_lo, v6, s6
	s_add_u32 s4, s4, -1
	s_addc_u32 s5, s5, -1
	v_add_co_ci_u32_e32 v7, vcc_lo, s7, v7, vcc_lo
	s_add_u32 s0, s0, 8
	s_addc_u32 s1, s1, 0
	s_cmp_eq_u64 s[4:5], 0
	s_cbranch_scc1 .LBB118_7
.LBB118_4:                              ; =>This Inner Loop Header: Depth=1
	v_dual_mov_b32 v9, v5 :: v_dual_mov_b32 v8, v4
	s_and_not1_b32 vcc_lo, exec_lo, s12
	s_cbranch_vccnz .LBB118_3
; %bb.5:                                ;   in Loop: Header=BB118_4 Depth=1
	v_add_co_u32 v8, vcc_lo, s8, v6
	v_add_co_ci_u32_e32 v9, vcc_lo, s9, v7, vcc_lo
	v_add_co_u32 v10, vcc_lo, s10, v6
	v_add_co_ci_u32_e32 v11, vcc_lo, s11, v7, vcc_lo
	global_load_b64 v[8:9], v[8:9], off
	global_load_b64 v[10:11], v[10:11], off
	s_load_b64 s[14:15], s[0:1], 0x0
	s_waitcnt vmcnt(0)
	v_mul_f64 v[8:9], v[8:9], v[10:11]
	s_waitcnt lgkmcnt(0)
	s_delay_alu instid0(VALU_DEP_1)
	v_mul_f64 v[8:9], v[8:9], s[14:15]
	s_branch .LBB118_3
.LBB118_6:
	v_mov_b32_e32 v2, 0
	v_mov_b32_e32 v3, 0
.LBB118_7:
	s_set_inst_prefetch_distance 0x2
	s_waitcnt lgkmcnt(0)
	s_cmp_lg_u64 s[2:3], 0
	s_cbranch_scc0 .LBB118_9
; %bb.8:
	v_add_co_u32 v0, vcc_lo, s2, v0
	v_add_co_ci_u32_e32 v1, vcc_lo, s3, v1, vcc_lo
	global_store_b64 v[0:1], v[2:3], off
.LBB118_9:
	s_nop 0
	s_sendmsg sendmsg(MSG_DEALLOC_VGPRS)
	s_endpgm
	.section	.rodata,"a",@progbits
	.p2align	6, 0x0
	.amdhsa_kernel _ZN2at6native12_GLOBAL__N_133GammaBetaBackwardSimpleCUDAKernelIddLb1EEEvllPKT_S5_PKT0_S8_PS3_S9_
		.amdhsa_group_segment_fixed_size 0
		.amdhsa_private_segment_fixed_size 0
		.amdhsa_kernarg_size 320
		.amdhsa_user_sgpr_count 15
		.amdhsa_user_sgpr_dispatch_ptr 0
		.amdhsa_user_sgpr_queue_ptr 0
		.amdhsa_user_sgpr_kernarg_segment_ptr 1
		.amdhsa_user_sgpr_dispatch_id 0
		.amdhsa_user_sgpr_private_segment_size 0
		.amdhsa_wavefront_size32 1
		.amdhsa_uses_dynamic_stack 0
		.amdhsa_enable_private_segment 0
		.amdhsa_system_sgpr_workgroup_id_x 1
		.amdhsa_system_sgpr_workgroup_id_y 0
		.amdhsa_system_sgpr_workgroup_id_z 0
		.amdhsa_system_sgpr_workgroup_info 0
		.amdhsa_system_vgpr_workitem_id 0
		.amdhsa_next_free_vgpr 12
		.amdhsa_next_free_sgpr 16
		.amdhsa_reserve_vcc 1
		.amdhsa_float_round_mode_32 0
		.amdhsa_float_round_mode_16_64 0
		.amdhsa_float_denorm_mode_32 3
		.amdhsa_float_denorm_mode_16_64 3
		.amdhsa_dx10_clamp 1
		.amdhsa_ieee_mode 1
		.amdhsa_fp16_overflow 0
		.amdhsa_workgroup_processor_mode 1
		.amdhsa_memory_ordered 1
		.amdhsa_forward_progress 0
		.amdhsa_shared_vgpr_count 0
		.amdhsa_exception_fp_ieee_invalid_op 0
		.amdhsa_exception_fp_denorm_src 0
		.amdhsa_exception_fp_ieee_div_zero 0
		.amdhsa_exception_fp_ieee_overflow 0
		.amdhsa_exception_fp_ieee_underflow 0
		.amdhsa_exception_fp_ieee_inexact 0
		.amdhsa_exception_int_div_zero 0
	.end_amdhsa_kernel
	.section	.text._ZN2at6native12_GLOBAL__N_133GammaBetaBackwardSimpleCUDAKernelIddLb1EEEvllPKT_S5_PKT0_S8_PS3_S9_,"axG",@progbits,_ZN2at6native12_GLOBAL__N_133GammaBetaBackwardSimpleCUDAKernelIddLb1EEEvllPKT_S5_PKT0_S8_PS3_S9_,comdat
.Lfunc_end118:
	.size	_ZN2at6native12_GLOBAL__N_133GammaBetaBackwardSimpleCUDAKernelIddLb1EEEvllPKT_S5_PKT0_S8_PS3_S9_, .Lfunc_end118-_ZN2at6native12_GLOBAL__N_133GammaBetaBackwardSimpleCUDAKernelIddLb1EEEvllPKT_S5_PKT0_S8_PS3_S9_
                                        ; -- End function
	.section	.AMDGPU.csdata,"",@progbits
; Kernel info:
; codeLenInByte = 360
; NumSgprs: 18
; NumVgprs: 12
; ScratchSize: 0
; MemoryBound: 1
; FloatMode: 240
; IeeeMode: 1
; LDSByteSize: 0 bytes/workgroup (compile time only)
; SGPRBlocks: 2
; VGPRBlocks: 1
; NumSGPRsForWavesPerEU: 18
; NumVGPRsForWavesPerEU: 12
; Occupancy: 16
; WaveLimiterHint : 0
; COMPUTE_PGM_RSRC2:SCRATCH_EN: 0
; COMPUTE_PGM_RSRC2:USER_SGPR: 15
; COMPUTE_PGM_RSRC2:TRAP_HANDLER: 0
; COMPUTE_PGM_RSRC2:TGID_X_EN: 1
; COMPUTE_PGM_RSRC2:TGID_Y_EN: 0
; COMPUTE_PGM_RSRC2:TGID_Z_EN: 0
; COMPUTE_PGM_RSRC2:TIDIG_COMP_CNT: 0
	.section	.text._ZN2at6native12_GLOBAL__N_135GammaBetaBackwardCUDAKernelTemplateIddLj64ELj1ELj32ELb1ELb1ELb1EEEvllPKT_S5_PKT0_S8_PS3_S9_,"axG",@progbits,_ZN2at6native12_GLOBAL__N_135GammaBetaBackwardCUDAKernelTemplateIddLj64ELj1ELj32ELb1ELb1ELb1EEEvllPKT_S5_PKT0_S8_PS3_S9_,comdat
	.globl	_ZN2at6native12_GLOBAL__N_135GammaBetaBackwardCUDAKernelTemplateIddLj64ELj1ELj32ELb1ELb1ELb1EEEvllPKT_S5_PKT0_S8_PS3_S9_ ; -- Begin function _ZN2at6native12_GLOBAL__N_135GammaBetaBackwardCUDAKernelTemplateIddLj64ELj1ELj32ELb1ELb1ELb1EEEvllPKT_S5_PKT0_S8_PS3_S9_
	.p2align	8
	.type	_ZN2at6native12_GLOBAL__N_135GammaBetaBackwardCUDAKernelTemplateIddLj64ELj1ELj32ELb1ELb1ELb1EEEvllPKT_S5_PKT0_S8_PS3_S9_,@function
_ZN2at6native12_GLOBAL__N_135GammaBetaBackwardCUDAKernelTemplateIddLj64ELj1ELj32ELb1ELb1ELb1EEEvllPKT_S5_PKT0_S8_PS3_S9_: ; @_ZN2at6native12_GLOBAL__N_135GammaBetaBackwardCUDAKernelTemplateIddLj64ELj1ELj32ELb1ELb1ELb1EEEvllPKT_S5_PKT0_S8_PS3_S9_
; %bb.0:
	s_clause 0x1
	s_load_b128 s[4:7], s[0:1], 0x0
	s_load_b64 s[2:3], s[0:1], 0x30
	s_mov_b32 s13, 0
	s_lshl_b32 s12, s15, 5
	v_mov_b32_e32 v12, 0
	v_mov_b32_e32 v13, 0
	v_bfe_u32 v1, v0, 10, 10
	v_and_b32_e32 v0, 0x3ff, v0
	s_waitcnt lgkmcnt(0)
	v_cmp_ge_i64_e64 s8, s[12:13], s[4:5]
	s_delay_alu instid0(VALU_DEP_1)
	s_and_b32 vcc_lo, exec_lo, s8
	s_cbranch_vccnz .LBB119_5
; %bb.1:
	s_clause 0x3
	s_load_b32 s16, s[0:1], 0x4c
	s_load_b32 s17, s[0:1], 0x44
	s_load_b128 s[8:11], s[0:1], 0x10
	s_load_b64 s[18:19], s[0:1], 0x28
	v_dual_mov_b32 v3, 0 :: v_dual_lshlrev_b32 v4, 5, v1
	v_lshl_or_b32 v2, s14, 6, v0
	v_mov_b32_e32 v33, 0x50
	v_mov_b32_e32 v30, 0x44
	v_dual_mov_b32 v14, 4 :: v_dual_mov_b32 v15, 8
	v_dual_mov_b32 v16, 12 :: v_dual_mov_b32 v17, 16
	;; [unrolled: 1-line block ×6, first 2 shown]
	s_waitcnt lgkmcnt(0)
	s_and_b32 s16, s16, 0xffff
	v_dual_mov_b32 v26, 52 :: v_dual_mov_b32 v27, 56
	v_mad_u32_u24 v5, v1, s16, v0
	v_add_co_u32 v9, s16, v4, s12
	s_delay_alu instid0(VALU_DEP_1) | instskip(NEXT) | instid1(VALU_DEP_3)
	v_add_co_ci_u32_e64 v10, null, 0, 0, s16
	v_dual_mov_b32 v31, 0x48 :: v_dual_and_b32 v8, 31, v5
	s_delay_alu instid0(VALU_DEP_3) | instskip(NEXT) | instid1(VALU_DEP_3)
	v_mul_lo_u32 v6, s7, v9
	v_mul_lo_u32 v7, s6, v10
	v_mad_u64_u32 v[4:5], null, s6, v9, 0
	s_lshl_b32 s16, s17, 5
	v_dual_mov_b32 v28, 60 :: v_dual_mov_b32 v29, 64
	s_mul_i32 s20, s7, s16
	s_mul_hi_u32 s21, s6, s16
	v_mov_b32_e32 v34, 0x54
	s_delay_alu instid0(VALU_DEP_3)
	v_add3_u32 v5, v5, v7, v6
	v_mov_b32_e32 v36, 0x5c
	v_mov_b32_e32 v37, 0x60
	;; [unrolled: 1-line block ×4, first 2 shown]
	v_lshlrev_b64 v[6:7], 3, v[4:5]
	v_add_co_u32 v4, vcc_lo, v9, v8
	v_lshlrev_b64 v[8:9], 3, v[2:3]
	v_add_co_ci_u32_e32 v5, vcc_lo, 0, v10, vcc_lo
	v_mov_b32_e32 v40, 0x6c
	v_mov_b32_e32 v41, 0x70
	;; [unrolled: 1-line block ×3, first 2 shown]
	v_add_co_u32 v2, vcc_lo, v6, v8
	v_lshlrev_b64 v[10:11], 3, v[4:5]
	v_add_co_ci_u32_e32 v45, vcc_lo, v7, v9, vcc_lo
	v_mov_b32_e32 v6, 0
	v_dual_mov_b32 v7, 0 :: v_dual_mov_b32 v32, 0x4c
	s_delay_alu instid0(VALU_DEP_4) | instskip(SKIP_1) | instid1(VALU_DEP_3)
	v_add_co_u32 v8, vcc_lo, s18, v10
	v_mov_b32_e32 v35, 0x58
	v_dual_mov_b32 v13, v7 :: v_dual_mov_b32 v12, v6
	v_mov_b32_e32 v43, 0x78
	v_mov_b32_e32 v44, 0x7c
	v_add_co_ci_u32_e32 v9, vcc_lo, s19, v11, vcc_lo
	s_mov_b32 s17, s13
	s_add_i32 s21, s21, s20
	s_mul_i32 s20, s6, s16
	s_lshl_b64 s[22:23], s[6:7], 3
	s_lshl_b64 s[18:19], s[20:21], 3
	;; [unrolled: 1-line block ×3, first 2 shown]
	s_branch .LBB119_3
.LBB119_2:                              ;   in Loop: Header=BB119_3 Depth=1
	s_or_b32 exec_lo, exec_lo, s17
	v_add_co_u32 v46, vcc_lo, s8, v2
	v_add_co_ci_u32_e32 v47, vcc_lo, s9, v45, vcc_lo
	v_add_co_u32 v48, vcc_lo, s10, v2
	v_add_co_ci_u32_e32 v49, vcc_lo, s11, v45, vcc_lo
	s_add_u32 s12, s12, s16
	global_load_b64 v[50:51], v[46:47], off
	global_load_b64 v[52:53], v[48:49], off
	v_add_co_u32 v46, vcc_lo, v46, s22
	v_add_co_ci_u32_e32 v47, vcc_lo, s23, v47, vcc_lo
	v_add_co_u32 v48, vcc_lo, v48, s22
	v_add_co_ci_u32_e32 v49, vcc_lo, s23, v49, vcc_lo
	global_load_b64 v[54:55], v[46:47], off
	global_load_b64 v[56:57], v[48:49], off
	v_add_co_u32 v46, vcc_lo, v46, s22
	v_add_co_ci_u32_e32 v47, vcc_lo, s23, v47, vcc_lo
	v_add_co_u32 v48, vcc_lo, v48, s22
	v_add_co_ci_u32_e32 v49, vcc_lo, s23, v49, vcc_lo
	;; [unrolled: 6-line block ×10, first 2 shown]
	s_addc_u32 s13, s13, 0
	s_delay_alu instid0(SALU_CYCLE_1)
	v_cmp_lt_i64_e64 s17, s[12:13], s[4:5]
	s_waitcnt vmcnt(18)
	v_mul_f64 v[50:51], v[50:51], v[52:53]
	ds_bpermute_b32 v52, v3, v10
	ds_bpermute_b32 v53, v3, v11
	s_waitcnt vmcnt(16)
	v_mul_f64 v[54:55], v[54:55], v[56:57]
	s_waitcnt vmcnt(14)
	v_mul_f64 v[58:59], v[58:59], v[60:61]
	s_waitcnt vmcnt(12)
	v_mul_f64 v[62:63], v[62:63], v[64:65]
	s_waitcnt lgkmcnt(0)
	v_fma_f64 v[12:13], v[50:51], v[52:53], v[12:13]
	ds_bpermute_b32 v50, v14, v10
	ds_bpermute_b32 v51, v14, v11
	global_load_b64 v[52:53], v[46:47], off
	global_load_b64 v[56:57], v[48:49], off
	v_add_co_u32 v46, vcc_lo, v46, s22
	v_add_co_ci_u32_e32 v47, vcc_lo, s23, v47, vcc_lo
	v_add_co_u32 v48, vcc_lo, v48, s22
	v_add_co_ci_u32_e32 v49, vcc_lo, s23, v49, vcc_lo
	s_waitcnt vmcnt(12)
	v_mul_f64 v[66:67], v[66:67], v[68:69]
	s_waitcnt vmcnt(10)
	v_mul_f64 v[70:71], v[70:71], v[72:73]
	s_waitcnt vmcnt(8)
	v_mul_f64 v[74:75], v[74:75], v[76:77]
	s_waitcnt lgkmcnt(0)
	v_fma_f64 v[12:13], v[54:55], v[50:51], v[12:13]
	ds_bpermute_b32 v50, v15, v10
	ds_bpermute_b32 v51, v15, v11
	global_load_b64 v[54:55], v[46:47], off
	global_load_b64 v[60:61], v[48:49], off
	v_add_co_u32 v46, vcc_lo, v46, s22
	v_add_co_ci_u32_e32 v47, vcc_lo, s23, v47, vcc_lo
	v_add_co_u32 v48, vcc_lo, v48, s22
	v_add_co_ci_u32_e32 v49, vcc_lo, s23, v49, vcc_lo
	;; [unrolled: 16-line block ×3, first 2 shown]
	s_waitcnt lgkmcnt(0)
	v_fma_f64 v[12:13], v[62:63], v[50:51], v[12:13]
	ds_bpermute_b32 v50, v17, v10
	ds_bpermute_b32 v51, v17, v11
	global_load_b64 v[62:63], v[46:47], off
	global_load_b64 v[68:69], v[48:49], off
	v_add_co_u32 v46, vcc_lo, v46, s22
	v_add_co_ci_u32_e32 v47, vcc_lo, s23, v47, vcc_lo
	v_add_co_u32 v48, vcc_lo, v48, s22
	v_add_co_ci_u32_e32 v49, vcc_lo, s23, v49, vcc_lo
	s_waitcnt lgkmcnt(0)
	v_fma_f64 v[12:13], v[66:67], v[50:51], v[12:13]
	ds_bpermute_b32 v50, v18, v10
	ds_bpermute_b32 v51, v18, v11
	global_load_b64 v[66:67], v[46:47], off
	global_load_b64 v[72:73], v[48:49], off
	v_add_co_u32 v46, vcc_lo, v46, s22
	v_add_co_ci_u32_e32 v47, vcc_lo, s23, v47, vcc_lo
	v_add_co_u32 v48, vcc_lo, v48, s22
	v_add_co_ci_u32_e32 v49, vcc_lo, s23, v49, vcc_lo
	;; [unrolled: 10-line block ×6, first 2 shown]
	s_waitcnt vmcnt(16)
	v_mul_f64 v[52:53], v[52:53], v[56:57]
	s_waitcnt lgkmcnt(0)
	v_fma_f64 v[12:13], v[86:87], v[50:51], v[12:13]
	ds_bpermute_b32 v50, v23, v10
	ds_bpermute_b32 v51, v23, v11
	global_load_b64 v[56:57], v[46:47], off
	global_load_b64 v[86:87], v[48:49], off
	v_add_co_u32 v46, vcc_lo, v46, s22
	v_add_co_ci_u32_e32 v47, vcc_lo, s23, v47, vcc_lo
	v_add_co_u32 v48, vcc_lo, v48, s22
	v_add_co_ci_u32_e32 v49, vcc_lo, s23, v49, vcc_lo
	s_waitcnt vmcnt(16)
	v_mul_f64 v[54:55], v[54:55], v[60:61]
	s_waitcnt lgkmcnt(0)
	v_fma_f64 v[12:13], v[52:53], v[50:51], v[12:13]
	ds_bpermute_b32 v50, v24, v10
	ds_bpermute_b32 v51, v24, v11
	global_load_b64 v[52:53], v[46:47], off
	global_load_b64 v[60:61], v[48:49], off
	v_add_co_u32 v46, vcc_lo, v46, s22
	v_add_co_ci_u32_e32 v47, vcc_lo, s23, v47, vcc_lo
	v_add_co_u32 v48, vcc_lo, v48, s22
	v_add_co_ci_u32_e32 v49, vcc_lo, s23, v49, vcc_lo
	;; [unrolled: 12-line block ×12, first 2 shown]
	global_load_b64 v[46:47], v[46:47], off
	global_load_b64 v[48:49], v[48:49], off
	v_add_co_u32 v2, vcc_lo, v2, s18
	v_add_co_ci_u32_e32 v45, vcc_lo, s19, v45, vcc_lo
	s_waitcnt vmcnt(18)
	v_mul_f64 v[58:59], v[58:59], v[68:69]
	v_add_co_u32 v8, vcc_lo, v8, s20
	v_add_co_ci_u32_e32 v9, vcc_lo, s21, v9, vcc_lo
	v_add_co_u32 v4, vcc_lo, v4, s16
	v_add_co_ci_u32_e32 v5, vcc_lo, 0, v5, vcc_lo
	s_and_b32 vcc_lo, exec_lo, s17
	s_waitcnt lgkmcnt(0)
	v_fma_f64 v[12:13], v[54:55], v[50:51], v[12:13]
	ds_bpermute_b32 v50, v35, v10
	ds_bpermute_b32 v51, v35, v11
	s_waitcnt vmcnt(16)
	v_mul_f64 v[54:55], v[62:63], v[72:73]
	s_waitcnt lgkmcnt(0)
	v_fma_f64 v[12:13], v[58:59], v[50:51], v[12:13]
	ds_bpermute_b32 v50, v36, v10
	ds_bpermute_b32 v51, v36, v11
	s_waitcnt vmcnt(14)
	v_mul_f64 v[58:59], v[66:67], v[76:77]
	s_waitcnt lgkmcnt(0)
	v_fma_f64 v[12:13], v[54:55], v[50:51], v[12:13]
	ds_bpermute_b32 v50, v37, v10
	ds_bpermute_b32 v51, v37, v11
	s_waitcnt vmcnt(12)
	v_mul_f64 v[54:55], v[70:71], v[80:81]
	s_waitcnt lgkmcnt(0)
	v_fma_f64 v[12:13], v[58:59], v[50:51], v[12:13]
	ds_bpermute_b32 v50, v38, v10
	ds_bpermute_b32 v51, v38, v11
	s_waitcnt vmcnt(10)
	v_mul_f64 v[58:59], v[74:75], v[84:85]
	s_waitcnt lgkmcnt(0)
	v_fma_f64 v[12:13], v[54:55], v[50:51], v[12:13]
	ds_bpermute_b32 v50, v39, v10
	ds_bpermute_b32 v51, v39, v11
	s_waitcnt vmcnt(8)
	v_mul_f64 v[54:55], v[78:79], v[88:89]
	s_waitcnt lgkmcnt(0)
	v_fma_f64 v[12:13], v[58:59], v[50:51], v[12:13]
	ds_bpermute_b32 v50, v40, v10
	ds_bpermute_b32 v51, v40, v11
	s_waitcnt vmcnt(6)
	v_mul_f64 v[58:59], v[82:83], v[86:87]
	s_waitcnt lgkmcnt(0)
	v_fma_f64 v[12:13], v[54:55], v[50:51], v[12:13]
	ds_bpermute_b32 v50, v41, v10
	ds_bpermute_b32 v51, v41, v11
	s_waitcnt vmcnt(4)
	v_mul_f64 v[54:55], v[56:57], v[60:61]
	s_waitcnt lgkmcnt(0)
	v_fma_f64 v[12:13], v[58:59], v[50:51], v[12:13]
	ds_bpermute_b32 v50, v42, v10
	ds_bpermute_b32 v51, v42, v11
	s_waitcnt vmcnt(2)
	v_mul_f64 v[52:53], v[52:53], v[64:65]
	s_waitcnt vmcnt(0)
	v_mul_f64 v[46:47], v[46:47], v[48:49]
	s_waitcnt lgkmcnt(0)
	v_fma_f64 v[12:13], v[54:55], v[50:51], v[12:13]
	ds_bpermute_b32 v50, v43, v10
	ds_bpermute_b32 v51, v43, v11
	;; [unrolled: 1-line block ×4, first 2 shown]
	s_waitcnt lgkmcnt(2)
	v_fma_f64 v[12:13], v[52:53], v[50:51], v[12:13]
	s_waitcnt lgkmcnt(0)
	s_delay_alu instid0(VALU_DEP_1)
	v_fma_f64 v[12:13], v[46:47], v[10:11], v[12:13]
	s_cbranch_vccz .LBB119_5
.LBB119_3:                              ; =>This Inner Loop Header: Depth=1
	v_dual_mov_b32 v11, v7 :: v_dual_mov_b32 v10, v6
	s_mov_b32 s17, exec_lo
	v_cmpx_gt_i64_e64 s[4:5], v[4:5]
	s_cbranch_execz .LBB119_2
; %bb.4:                                ;   in Loop: Header=BB119_3 Depth=1
	global_load_b64 v[10:11], v[8:9], off
	s_branch .LBB119_2
.LBB119_5:
	s_cmp_eq_u64 s[2:3], 0
	s_cbranch_scc1 .LBB119_7
; %bb.6:
	s_load_b32 s0, s[0:1], 0x4c
	v_mov_b32_e32 v2, 0
	v_lshlrev_b32_e32 v0, 3, v0
	s_waitcnt lgkmcnt(0)
	s_lshr_b32 s0, s0, 16
	s_delay_alu instid0(VALU_DEP_2) | instid1(SALU_CYCLE_1)
	v_mad_u64_u32 v[3:4], null, s0, s15, v[1:2]
	s_mov_b32 s15, 0
	s_delay_alu instid0(SALU_CYCLE_1) | instskip(NEXT) | instid1(SALU_CYCLE_1)
	s_lshl_b64 s[0:1], s[14:15], 9
	s_add_u32 s0, s0, s2
	s_addc_u32 s1, s1, s3
	s_delay_alu instid0(VALU_DEP_1) | instskip(NEXT) | instid1(VALU_DEP_2)
	v_mul_lo_u32 v4, v4, s6
	v_mul_lo_u32 v5, v3, s7
	v_mad_u64_u32 v[1:2], null, v3, s6, 0
	s_delay_alu instid0(VALU_DEP_1) | instskip(NEXT) | instid1(VALU_DEP_1)
	v_add3_u32 v2, v2, v5, v4
	v_lshlrev_b64 v[1:2], 3, v[1:2]
	s_delay_alu instid0(VALU_DEP_1) | instskip(NEXT) | instid1(VALU_DEP_2)
	v_add_co_u32 v1, vcc_lo, s0, v1
	v_add_co_ci_u32_e32 v2, vcc_lo, s1, v2, vcc_lo
	s_delay_alu instid0(VALU_DEP_2) | instskip(NEXT) | instid1(VALU_DEP_2)
	v_add_co_u32 v0, vcc_lo, v1, v0
	v_add_co_ci_u32_e32 v1, vcc_lo, 0, v2, vcc_lo
	global_store_b64 v[0:1], v[12:13], off
.LBB119_7:
	s_nop 0
	s_sendmsg sendmsg(MSG_DEALLOC_VGPRS)
	s_endpgm
	.section	.rodata,"a",@progbits
	.p2align	6, 0x0
	.amdhsa_kernel _ZN2at6native12_GLOBAL__N_135GammaBetaBackwardCUDAKernelTemplateIddLj64ELj1ELj32ELb1ELb1ELb1EEEvllPKT_S5_PKT0_S8_PS3_S9_
		.amdhsa_group_segment_fixed_size 0
		.amdhsa_private_segment_fixed_size 0
		.amdhsa_kernarg_size 320
		.amdhsa_user_sgpr_count 14
		.amdhsa_user_sgpr_dispatch_ptr 0
		.amdhsa_user_sgpr_queue_ptr 0
		.amdhsa_user_sgpr_kernarg_segment_ptr 1
		.amdhsa_user_sgpr_dispatch_id 0
		.amdhsa_user_sgpr_private_segment_size 0
		.amdhsa_wavefront_size32 1
		.amdhsa_uses_dynamic_stack 0
		.amdhsa_enable_private_segment 0
		.amdhsa_system_sgpr_workgroup_id_x 1
		.amdhsa_system_sgpr_workgroup_id_y 1
		.amdhsa_system_sgpr_workgroup_id_z 0
		.amdhsa_system_sgpr_workgroup_info 0
		.amdhsa_system_vgpr_workitem_id 1
		.amdhsa_next_free_vgpr 90
		.amdhsa_next_free_sgpr 24
		.amdhsa_reserve_vcc 1
		.amdhsa_float_round_mode_32 0
		.amdhsa_float_round_mode_16_64 0
		.amdhsa_float_denorm_mode_32 3
		.amdhsa_float_denorm_mode_16_64 3
		.amdhsa_dx10_clamp 1
		.amdhsa_ieee_mode 1
		.amdhsa_fp16_overflow 0
		.amdhsa_workgroup_processor_mode 1
		.amdhsa_memory_ordered 1
		.amdhsa_forward_progress 0
		.amdhsa_shared_vgpr_count 0
		.amdhsa_exception_fp_ieee_invalid_op 0
		.amdhsa_exception_fp_denorm_src 0
		.amdhsa_exception_fp_ieee_div_zero 0
		.amdhsa_exception_fp_ieee_overflow 0
		.amdhsa_exception_fp_ieee_underflow 0
		.amdhsa_exception_fp_ieee_inexact 0
		.amdhsa_exception_int_div_zero 0
	.end_amdhsa_kernel
	.section	.text._ZN2at6native12_GLOBAL__N_135GammaBetaBackwardCUDAKernelTemplateIddLj64ELj1ELj32ELb1ELb1ELb1EEEvllPKT_S5_PKT0_S8_PS3_S9_,"axG",@progbits,_ZN2at6native12_GLOBAL__N_135GammaBetaBackwardCUDAKernelTemplateIddLj64ELj1ELj32ELb1ELb1ELb1EEEvllPKT_S5_PKT0_S8_PS3_S9_,comdat
.Lfunc_end119:
	.size	_ZN2at6native12_GLOBAL__N_135GammaBetaBackwardCUDAKernelTemplateIddLj64ELj1ELj32ELb1ELb1ELb1EEEvllPKT_S5_PKT0_S8_PS3_S9_, .Lfunc_end119-_ZN2at6native12_GLOBAL__N_135GammaBetaBackwardCUDAKernelTemplateIddLj64ELj1ELj32ELb1ELb1ELb1EEEvllPKT_S5_PKT0_S8_PS3_S9_
                                        ; -- End function
	.section	.AMDGPU.csdata,"",@progbits
; Kernel info:
; codeLenInByte = 3348
; NumSgprs: 26
; NumVgprs: 90
; ScratchSize: 0
; MemoryBound: 0
; FloatMode: 240
; IeeeMode: 1
; LDSByteSize: 0 bytes/workgroup (compile time only)
; SGPRBlocks: 3
; VGPRBlocks: 11
; NumSGPRsForWavesPerEU: 26
; NumVGPRsForWavesPerEU: 90
; Occupancy: 16
; WaveLimiterHint : 0
; COMPUTE_PGM_RSRC2:SCRATCH_EN: 0
; COMPUTE_PGM_RSRC2:USER_SGPR: 14
; COMPUTE_PGM_RSRC2:TRAP_HANDLER: 0
; COMPUTE_PGM_RSRC2:TGID_X_EN: 1
; COMPUTE_PGM_RSRC2:TGID_Y_EN: 1
; COMPUTE_PGM_RSRC2:TGID_Z_EN: 0
; COMPUTE_PGM_RSRC2:TIDIG_COMP_CNT: 1
	.section	.text._ZN2at6native12_GLOBAL__N_135GammaBetaBackwardCUDAKernelTemplateIddLj64ELj1ELj32ELb1ELb0ELb1EEEvllPKT_S5_PKT0_S8_PS3_S9_,"axG",@progbits,_ZN2at6native12_GLOBAL__N_135GammaBetaBackwardCUDAKernelTemplateIddLj64ELj1ELj32ELb1ELb0ELb1EEEvllPKT_S5_PKT0_S8_PS3_S9_,comdat
	.globl	_ZN2at6native12_GLOBAL__N_135GammaBetaBackwardCUDAKernelTemplateIddLj64ELj1ELj32ELb1ELb0ELb1EEEvllPKT_S5_PKT0_S8_PS3_S9_ ; -- Begin function _ZN2at6native12_GLOBAL__N_135GammaBetaBackwardCUDAKernelTemplateIddLj64ELj1ELj32ELb1ELb0ELb1EEEvllPKT_S5_PKT0_S8_PS3_S9_
	.p2align	8
	.type	_ZN2at6native12_GLOBAL__N_135GammaBetaBackwardCUDAKernelTemplateIddLj64ELj1ELj32ELb1ELb0ELb1EEEvllPKT_S5_PKT0_S8_PS3_S9_,@function
_ZN2at6native12_GLOBAL__N_135GammaBetaBackwardCUDAKernelTemplateIddLj64ELj1ELj32ELb1ELb0ELb1EEEvllPKT_S5_PKT0_S8_PS3_S9_: ; @_ZN2at6native12_GLOBAL__N_135GammaBetaBackwardCUDAKernelTemplateIddLj64ELj1ELj32ELb1ELb0ELb1EEEvllPKT_S5_PKT0_S8_PS3_S9_
; %bb.0:
	s_clause 0x1
	s_load_b256 s[16:23], s[0:1], 0x0
	s_load_b64 s[6:7], s[0:1], 0x28
	s_mov_b32 s2, s15
	s_lshl_b32 s15, s14, 6
	s_mov_b32 s9, 0
	s_or_b32 s8, s15, 63
	s_waitcnt lgkmcnt(0)
	v_cmp_ge_i64_e64 s3, s[8:9], s[18:19]
	s_lshl_b32 s8, s2, 5
	s_delay_alu instid0(SALU_CYCLE_1) | instskip(NEXT) | instid1(VALU_DEP_2)
	v_cmp_lt_i64_e64 s26, s[8:9], s[16:17]
	s_and_b32 vcc_lo, exec_lo, s3
	s_delay_alu instid0(VALU_DEP_1) | instskip(NEXT) | instid1(VALU_DEP_1)
	v_cndmask_b32_e64 v1, 0, 1, s26
	v_cmp_ne_u32_e64 s3, 1, v1
	s_cbranch_vccz .LBB120_140
; %bb.1:
	v_mov_b32_e32 v125, 0
	v_mov_b32_e32 v126, 0
	s_delay_alu instid0(VALU_DEP_3)
	s_and_b32 vcc_lo, exec_lo, s3
	s_cbranch_vccnz .LBB120_142
; %bb.2:
	v_bfe_u32 v1, v0, 10, 10
	s_load_b32 s4, s[0:1], 0x44
	v_mov_b32_e32 v125, 0
	s_add_u32 s10, s0, 64
	s_addc_u32 s11, s1, 0
	v_dual_mov_b32 v2, 0 :: v_dual_lshlrev_b32 v137, 5, v1
	s_clause 0x1
	scratch_store_b32 off, v1, off offset:48
	scratch_store_b32 off, v0, off offset:572
	v_dual_mov_b32 v126, 0 :: v_dual_and_b32 v1, 0x3ff, v0
	v_add_co_u32 v0, s3, v137, s8
	s_delay_alu instid0(VALU_DEP_1) | instskip(SKIP_4) | instid1(VALU_DEP_3)
	v_add_co_ci_u32_e64 v5, null, 0, 0, s3
	scratch_store_b32 off, v1, off offset:52 ; 4-byte Folded Spill
	v_add_co_u32 v3, vcc_lo, v0, 31
	v_add_co_ci_u32_e32 v4, vcc_lo, 0, v5, vcc_lo
	v_add_co_u32 v10, vcc_lo, v0, 30
	v_mul_lo_u32 v8, s19, v3
	s_delay_alu instid0(VALU_DEP_3)
	v_mul_lo_u32 v4, s18, v4
	v_mad_u64_u32 v[6:7], null, s18, v3, 0
	v_add_co_ci_u32_e32 v9, vcc_lo, 0, v5, vcc_lo
	v_mul_lo_u32 v11, s19, v10
	v_add_nc_u32_e32 v1, s15, v1
	s_waitcnt lgkmcnt(0)
	s_lshl_b32 s27, s4, 5
	v_mul_lo_u32 v12, s18, v9
	v_add3_u32 v7, v7, v4, v8
	v_mad_u64_u32 v[8:9], null, s18, v10, 0
	v_cmp_gt_i64_e64 s3, s[18:19], v[1:2]
	v_lshlrev_b64 v[3:4], 3, v[1:2]
	s_delay_alu instid0(VALU_DEP_4)
	v_lshlrev_b64 v[6:7], 3, v[6:7]
	s_mul_i32 s4, s19, s27
	s_mul_hi_u32 s5, s18, s27
	v_mov_b32_e32 v139, v2
	v_add3_u32 v9, v9, v12, v11
	s_add_i32 s13, s5, s4
	v_add_co_u32 v1, vcc_lo, s20, v6
	v_add_co_ci_u32_e32 v140, vcc_lo, s21, v7, vcc_lo
	v_add_co_u32 v10, vcc_lo, v0, 29
	v_add_co_u32 v141, s4, s22, v6
	s_delay_alu instid0(VALU_DEP_1) | instskip(SKIP_4) | instid1(VALU_DEP_3)
	v_add_co_ci_u32_e64 v142, s4, s23, v7, s4
	v_lshlrev_b64 v[6:7], 3, v[8:9]
	v_add_co_ci_u32_e32 v8, vcc_lo, 0, v5, vcc_lo
	v_add_co_u32 v13, vcc_lo, v0, 28
	v_mul_lo_u32 v12, s19, v10
	v_mul_lo_u32 v14, s18, v8
	v_mad_u64_u32 v[8:9], null, s18, v10, 0
	v_add_co_ci_u32_e32 v11, vcc_lo, 0, v5, vcc_lo
	v_mul_lo_u32 v15, s19, v13
	v_add_co_u32 v143, vcc_lo, s20, v6
	s_delay_alu instid0(VALU_DEP_3)
	v_mul_lo_u32 v16, s18, v11
	v_mad_u64_u32 v[10:11], null, s18, v13, 0
	v_add3_u32 v9, v9, v14, v12
	v_add_co_ci_u32_e32 v144, vcc_lo, s21, v7, vcc_lo
	v_add_co_u32 v145, vcc_lo, s22, v6
	v_add_co_ci_u32_e32 v146, vcc_lo, s23, v7, vcc_lo
	s_delay_alu instid0(VALU_DEP_4) | instskip(SKIP_3) | instid1(VALU_DEP_4)
	v_lshlrev_b64 v[6:7], 3, v[8:9]
	v_add3_u32 v11, v11, v16, v15
	v_add_co_u32 v12, vcc_lo, v0, 27
	v_add_co_ci_u32_e32 v13, vcc_lo, 0, v5, vcc_lo
	v_add_co_u32 v147, vcc_lo, s20, v6
	s_delay_alu instid0(VALU_DEP_4)
	v_lshlrev_b64 v[8:9], 3, v[10:11]
	v_add_co_ci_u32_e32 v148, vcc_lo, s21, v7, vcc_lo
	v_add_co_u32 v149, vcc_lo, s22, v6
	v_mul_lo_u32 v14, s19, v12
	v_mul_lo_u32 v13, s18, v13
	v_mad_u64_u32 v[10:11], null, s18, v12, 0
	v_add_co_ci_u32_e32 v150, vcc_lo, s23, v7, vcc_lo
	v_add_co_u32 v151, vcc_lo, s20, v8
	v_add_co_ci_u32_e32 v152, vcc_lo, s21, v9, vcc_lo
	v_add_co_u32 v12, vcc_lo, v0, 26
	v_add_co_u32 v153, s4, s22, v8
	v_add_co_ci_u32_e32 v8, vcc_lo, 0, v5, vcc_lo
	v_add3_u32 v11, v11, v13, v14
	v_add_co_u32 v14, vcc_lo, v0, 25
	v_add_co_ci_u32_e64 v154, s4, s23, v9, s4
	v_mul_lo_u32 v13, s19, v12
	v_mul_lo_u32 v15, s18, v8
	v_mad_u64_u32 v[8:9], null, s18, v12, 0
	v_lshlrev_b64 v[6:7], 3, v[10:11]
	v_add_co_ci_u32_e32 v10, vcc_lo, 0, v5, vcc_lo
	v_mul_lo_u32 v12, s19, v14
	s_mul_i32 s12, s18, s27
	s_mov_b64 s[24:25], s[8:9]
	s_delay_alu instid0(VALU_DEP_2)
	v_mul_lo_u32 v16, s18, v10
	v_mad_u64_u32 v[10:11], null, s18, v14, 0
	v_add_co_u32 v155, vcc_lo, s20, v6
	v_add3_u32 v9, v9, v15, v13
	v_add_co_ci_u32_e32 v156, vcc_lo, s21, v7, vcc_lo
	v_add_co_u32 v157, vcc_lo, s22, v6
	v_add_co_ci_u32_e32 v158, vcc_lo, s23, v7, vcc_lo
	s_delay_alu instid0(VALU_DEP_4) | instskip(SKIP_3) | instid1(VALU_DEP_4)
	v_lshlrev_b64 v[6:7], 3, v[8:9]
	v_add3_u32 v11, v11, v16, v12
	v_add_co_u32 v12, vcc_lo, v0, 24
	v_add_co_ci_u32_e32 v13, vcc_lo, 0, v5, vcc_lo
	v_add_co_u32 v159, vcc_lo, s20, v6
	s_delay_alu instid0(VALU_DEP_4)
	v_lshlrev_b64 v[8:9], 3, v[10:11]
	v_add_co_ci_u32_e32 v160, vcc_lo, s21, v7, vcc_lo
	v_add_co_u32 v161, vcc_lo, s22, v6
	v_mul_lo_u32 v14, s19, v12
	v_mul_lo_u32 v13, s18, v13
	v_mad_u64_u32 v[10:11], null, s18, v12, 0
	v_add_co_ci_u32_e32 v162, vcc_lo, s23, v7, vcc_lo
	v_add_co_u32 v163, vcc_lo, s20, v8
	v_add_co_ci_u32_e32 v164, vcc_lo, s21, v9, vcc_lo
	v_add_co_u32 v12, vcc_lo, v0, 23
	v_add_co_u32 v165, s4, s22, v8
	v_add_co_ci_u32_e32 v8, vcc_lo, 0, v5, vcc_lo
	v_add3_u32 v11, v11, v13, v14
	v_add_co_u32 v14, vcc_lo, v0, 22
	v_add_co_ci_u32_e64 v166, s4, s23, v9, s4
	v_mul_lo_u32 v13, s19, v12
	v_mul_lo_u32 v15, s18, v8
	v_mad_u64_u32 v[8:9], null, s18, v12, 0
	v_lshlrev_b64 v[6:7], 3, v[10:11]
	v_add_co_ci_u32_e32 v10, vcc_lo, 0, v5, vcc_lo
	v_mul_lo_u32 v12, s19, v14
	s_lshl_b64 s[12:13], s[12:13], 3
	s_delay_alu instid0(VALU_DEP_2)
	v_mul_lo_u32 v16, s18, v10
	v_mad_u64_u32 v[10:11], null, s18, v14, 0
	v_add_co_u32 v167, vcc_lo, s20, v6
	v_add3_u32 v9, v9, v15, v13
	v_add_co_ci_u32_e32 v168, vcc_lo, s21, v7, vcc_lo
	v_add_co_u32 v169, vcc_lo, s22, v6
	v_add_co_ci_u32_e32 v170, vcc_lo, s23, v7, vcc_lo
	s_delay_alu instid0(VALU_DEP_4) | instskip(SKIP_3) | instid1(VALU_DEP_4)
	v_lshlrev_b64 v[6:7], 3, v[8:9]
	v_add3_u32 v11, v11, v16, v12
	v_add_co_u32 v12, vcc_lo, v0, 21
	v_add_co_ci_u32_e32 v13, vcc_lo, 0, v5, vcc_lo
	v_add_co_u32 v171, vcc_lo, s20, v6
	s_delay_alu instid0(VALU_DEP_4)
	v_lshlrev_b64 v[8:9], 3, v[10:11]
	v_add_co_ci_u32_e32 v172, vcc_lo, s21, v7, vcc_lo
	v_add_co_u32 v173, vcc_lo, s22, v6
	v_mul_lo_u32 v14, s19, v12
	v_mul_lo_u32 v13, s18, v13
	v_mad_u64_u32 v[10:11], null, s18, v12, 0
	v_add_co_ci_u32_e32 v174, vcc_lo, s23, v7, vcc_lo
	v_add_co_u32 v175, vcc_lo, s20, v8
	v_add_co_ci_u32_e32 v176, vcc_lo, s21, v9, vcc_lo
	v_add_co_u32 v12, vcc_lo, v0, 20
	v_add_co_u32 v177, s4, s22, v8
	v_add_co_ci_u32_e32 v8, vcc_lo, 0, v5, vcc_lo
	v_add3_u32 v11, v11, v13, v14
	v_add_co_u32 v14, vcc_lo, v0, 19
	v_add_co_ci_u32_e64 v178, s4, s23, v9, s4
	v_mul_lo_u32 v13, s19, v12
	v_mul_lo_u32 v15, s18, v8
	v_mad_u64_u32 v[8:9], null, s18, v12, 0
	v_lshlrev_b64 v[6:7], 3, v[10:11]
	v_add_co_ci_u32_e32 v10, vcc_lo, 0, v5, vcc_lo
	v_mul_lo_u32 v12, s19, v14
	s_delay_alu instid0(VALU_DEP_2)
	v_mul_lo_u32 v16, s18, v10
	v_mad_u64_u32 v[10:11], null, s18, v14, 0
	v_add_co_u32 v179, vcc_lo, s20, v6
	v_add3_u32 v9, v9, v15, v13
	v_add_co_ci_u32_e32 v180, vcc_lo, s21, v7, vcc_lo
	v_add_co_u32 v181, vcc_lo, s22, v6
	v_add_co_ci_u32_e32 v182, vcc_lo, s23, v7, vcc_lo
	s_delay_alu instid0(VALU_DEP_4) | instskip(SKIP_3) | instid1(VALU_DEP_4)
	v_lshlrev_b64 v[6:7], 3, v[8:9]
	v_add3_u32 v11, v11, v16, v12
	v_add_co_u32 v12, vcc_lo, v0, 18
	v_add_co_ci_u32_e32 v13, vcc_lo, 0, v5, vcc_lo
	v_add_co_u32 v183, vcc_lo, s20, v6
	s_delay_alu instid0(VALU_DEP_4)
	v_lshlrev_b64 v[8:9], 3, v[10:11]
	v_add_co_ci_u32_e32 v184, vcc_lo, s21, v7, vcc_lo
	v_add_co_u32 v185, vcc_lo, s22, v6
	v_mul_lo_u32 v14, s19, v12
	v_mul_lo_u32 v13, s18, v13
	v_mad_u64_u32 v[10:11], null, s18, v12, 0
	v_add_co_ci_u32_e32 v186, vcc_lo, s23, v7, vcc_lo
	v_add_co_u32 v187, vcc_lo, s20, v8
	v_add_co_ci_u32_e32 v188, vcc_lo, s21, v9, vcc_lo
	v_add_co_u32 v12, vcc_lo, v0, 17
	v_add_co_u32 v189, s4, s22, v8
	v_add_co_ci_u32_e32 v8, vcc_lo, 0, v5, vcc_lo
	v_add3_u32 v11, v11, v13, v14
	v_add_co_u32 v14, vcc_lo, v0, 16
	v_add_co_ci_u32_e64 v190, s4, s23, v9, s4
	v_mul_lo_u32 v13, s19, v12
	v_mul_lo_u32 v15, s18, v8
	v_mad_u64_u32 v[8:9], null, s18, v12, 0
	v_lshlrev_b64 v[6:7], 3, v[10:11]
	v_add_co_ci_u32_e32 v10, vcc_lo, 0, v5, vcc_lo
	v_mul_lo_u32 v12, s19, v14
	;; [unrolled: 36-line block ×6, first 2 shown]
	s_mov_b64 s[4:5], 31
	s_delay_alu instid0(VALU_DEP_2)
	v_mul_lo_u32 v16, s18, v10
	v_mad_u64_u32 v[10:11], null, s18, v14, 0
	v_add_co_u32 v239, vcc_lo, s20, v6
	v_add3_u32 v9, v9, v15, v13
	v_add_co_ci_u32_e32 v240, vcc_lo, s21, v7, vcc_lo
	v_add_co_u32 v241, vcc_lo, s22, v6
	v_add_co_ci_u32_e32 v242, vcc_lo, s23, v7, vcc_lo
	s_delay_alu instid0(VALU_DEP_4) | instskip(SKIP_3) | instid1(VALU_DEP_4)
	v_lshlrev_b64 v[6:7], 3, v[8:9]
	v_add3_u32 v11, v11, v16, v12
	v_add_co_u32 v12, vcc_lo, v0, 3
	v_add_co_ci_u32_e32 v13, vcc_lo, 0, v5, vcc_lo
	v_add_co_u32 v243, vcc_lo, s20, v6
	s_delay_alu instid0(VALU_DEP_4)
	v_lshlrev_b64 v[8:9], 3, v[10:11]
	v_add_co_ci_u32_e32 v244, vcc_lo, s21, v7, vcc_lo
	v_mul_lo_u32 v14, s19, v12
	v_mul_lo_u32 v13, s18, v13
	v_mad_u64_u32 v[10:11], null, s18, v12, 0
	v_add_co_u32 v245, vcc_lo, s22, v6
	v_add_co_ci_u32_e32 v246, vcc_lo, s23, v7, vcc_lo
	v_add_co_u32 v247, vcc_lo, s20, v8
	v_add_co_ci_u32_e32 v248, vcc_lo, s21, v9, vcc_lo
	v_add_co_u32 v12, vcc_lo, v0, 2
	v_add3_u32 v11, v11, v13, v14
	v_add_co_ci_u32_e32 v13, vcc_lo, 0, v5, vcc_lo
	v_add_co_u32 v249, vcc_lo, s22, v8
	v_add_co_ci_u32_e32 v250, vcc_lo, s23, v9, vcc_lo
	s_delay_alu instid0(VALU_DEP_4)
	v_lshlrev_b64 v[6:7], 3, v[10:11]
	v_mul_lo_u32 v14, s19, v12
	v_mul_lo_u32 v13, s18, v13
	v_mad_u64_u32 v[8:9], null, s18, v12, 0
	v_mul_lo_u32 v12, s19, v0
	v_mul_lo_u32 v5, s18, v5
	v_mad_u64_u32 v[10:11], null, s18, v0, 0
	v_add_co_u32 v251, vcc_lo, s20, v6
	v_add_co_ci_u32_e32 v252, vcc_lo, s21, v7, vcc_lo
	v_add3_u32 v9, v9, v13, v14
	v_add_co_u32 v253, vcc_lo, s22, v6
	v_add3_u32 v11, v11, v5, v12
	v_add_co_ci_u32_e32 v254, vcc_lo, s23, v7, vcc_lo
	v_add_co_u32 v7, vcc_lo, v10, s18
	v_lshlrev_b64 v[5:6], 3, v[8:9]
	s_delay_alu instid0(VALU_DEP_4) | instskip(NEXT) | instid1(VALU_DEP_2)
	v_add_co_ci_u32_e32 v8, vcc_lo, s19, v11, vcc_lo
	v_add_co_u32 v255, vcc_lo, s20, v5
	s_delay_alu instid0(VALU_DEP_2) | instskip(NEXT) | instid1(VALU_DEP_4)
	v_lshlrev_b64 v[7:8], 3, v[7:8]
	v_add_co_ci_u32_e32 v0, vcc_lo, s21, v6, vcc_lo
	v_add_co_u32 v138, vcc_lo, s22, v5
	v_add_co_ci_u32_e32 v15, vcc_lo, s23, v6, vcc_lo
	s_delay_alu instid0(VALU_DEP_4) | instskip(SKIP_4) | instid1(VALU_DEP_4)
	v_add_co_u32 v16, vcc_lo, s20, v7
	v_lshlrev_b64 v[5:6], 3, v[10:11]
	v_add_co_ci_u32_e32 v17, vcc_lo, s21, v8, vcc_lo
	v_add_co_u32 v18, vcc_lo, s22, v7
	v_add_co_ci_u32_e32 v23, vcc_lo, s23, v8, vcc_lo
	v_add_co_u32 v24, vcc_lo, s20, v5
	;; [unrolled: 2-line block ×3, first 2 shown]
	v_add_co_ci_u32_e32 v31, vcc_lo, s23, v6, vcc_lo
	s_branch .LBB120_5
.LBB120_3:                              ;   in Loop: Header=BB120_5 Depth=1
	s_or_b32 exec_lo, exec_lo, s28
	s_waitcnt vmcnt(0)
	s_delay_alu instid0(VALU_DEP_1)
	v_mul_f64 v[7:8], v[7:8], v[21:22]
	ds_bpermute_b32 v21, v2, v5
	ds_bpermute_b32 v22, v2, v6
	v_mul_f64 v[9:10], v[29:30], v[9:10]
	s_waitcnt lgkmcnt(0)
	v_fma_f64 v[7:8], v[7:8], v[21:22], v[125:126]
	s_clause 0x1
	scratch_load_b64 v[13:14], off, off
	scratch_load_b64 v[21:22], off, off offset:8
	ds_bpermute_b32 v125, v2, v5 offset:4
	ds_bpermute_b32 v126, v2, v6 offset:4
	s_waitcnt vmcnt(0)
	v_mul_f64 v[21:22], v[13:14], v[21:22]
	scratch_load_b64 v[13:14], off, off offset:16 ; 8-byte Folded Reload
	s_waitcnt lgkmcnt(0)
	v_fma_f64 v[7:8], v[21:22], v[125:126], v[7:8]
	ds_bpermute_b32 v21, v2, v5 offset:8
	ds_bpermute_b32 v22, v2, v6 offset:8
	s_waitcnt vmcnt(0)
	v_mul_f64 v[11:12], v[11:12], v[13:14]
	ds_bpermute_b32 v13, v2, v5 offset:12
	ds_bpermute_b32 v14, v2, v6 offset:12
	s_waitcnt lgkmcnt(2)
	v_fma_f64 v[7:8], v[11:12], v[21:22], v[7:8]
	scratch_load_b64 v[11:12], off, off offset:24 ; 8-byte Folded Reload
	s_waitcnt vmcnt(0)
	v_mul_f64 v[11:12], v[11:12], v[135:136]
	s_waitcnt lgkmcnt(0)
	s_delay_alu instid0(VALU_DEP_1)
	v_fma_f64 v[7:8], v[11:12], v[13:14], v[7:8]
	scratch_load_b64 v[11:12], off, off offset:32 ; 8-byte Folded Reload
	ds_bpermute_b32 v13, v2, v5 offset:16
	ds_bpermute_b32 v14, v2, v6 offset:16
	s_waitcnt vmcnt(0)
	v_mul_f64 v[11:12], v[19:20], v[11:12]
	s_waitcnt lgkmcnt(0)
	s_delay_alu instid0(VALU_DEP_1)
	v_fma_f64 v[7:8], v[11:12], v[13:14], v[7:8]
	ds_bpermute_b32 v11, v2, v5 offset:20
	ds_bpermute_b32 v12, v2, v6 offset:20
	;; [unrolled: 1-line block ×4, first 2 shown]
	s_waitcnt lgkmcnt(2)
	v_fma_f64 v[7:8], v[9:10], v[11:12], v[7:8]
	v_mul_f64 v[9:10], v[27:28], v[33:34]
	ds_bpermute_b32 v11, v2, v5 offset:24
	ds_bpermute_b32 v12, v2, v6 offset:24
	s_waitcnt lgkmcnt(0)
	v_fma_f64 v[7:8], v[9:10], v[11:12], v[7:8]
	v_mul_f64 v[9:10], v[37:38], v[39:40]
	ds_bpermute_b32 v11, v2, v5 offset:28
	ds_bpermute_b32 v12, v2, v6 offset:28
	;; [unrolled: 5-line block ×9, first 2 shown]
	s_waitcnt lgkmcnt(0)
	v_fma_f64 v[7:8], v[9:10], v[11:12], v[7:8]
	v_mul_f64 v[9:10], v[69:70], v[71:72]
	v_mul_f64 v[11:12], v[67:68], v[75:76]
	s_delay_alu instid0(VALU_DEP_2)
	v_fma_f64 v[7:8], v[9:10], v[13:14], v[7:8]
	ds_bpermute_b32 v9, v2, v5 offset:64
	ds_bpermute_b32 v10, v2, v6 offset:64
	v_mul_f64 v[13:14], v[79:80], v[81:82]
	s_waitcnt lgkmcnt(0)
	v_fma_f64 v[7:8], v[11:12], v[9:10], v[7:8]
	ds_bpermute_b32 v9, v2, v5 offset:68
	ds_bpermute_b32 v10, v2, v6 offset:68
	v_mul_f64 v[11:12], v[73:74], v[83:84]
	s_waitcnt lgkmcnt(0)
	;; [unrolled: 5-line block ×13, first 2 shown]
	v_fma_f64 v[7:8], v[11:12], v[9:10], v[7:8]
	ds_bpermute_b32 v9, v2, v5 offset:116
	ds_bpermute_b32 v10, v2, v6 offset:116
	;; [unrolled: 1-line block ×4, first 2 shown]
	s_waitcnt lgkmcnt(2)
	v_fma_f64 v[7:8], v[13:14], v[9:10], v[7:8]
	v_mul_f64 v[9:10], v[127:128], v[133:134]
	s_waitcnt lgkmcnt(0)
	s_delay_alu instid0(VALU_DEP_1)
	v_fma_f64 v[9:10], v[9:10], v[11:12], v[7:8]
	ds_bpermute_b32 v7, v2, v5 offset:124
	ds_bpermute_b32 v8, v2, v6 offset:124
.LBB120_4:                              ;   in Loop: Header=BB120_5 Depth=1
	v_add_co_u32 v1, vcc_lo, v1, s12
	v_add_co_ci_u32_e32 v140, vcc_lo, s13, v140, vcc_lo
	v_add_co_u32 v141, vcc_lo, v141, s12
	v_add_co_ci_u32_e32 v142, vcc_lo, s13, v142, vcc_lo
	;; [unrolled: 2-line block ×53, first 2 shown]
	v_add_co_u32 v245, vcc_lo, v245, s12
	s_waitcnt lgkmcnt(0)
	v_fma_f64 v[125:126], v[77:78], v[7:8], v[9:10]
	v_add_co_ci_u32_e32 v246, vcc_lo, s13, v246, vcc_lo
	v_add_co_u32 v247, vcc_lo, v247, s12
	v_add_co_ci_u32_e32 v248, vcc_lo, s13, v248, vcc_lo
	v_add_co_u32 v249, vcc_lo, v249, s12
	;; [unrolled: 2-line block ×9, first 2 shown]
	s_add_u32 s24, s24, s27
	v_add_co_ci_u32_e32 v25, vcc_lo, s13, v25, vcc_lo
	s_addc_u32 s25, s25, 0
	v_add_co_u32 v26, vcc_lo, v26, s12
	v_add_co_ci_u32_e32 v31, vcc_lo, s13, v31, vcc_lo
	v_cmp_lt_i64_e64 s28, s[24:25], s[16:17]
	v_add_co_u32 v137, vcc_lo, v137, s27
	v_add_co_ci_u32_e32 v139, vcc_lo, 0, v139, vcc_lo
	s_add_u32 s4, s4, s27
	s_addc_u32 s5, s5, 0
	s_delay_alu instid0(VALU_DEP_3)
	s_and_b32 vcc_lo, exec_lo, s28
	s_cbranch_vccz .LBB120_141
.LBB120_5:                              ; =>This Inner Loop Header: Depth=1
	s_add_u32 s28, s8, s4
	s_addc_u32 s29, 0, s5
	v_add_co_u32 v5, vcc_lo, s8, v137
	v_cmp_ge_i64_e64 s28, s[28:29], s[16:17]
	v_add_co_ci_u32_e32 v6, vcc_lo, 0, v139, vcc_lo
	s_delay_alu instid0(VALU_DEP_2)
	s_and_b32 vcc_lo, exec_lo, s28
	s_cbranch_vccz .LBB120_73
; %bb.6:                                ;   in Loop: Header=BB120_5 Depth=1
	s_load_b32 s28, s[10:11], 0xc
	s_clause 0x1
	scratch_load_b32 v7, off, off offset:48
	scratch_load_b32 v8, off, off offset:52
	v_mov_b32_e32 v9, 0
	v_mov_b32_e32 v10, 0
	s_waitcnt lgkmcnt(0)
	s_and_b32 s28, s28, 0xffff
	s_waitcnt vmcnt(0)
	v_mad_u32_u24 v7, v7, s28, v8
	s_mov_b32 s28, exec_lo
	s_delay_alu instid0(VALU_DEP_1) | instskip(NEXT) | instid1(VALU_DEP_1)
	v_and_b32_e32 v7, 31, v7
	v_add_co_u32 v11, vcc_lo, v5, v7
	v_add_co_ci_u32_e32 v12, vcc_lo, 0, v6, vcc_lo
	v_dual_mov_b32 v7, v9 :: v_dual_mov_b32 v8, v10
	s_delay_alu instid0(VALU_DEP_2)
	v_cmpx_gt_i64_e64 s[16:17], v[11:12]
	s_cbranch_execz .LBB120_8
; %bb.7:                                ;   in Loop: Header=BB120_5 Depth=1
	v_lshlrev_b64 v[7:8], 3, v[11:12]
	s_delay_alu instid0(VALU_DEP_1) | instskip(NEXT) | instid1(VALU_DEP_2)
	v_add_co_u32 v7, vcc_lo, s6, v7
	v_add_co_ci_u32_e32 v8, vcc_lo, s7, v8, vcc_lo
	global_load_b64 v[7:8], v[7:8], off
.LBB120_8:                              ;   in Loop: Header=BB120_5 Depth=1
	s_or_b32 exec_lo, exec_lo, s28
	v_cmp_gt_i64_e32 vcc_lo, s[16:17], v[5:6]
	v_dual_mov_b32 v28, v10 :: v_dual_mov_b32 v27, v9
	s_and_b32 s29, s3, vcc_lo
	s_delay_alu instid0(SALU_CYCLE_1)
	s_and_saveexec_b32 s28, s29
	s_cbranch_execz .LBB120_10
; %bb.9:                                ;   in Loop: Header=BB120_5 Depth=1
	v_add_co_u32 v9, vcc_lo, v24, v3
	v_add_co_ci_u32_e32 v10, vcc_lo, v25, v4, vcc_lo
	v_add_co_u32 v11, vcc_lo, v26, v3
	v_add_co_ci_u32_e32 v12, vcc_lo, v31, v4, vcc_lo
	global_load_b64 v[9:10], v[9:10], off
	global_load_b64 v[27:28], v[11:12], off
.LBB120_10:                             ;   in Loop: Header=BB120_5 Depth=1
	s_or_b32 exec_lo, exec_lo, s28
	v_add_co_u32 v11, vcc_lo, v5, 1
	v_add_co_ci_u32_e32 v12, vcc_lo, 0, v6, vcc_lo
	v_mov_b32_e32 v13, 0
	v_mov_b32_e32 v14, 0
	s_clause 0x1
	scratch_store_b64 off, v[13:14], off
	scratch_store_b64 off, v[13:14], off offset:8
	v_cmp_gt_i64_e32 vcc_lo, s[16:17], v[11:12]
	s_and_b32 s29, s3, vcc_lo
	s_delay_alu instid0(SALU_CYCLE_1)
	s_and_saveexec_b32 s28, s29
	s_cbranch_execz .LBB120_12
; %bb.11:                               ;   in Loop: Header=BB120_5 Depth=1
	v_add_co_u32 v11, vcc_lo, v16, v3
	v_add_co_ci_u32_e32 v12, vcc_lo, v17, v4, vcc_lo
	v_add_co_u32 v19, vcc_lo, v18, v3
	v_add_co_ci_u32_e32 v20, vcc_lo, v23, v4, vcc_lo
	global_load_b64 v[11:12], v[11:12], off
	s_waitcnt vmcnt(0)
	scratch_store_b64 off, v[11:12], off    ; 8-byte Folded Spill
	global_load_b64 v[11:12], v[19:20], off
	s_waitcnt vmcnt(0)
	scratch_store_b64 off, v[11:12], off offset:8 ; 8-byte Folded Spill
.LBB120_12:                             ;   in Loop: Header=BB120_5 Depth=1
	s_or_b32 exec_lo, exec_lo, s28
	v_add_co_u32 v11, vcc_lo, v5, 2
	v_add_co_ci_u32_e32 v12, vcc_lo, 0, v6, vcc_lo
	scratch_store_b64 off, v[13:14], off offset:16 ; 8-byte Folded Spill
	v_cmp_gt_i64_e32 vcc_lo, s[16:17], v[11:12]
	s_and_b32 s29, s3, vcc_lo
	s_delay_alu instid0(SALU_CYCLE_1)
	s_and_saveexec_b32 s28, s29
	s_cbranch_execz .LBB120_14
; %bb.13:                               ;   in Loop: Header=BB120_5 Depth=1
	v_add_co_u32 v11, vcc_lo, v255, v3
	v_add_co_ci_u32_e32 v12, vcc_lo, v0, v4, vcc_lo
	v_add_co_u32 v19, vcc_lo, v138, v3
	v_add_co_ci_u32_e32 v20, vcc_lo, v15, v4, vcc_lo
	global_load_b64 v[13:14], v[11:12], off
	global_load_b64 v[11:12], v[19:20], off
	s_waitcnt vmcnt(0)
	scratch_store_b64 off, v[11:12], off offset:16 ; 8-byte Folded Spill
.LBB120_14:                             ;   in Loop: Header=BB120_5 Depth=1
	s_or_b32 exec_lo, exec_lo, s28
	v_add_co_u32 v11, vcc_lo, v5, 3
	v_add_co_ci_u32_e32 v12, vcc_lo, 0, v6, vcc_lo
	v_mov_b32_e32 v21, 0
	v_mov_b32_e32 v22, 0
	s_clause 0x1
	scratch_store_b64 off, v[21:22], off offset:24
	scratch_store_b64 off, v[21:22], off offset:32
	v_cmp_gt_i64_e32 vcc_lo, s[16:17], v[11:12]
	s_and_b32 s29, s3, vcc_lo
	s_delay_alu instid0(SALU_CYCLE_1)
	s_and_saveexec_b32 s28, s29
	s_cbranch_execz .LBB120_16
; %bb.15:                               ;   in Loop: Header=BB120_5 Depth=1
	v_add_co_u32 v11, vcc_lo, v251, v3
	v_add_co_ci_u32_e32 v12, vcc_lo, v252, v4, vcc_lo
	v_add_co_u32 v19, vcc_lo, v253, v3
	v_add_co_ci_u32_e32 v20, vcc_lo, v254, v4, vcc_lo
	global_load_b64 v[11:12], v[11:12], off
	s_waitcnt vmcnt(0)
	scratch_store_b64 off, v[11:12], off offset:24 ; 8-byte Folded Spill
	global_load_b64 v[11:12], v[19:20], off
	s_waitcnt vmcnt(0)
	scratch_store_b64 off, v[11:12], off offset:32 ; 8-byte Folded Spill
.LBB120_16:                             ;   in Loop: Header=BB120_5 Depth=1
	s_or_b32 exec_lo, exec_lo, s28
	v_add_co_u32 v11, vcc_lo, v5, 4
	v_add_co_ci_u32_e32 v12, vcc_lo, 0, v6, vcc_lo
	scratch_store_b64 off, v[21:22], off offset:40 ; 8-byte Folded Spill
	v_cmp_gt_i64_e32 vcc_lo, s[16:17], v[11:12]
	s_and_b32 s29, s3, vcc_lo
	s_delay_alu instid0(SALU_CYCLE_1)
	s_and_saveexec_b32 s28, s29
	s_cbranch_execz .LBB120_18
; %bb.17:                               ;   in Loop: Header=BB120_5 Depth=1
	v_add_co_u32 v11, vcc_lo, v247, v3
	v_add_co_ci_u32_e32 v12, vcc_lo, v248, v4, vcc_lo
	s_waitcnt vmcnt(0)
	v_dual_mov_b32 v19, v27 :: v_dual_mov_b32 v20, v28
	v_add_co_u32 v27, vcc_lo, v249, v3
	v_add_co_ci_u32_e32 v28, vcc_lo, v250, v4, vcc_lo
	global_load_b64 v[21:22], v[11:12], off
	global_load_b64 v[11:12], v[27:28], off
	v_dual_mov_b32 v28, v20 :: v_dual_mov_b32 v27, v19
	s_waitcnt vmcnt(0)
	scratch_store_b64 off, v[11:12], off offset:40 ; 8-byte Folded Spill
.LBB120_18:                             ;   in Loop: Header=BB120_5 Depth=1
	s_or_b32 exec_lo, exec_lo, s28
	v_add_co_u32 v11, vcc_lo, v5, 5
	v_add_co_ci_u32_e32 v12, vcc_lo, 0, v6, vcc_lo
	v_mov_b32_e32 v29, 0
	v_mov_b32_e32 v30, 0
	s_delay_alu instid0(VALU_DEP_3) | instskip(NEXT) | instid1(VALU_DEP_2)
	v_cmp_gt_i64_e32 vcc_lo, s[16:17], v[11:12]
	v_dual_mov_b32 v11, v29 :: v_dual_mov_b32 v12, v30
	v_dual_mov_b32 v34, v30 :: v_dual_mov_b32 v33, v29
	s_and_b32 s29, s3, vcc_lo
	s_delay_alu instid0(SALU_CYCLE_1)
	s_and_saveexec_b32 s28, s29
	s_cbranch_execz .LBB120_20
; %bb.19:                               ;   in Loop: Header=BB120_5 Depth=1
	v_add_co_u32 v11, vcc_lo, v243, v3
	v_add_co_ci_u32_e32 v12, vcc_lo, v244, v4, vcc_lo
	v_add_co_u32 v32, vcc_lo, v245, v3
	v_add_co_ci_u32_e32 v33, vcc_lo, v246, v4, vcc_lo
	global_load_b64 v[11:12], v[11:12], off
	global_load_b64 v[33:34], v[32:33], off
.LBB120_20:                             ;   in Loop: Header=BB120_5 Depth=1
	s_or_b32 exec_lo, exec_lo, s28
	v_add_co_u32 v35, vcc_lo, v5, 6
	v_add_co_ci_u32_e32 v36, vcc_lo, 0, v6, vcc_lo
	s_delay_alu instid0(VALU_DEP_1) | instskip(SKIP_2) | instid1(SALU_CYCLE_1)
	v_cmp_gt_i64_e32 vcc_lo, s[16:17], v[35:36]
	v_dual_mov_b32 v36, v30 :: v_dual_mov_b32 v35, v29
	s_and_b32 s29, s3, vcc_lo
	s_and_saveexec_b32 s28, s29
	s_cbranch_execz .LBB120_22
; %bb.21:                               ;   in Loop: Header=BB120_5 Depth=1
	v_add_co_u32 v29, vcc_lo, v239, v3
	v_add_co_ci_u32_e32 v30, vcc_lo, v240, v4, vcc_lo
	v_add_co_u32 v35, vcc_lo, v241, v3
	v_add_co_ci_u32_e32 v36, vcc_lo, v242, v4, vcc_lo
	global_load_b64 v[29:30], v[29:30], off
	global_load_b64 v[35:36], v[35:36], off
.LBB120_22:                             ;   in Loop: Header=BB120_5 Depth=1
	s_or_b32 exec_lo, exec_lo, s28
	v_add_co_u32 v39, vcc_lo, v5, 7
	v_add_co_ci_u32_e32 v40, vcc_lo, 0, v6, vcc_lo
	v_mov_b32_e32 v37, 0
	v_mov_b32_e32 v38, 0
	s_delay_alu instid0(VALU_DEP_3) | instskip(NEXT) | instid1(VALU_DEP_2)
	v_cmp_gt_i64_e32 vcc_lo, s[16:17], v[39:40]
	v_dual_mov_b32 v40, v38 :: v_dual_mov_b32 v39, v37
	v_dual_mov_b32 v42, v38 :: v_dual_mov_b32 v41, v37
	s_and_b32 s29, s3, vcc_lo
	s_delay_alu instid0(SALU_CYCLE_1)
	s_and_saveexec_b32 s28, s29
	s_cbranch_execz .LBB120_24
; %bb.23:                               ;   in Loop: Header=BB120_5 Depth=1
	v_add_co_u32 v39, vcc_lo, v235, v3
	v_add_co_ci_u32_e32 v40, vcc_lo, v236, v4, vcc_lo
	v_add_co_u32 v41, vcc_lo, v237, v3
	v_add_co_ci_u32_e32 v42, vcc_lo, v238, v4, vcc_lo
	global_load_b64 v[39:40], v[39:40], off
	global_load_b64 v[41:42], v[41:42], off
.LBB120_24:                             ;   in Loop: Header=BB120_5 Depth=1
	s_or_b32 exec_lo, exec_lo, s28
	v_add_co_u32 v43, vcc_lo, v5, 8
	v_add_co_ci_u32_e32 v44, vcc_lo, 0, v6, vcc_lo
	s_delay_alu instid0(VALU_DEP_1) | instskip(SKIP_2) | instid1(SALU_CYCLE_1)
	v_cmp_gt_i64_e32 vcc_lo, s[16:17], v[43:44]
	v_dual_mov_b32 v44, v38 :: v_dual_mov_b32 v43, v37
	s_and_b32 s29, s3, vcc_lo
	s_and_saveexec_b32 s28, s29
	s_cbranch_execz .LBB120_26
; %bb.25:                               ;   in Loop: Header=BB120_5 Depth=1
	v_add_co_u32 v37, vcc_lo, v231, v3
	v_add_co_ci_u32_e32 v38, vcc_lo, v232, v4, vcc_lo
	v_add_co_u32 v43, vcc_lo, v233, v3
	v_add_co_ci_u32_e32 v44, vcc_lo, v234, v4, vcc_lo
	global_load_b64 v[37:38], v[37:38], off
	global_load_b64 v[43:44], v[43:44], off
.LBB120_26:                             ;   in Loop: Header=BB120_5 Depth=1
	;; [unrolled: 38-line block ×6, first 2 shown]
	s_or_b32 exec_lo, exec_lo, s28
	v_add_co_u32 v77, vcc_lo, v5, 17
	v_add_co_ci_u32_e32 v78, vcc_lo, 0, v6, vcc_lo
	v_mov_b32_e32 v79, 0
	v_mov_b32_e32 v80, 0
	s_delay_alu instid0(VALU_DEP_3) | instskip(NEXT) | instid1(VALU_DEP_2)
	v_cmp_gt_i64_e32 vcc_lo, s[16:17], v[77:78]
	v_dual_mov_b32 v82, v80 :: v_dual_mov_b32 v81, v79
	v_dual_mov_b32 v84, v80 :: v_dual_mov_b32 v83, v79
	s_and_b32 s29, s3, vcc_lo
	s_delay_alu instid0(SALU_CYCLE_1)
	s_and_saveexec_b32 s28, s29
	s_cbranch_execz .LBB120_44
; %bb.43:                               ;   in Loop: Header=BB120_5 Depth=1
	v_add_co_u32 v77, vcc_lo, v195, v3
	v_add_co_ci_u32_e32 v78, vcc_lo, v196, v4, vcc_lo
	v_add_co_u32 v83, vcc_lo, v197, v3
	v_add_co_ci_u32_e32 v84, vcc_lo, v198, v4, vcc_lo
	global_load_b64 v[81:82], v[77:78], off
	global_load_b64 v[83:84], v[83:84], off
.LBB120_44:                             ;   in Loop: Header=BB120_5 Depth=1
	s_or_b32 exec_lo, exec_lo, s28
	v_add_co_u32 v77, vcc_lo, v5, 18
	v_add_co_ci_u32_e32 v78, vcc_lo, 0, v6, vcc_lo
	v_dual_mov_b32 v86, v80 :: v_dual_mov_b32 v85, v79
	s_delay_alu instid0(VALU_DEP_2) | instskip(SKIP_1) | instid1(SALU_CYCLE_1)
	v_cmp_gt_i64_e32 vcc_lo, s[16:17], v[77:78]
	s_and_b32 s29, s3, vcc_lo
	s_and_saveexec_b32 s28, s29
	s_cbranch_execz .LBB120_46
; %bb.45:                               ;   in Loop: Header=BB120_5 Depth=1
	v_add_co_u32 v77, vcc_lo, v191, v3
	v_add_co_ci_u32_e32 v78, vcc_lo, v192, v4, vcc_lo
	v_add_co_u32 v85, vcc_lo, v193, v3
	v_add_co_ci_u32_e32 v86, vcc_lo, v194, v4, vcc_lo
	global_load_b64 v[79:80], v[77:78], off
	global_load_b64 v[85:86], v[85:86], off
.LBB120_46:                             ;   in Loop: Header=BB120_5 Depth=1
	s_or_b32 exec_lo, exec_lo, s28
	v_add_co_u32 v77, vcc_lo, v5, 19
	v_add_co_ci_u32_e32 v78, vcc_lo, 0, v6, vcc_lo
	v_mov_b32_e32 v87, 0
	v_mov_b32_e32 v88, 0
	s_delay_alu instid0(VALU_DEP_3) | instskip(NEXT) | instid1(VALU_DEP_2)
	v_cmp_gt_i64_e32 vcc_lo, s[16:17], v[77:78]
	v_dual_mov_b32 v90, v88 :: v_dual_mov_b32 v89, v87
	v_dual_mov_b32 v92, v88 :: v_dual_mov_b32 v91, v87
	s_and_b32 s29, s3, vcc_lo
	s_delay_alu instid0(SALU_CYCLE_1)
	s_and_saveexec_b32 s28, s29
	s_cbranch_execz .LBB120_48
; %bb.47:                               ;   in Loop: Header=BB120_5 Depth=1
	v_add_co_u32 v77, vcc_lo, v187, v3
	v_add_co_ci_u32_e32 v78, vcc_lo, v188, v4, vcc_lo
	v_add_co_u32 v91, vcc_lo, v189, v3
	v_add_co_ci_u32_e32 v92, vcc_lo, v190, v4, vcc_lo
	global_load_b64 v[89:90], v[77:78], off
	global_load_b64 v[91:92], v[91:92], off
.LBB120_48:                             ;   in Loop: Header=BB120_5 Depth=1
	s_or_b32 exec_lo, exec_lo, s28
	v_add_co_u32 v77, vcc_lo, v5, 20
	v_add_co_ci_u32_e32 v78, vcc_lo, 0, v6, vcc_lo
	v_dual_mov_b32 v94, v88 :: v_dual_mov_b32 v93, v87
	s_delay_alu instid0(VALU_DEP_2) | instskip(SKIP_1) | instid1(SALU_CYCLE_1)
	v_cmp_gt_i64_e32 vcc_lo, s[16:17], v[77:78]
	s_and_b32 s29, s3, vcc_lo
	s_and_saveexec_b32 s28, s29
	s_cbranch_execz .LBB120_50
; %bb.49:                               ;   in Loop: Header=BB120_5 Depth=1
	v_add_co_u32 v77, vcc_lo, v183, v3
	v_add_co_ci_u32_e32 v78, vcc_lo, v184, v4, vcc_lo
	v_add_co_u32 v93, vcc_lo, v185, v3
	v_add_co_ci_u32_e32 v94, vcc_lo, v186, v4, vcc_lo
	global_load_b64 v[87:88], v[77:78], off
	global_load_b64 v[93:94], v[93:94], off
.LBB120_50:                             ;   in Loop: Header=BB120_5 Depth=1
	;; [unrolled: 38-line block ×7, first 2 shown]
	s_or_b32 exec_lo, exec_lo, s28
	v_add_co_u32 v77, vcc_lo, v5, 31
	v_add_co_ci_u32_e32 v78, vcc_lo, 0, v6, vcc_lo
	s_delay_alu instid0(VALU_DEP_1) | instskip(SKIP_3) | instid1(SALU_CYCLE_1)
	v_cmp_gt_i64_e32 vcc_lo, s[16:17], v[77:78]
	v_mov_b32_e32 v77, 0
	v_mov_b32_e32 v78, 0
	s_and_b32 s29, s3, vcc_lo
	s_and_saveexec_b32 s28, s29
	s_cbranch_execz .LBB120_72
; %bb.71:                               ;   in Loop: Header=BB120_5 Depth=1
	v_add_co_u32 v77, vcc_lo, v1, v3
	v_add_co_ci_u32_e32 v78, vcc_lo, v140, v4, vcc_lo
	v_add_co_u32 v19, vcc_lo, v141, v3
	v_add_co_ci_u32_e32 v20, vcc_lo, v142, v4, vcc_lo
	global_load_b64 v[77:78], v[77:78], off
	global_load_b64 v[19:20], v[19:20], off
	s_waitcnt vmcnt(0)
	v_mul_f64 v[77:78], v[77:78], v[19:20]
.LBB120_72:                             ;   in Loop: Header=BB120_5 Depth=1
	s_or_b32 exec_lo, exec_lo, s28
	s_waitcnt vmcnt(0)
	v_mul_f64 v[9:10], v[9:10], v[27:28]
	s_clause 0x1
	scratch_load_b64 v[19:20], off, off
	scratch_load_b64 v[27:28], off, off offset:8
	v_mul_f64 v[11:12], v[11:12], v[33:34]
	s_waitcnt vmcnt(0)
	v_mul_f64 v[19:20], v[19:20], v[27:28]
	ds_bpermute_b32 v27, v2, v7
	ds_bpermute_b32 v28, v2, v8
	s_waitcnt lgkmcnt(0)
	v_fma_f64 v[9:10], v[9:10], v[27:28], v[125:126]
	ds_bpermute_b32 v27, v2, v7 offset:4
	ds_bpermute_b32 v28, v2, v8 offset:4
	s_waitcnt lgkmcnt(0)
	v_fma_f64 v[9:10], v[19:20], v[27:28], v[9:10]
	scratch_load_b64 v[19:20], off, off offset:16 ; 8-byte Folded Reload
	s_waitcnt vmcnt(0)
	v_mul_f64 v[13:14], v[13:14], v[19:20]
	ds_bpermute_b32 v19, v2, v7 offset:8
	ds_bpermute_b32 v20, v2, v8 offset:8
	s_waitcnt lgkmcnt(0)
	v_fma_f64 v[9:10], v[13:14], v[19:20], v[9:10]
	s_clause 0x1
	scratch_load_b64 v[13:14], off, off offset:24
	scratch_load_b64 v[19:20], off, off offset:32
	s_waitcnt vmcnt(0)
	v_mul_f64 v[13:14], v[13:14], v[19:20]
	ds_bpermute_b32 v19, v2, v7 offset:12
	ds_bpermute_b32 v20, v2, v8 offset:12
	s_waitcnt lgkmcnt(0)
	v_fma_f64 v[9:10], v[13:14], v[19:20], v[9:10]
	scratch_load_b64 v[13:14], off, off offset:40 ; 8-byte Folded Reload
	ds_bpermute_b32 v19, v2, v7 offset:16
	ds_bpermute_b32 v20, v2, v8 offset:16
	s_waitcnt vmcnt(0)
	v_mul_f64 v[13:14], v[21:22], v[13:14]
	s_waitcnt lgkmcnt(0)
	s_delay_alu instid0(VALU_DEP_1)
	v_fma_f64 v[9:10], v[13:14], v[19:20], v[9:10]
	ds_bpermute_b32 v13, v2, v7 offset:20
	ds_bpermute_b32 v14, v2, v8 offset:20
	v_mul_f64 v[19:20], v[81:82], v[83:84]
	s_waitcnt lgkmcnt(0)
	v_fma_f64 v[9:10], v[11:12], v[13:14], v[9:10]
	v_mul_f64 v[11:12], v[29:30], v[35:36]
	ds_bpermute_b32 v13, v2, v7 offset:24
	ds_bpermute_b32 v14, v2, v8 offset:24
	s_waitcnt lgkmcnt(0)
	v_fma_f64 v[9:10], v[11:12], v[13:14], v[9:10]
	v_mul_f64 v[11:12], v[39:40], v[41:42]
	ds_bpermute_b32 v13, v2, v7 offset:28
	ds_bpermute_b32 v14, v2, v8 offset:28
	;; [unrolled: 5-line block ×11, first 2 shown]
	s_waitcnt lgkmcnt(0)
	v_fma_f64 v[9:10], v[11:12], v[13:14], v[9:10]
	ds_bpermute_b32 v11, v2, v7 offset:68
	ds_bpermute_b32 v12, v2, v8 offset:68
	v_mul_f64 v[13:14], v[79:80], v[85:86]
	s_waitcnt lgkmcnt(0)
	v_fma_f64 v[9:10], v[19:20], v[11:12], v[9:10]
	ds_bpermute_b32 v11, v2, v7 offset:72
	ds_bpermute_b32 v12, v2, v8 offset:72
	v_mul_f64 v[19:20], v[89:90], v[91:92]
	;; [unrolled: 5-line block ×12, first 2 shown]
	s_waitcnt lgkmcnt(0)
	v_fma_f64 v[9:10], v[13:14], v[11:12], v[9:10]
	ds_bpermute_b32 v11, v2, v7 offset:116
	ds_bpermute_b32 v12, v2, v8 offset:116
	;; [unrolled: 1-line block ×6, first 2 shown]
	s_waitcnt lgkmcnt(4)
	v_fma_f64 v[9:10], v[19:20], v[11:12], v[9:10]
	v_mul_f64 v[11:12], v[129:130], v[135:136]
	s_waitcnt lgkmcnt(2)
	s_delay_alu instid0(VALU_DEP_1)
	v_fma_f64 v[9:10], v[11:12], v[13:14], v[9:10]
	s_branch .LBB120_4
.LBB120_73:                             ;   in Loop: Header=BB120_5 Depth=1
                                        ; implicit-def: $vgpr9_vgpr10
                                        ; implicit-def: $vgpr77_vgpr78
                                        ; implicit-def: $vgpr7
	s_cbranch_execz .LBB120_4
; %bb.74:                               ;   in Loop: Header=BB120_5 Depth=1
	s_load_b32 s28, s[10:11], 0x0
	s_waitcnt lgkmcnt(0)
	s_cmp_lt_u32 s14, s28
	s_cselect_b32 s28, 12, 18
	s_delay_alu instid0(SALU_CYCLE_1)
	s_add_u32 s28, s10, s28
	s_addc_u32 s29, s11, 0
	global_load_u16 v7, v2, s[28:29]
	s_clause 0x1
	scratch_load_b32 v8, off, off offset:48
	scratch_load_b32 v9, off, off offset:52
	s_mov_b32 s28, exec_lo
	s_waitcnt vmcnt(0)
	v_mad_u32_u24 v7, v8, v7, v9
	s_delay_alu instid0(VALU_DEP_1) | instskip(NEXT) | instid1(VALU_DEP_1)
	v_and_b32_e32 v7, 31, v7
	v_add_co_u32 v9, vcc_lo, v5, v7
	v_mov_b32_e32 v7, 0
	v_mov_b32_e32 v8, 0
	v_add_co_ci_u32_e32 v10, vcc_lo, 0, v6, vcc_lo
	s_delay_alu instid0(VALU_DEP_2) | instskip(NEXT) | instid1(VALU_DEP_2)
	v_dual_mov_b32 v5, v7 :: v_dual_mov_b32 v6, v8
	v_cmpx_gt_i64_e64 s[16:17], v[9:10]
	s_cbranch_execz .LBB120_76
; %bb.75:                               ;   in Loop: Header=BB120_5 Depth=1
	v_lshlrev_b64 v[5:6], 3, v[9:10]
	s_delay_alu instid0(VALU_DEP_1) | instskip(NEXT) | instid1(VALU_DEP_2)
	v_add_co_u32 v5, vcc_lo, s6, v5
	v_add_co_ci_u32_e32 v6, vcc_lo, s7, v6, vcc_lo
	global_load_b64 v[5:6], v[5:6], off
.LBB120_76:                             ;   in Loop: Header=BB120_5 Depth=1
	s_or_b32 exec_lo, exec_lo, s28
	v_dual_mov_b32 v22, v8 :: v_dual_mov_b32 v21, v7
	s_and_saveexec_b32 s28, s3
	s_cbranch_execz .LBB120_78
; %bb.77:                               ;   in Loop: Header=BB120_5 Depth=1
	v_add_co_u32 v7, vcc_lo, v24, v3
	v_add_co_ci_u32_e32 v8, vcc_lo, v25, v4, vcc_lo
	v_add_co_u32 v9, vcc_lo, v26, v3
	v_add_co_ci_u32_e32 v10, vcc_lo, v31, v4, vcc_lo
	global_load_b64 v[7:8], v[7:8], off
	global_load_b64 v[21:22], v[9:10], off
.LBB120_78:                             ;   in Loop: Header=BB120_5 Depth=1
	s_or_b32 exec_lo, exec_lo, s28
	v_mov_b32_e32 v11, 0
	v_mov_b32_e32 v12, 0
	s_clause 0x1
	scratch_store_b64 off, v[11:12], off
	scratch_store_b64 off, v[11:12], off offset:8
	s_and_saveexec_b32 s28, s3
	s_cbranch_execz .LBB120_80
; %bb.79:                               ;   in Loop: Header=BB120_5 Depth=1
	v_add_co_u32 v9, vcc_lo, v16, v3
	v_add_co_ci_u32_e32 v10, vcc_lo, v17, v4, vcc_lo
	v_add_co_u32 v13, vcc_lo, v18, v3
	v_add_co_ci_u32_e32 v14, vcc_lo, v23, v4, vcc_lo
	global_load_b64 v[9:10], v[9:10], off
	s_waitcnt vmcnt(0)
	scratch_store_b64 off, v[9:10], off     ; 8-byte Folded Spill
	global_load_b64 v[9:10], v[13:14], off
	s_waitcnt vmcnt(0)
	scratch_store_b64 off, v[9:10], off offset:8 ; 8-byte Folded Spill
.LBB120_80:                             ;   in Loop: Header=BB120_5 Depth=1
	s_or_b32 exec_lo, exec_lo, s28
	scratch_store_b64 off, v[11:12], off offset:16 ; 8-byte Folded Spill
	s_and_saveexec_b32 s28, s3
	s_cbranch_execz .LBB120_82
; %bb.81:                               ;   in Loop: Header=BB120_5 Depth=1
	v_add_co_u32 v9, vcc_lo, v255, v3
	v_add_co_ci_u32_e32 v10, vcc_lo, v0, v4, vcc_lo
	v_add_co_u32 v13, vcc_lo, v138, v3
	v_add_co_ci_u32_e32 v14, vcc_lo, v15, v4, vcc_lo
	global_load_b64 v[11:12], v[9:10], off
	global_load_b64 v[9:10], v[13:14], off
	s_waitcnt vmcnt(0)
	scratch_store_b64 off, v[9:10], off offset:16 ; 8-byte Folded Spill
.LBB120_82:                             ;   in Loop: Header=BB120_5 Depth=1
	s_or_b32 exec_lo, exec_lo, s28
	v_mov_b32_e32 v19, 0
	v_mov_b32_e32 v20, 0
	s_delay_alu instid0(VALU_DEP_1)
	v_dual_mov_b32 v136, v20 :: v_dual_mov_b32 v135, v19
	scratch_store_b64 off, v[19:20], off offset:24 ; 8-byte Folded Spill
	s_and_saveexec_b32 s28, s3
	s_cbranch_execz .LBB120_84
; %bb.83:                               ;   in Loop: Header=BB120_5 Depth=1
	v_add_co_u32 v9, vcc_lo, v251, v3
	v_add_co_ci_u32_e32 v10, vcc_lo, v252, v4, vcc_lo
	v_add_co_u32 v13, vcc_lo, v253, v3
	v_add_co_ci_u32_e32 v14, vcc_lo, v254, v4, vcc_lo
	global_load_b64 v[9:10], v[9:10], off
	global_load_b64 v[135:136], v[13:14], off
	s_waitcnt vmcnt(1)
	scratch_store_b64 off, v[9:10], off offset:24 ; 8-byte Folded Spill
.LBB120_84:                             ;   in Loop: Header=BB120_5 Depth=1
	s_or_b32 exec_lo, exec_lo, s28
	scratch_store_b64 off, v[19:20], off offset:32 ; 8-byte Folded Spill
	s_and_saveexec_b32 s28, s3
	s_cbranch_execz .LBB120_86
; %bb.85:                               ;   in Loop: Header=BB120_5 Depth=1
	v_add_co_u32 v9, vcc_lo, v247, v3
	v_add_co_ci_u32_e32 v10, vcc_lo, v248, v4, vcc_lo
	v_add_co_u32 v27, vcc_lo, v249, v3
	v_add_co_ci_u32_e32 v28, vcc_lo, v250, v4, vcc_lo
	global_load_b64 v[19:20], v[9:10], off
	global_load_b64 v[9:10], v[27:28], off
	s_waitcnt vmcnt(0)
	scratch_store_b64 off, v[9:10], off offset:32 ; 8-byte Folded Spill
.LBB120_86:                             ;   in Loop: Header=BB120_5 Depth=1
	s_or_b32 exec_lo, exec_lo, s28
	v_mov_b32_e32 v27, 0
	v_mov_b32_e32 v28, 0
	s_delay_alu instid0(VALU_DEP_1)
	v_dual_mov_b32 v9, v27 :: v_dual_mov_b32 v10, v28
	v_dual_mov_b32 v30, v28 :: v_dual_mov_b32 v29, v27
	s_and_saveexec_b32 s28, s3
	s_cbranch_execz .LBB120_88
; %bb.87:                               ;   in Loop: Header=BB120_5 Depth=1
	v_add_co_u32 v9, vcc_lo, v243, v3
	v_add_co_ci_u32_e32 v10, vcc_lo, v244, v4, vcc_lo
	v_add_co_u32 v32, vcc_lo, v245, v3
	v_add_co_ci_u32_e32 v33, vcc_lo, v246, v4, vcc_lo
	global_load_b64 v[29:30], v[9:10], off
	global_load_b64 v[9:10], v[32:33], off
.LBB120_88:                             ;   in Loop: Header=BB120_5 Depth=1
	s_or_b32 exec_lo, exec_lo, s28
	v_dual_mov_b32 v34, v28 :: v_dual_mov_b32 v33, v27
	s_and_saveexec_b32 s28, s3
	s_cbranch_execz .LBB120_90
; %bb.89:                               ;   in Loop: Header=BB120_5 Depth=1
	v_add_co_u32 v27, vcc_lo, v239, v3
	v_add_co_ci_u32_e32 v28, vcc_lo, v240, v4, vcc_lo
	v_add_co_u32 v32, vcc_lo, v241, v3
	v_add_co_ci_u32_e32 v33, vcc_lo, v242, v4, vcc_lo
	global_load_b64 v[27:28], v[27:28], off
	global_load_b64 v[33:34], v[32:33], off
.LBB120_90:                             ;   in Loop: Header=BB120_5 Depth=1
	s_or_b32 exec_lo, exec_lo, s28
	v_mov_b32_e32 v35, 0
	v_mov_b32_e32 v36, 0
	s_delay_alu instid0(VALU_DEP_1)
	v_dual_mov_b32 v38, v36 :: v_dual_mov_b32 v37, v35
	v_dual_mov_b32 v40, v36 :: v_dual_mov_b32 v39, v35
	s_and_saveexec_b32 s28, s3
	s_cbranch_execz .LBB120_92
; %bb.91:                               ;   in Loop: Header=BB120_5 Depth=1
	v_add_co_u32 v37, vcc_lo, v235, v3
	v_add_co_ci_u32_e32 v38, vcc_lo, v236, v4, vcc_lo
	v_add_co_u32 v39, vcc_lo, v237, v3
	v_add_co_ci_u32_e32 v40, vcc_lo, v238, v4, vcc_lo
	global_load_b64 v[37:38], v[37:38], off
	global_load_b64 v[39:40], v[39:40], off
.LBB120_92:                             ;   in Loop: Header=BB120_5 Depth=1
	s_or_b32 exec_lo, exec_lo, s28
	v_dual_mov_b32 v42, v36 :: v_dual_mov_b32 v41, v35
	s_and_saveexec_b32 s28, s3
	s_cbranch_execz .LBB120_94
; %bb.93:                               ;   in Loop: Header=BB120_5 Depth=1
	v_add_co_u32 v35, vcc_lo, v231, v3
	v_add_co_ci_u32_e32 v36, vcc_lo, v232, v4, vcc_lo
	v_add_co_u32 v41, vcc_lo, v233, v3
	v_add_co_ci_u32_e32 v42, vcc_lo, v234, v4, vcc_lo
	global_load_b64 v[35:36], v[35:36], off
	global_load_b64 v[41:42], v[41:42], off
.LBB120_94:                             ;   in Loop: Header=BB120_5 Depth=1
	;; [unrolled: 28-line block ×3, first 2 shown]
	s_or_b32 exec_lo, exec_lo, s28
	v_mov_b32_e32 v51, 0
	v_mov_b32_e32 v52, 0
	s_delay_alu instid0(VALU_DEP_1)
	v_dual_mov_b32 v54, v52 :: v_dual_mov_b32 v53, v51
	v_dual_mov_b32 v56, v52 :: v_dual_mov_b32 v55, v51
	s_and_saveexec_b32 s28, s3
	s_cbranch_execz .LBB120_100
; %bb.99:                               ;   in Loop: Header=BB120_5 Depth=1
	v_add_co_u32 v53, vcc_lo, v219, v3
	v_add_co_ci_u32_e32 v54, vcc_lo, v220, v4, vcc_lo
	v_add_co_u32 v55, vcc_lo, v221, v3
	v_add_co_ci_u32_e32 v56, vcc_lo, v222, v4, vcc_lo
	global_load_b64 v[53:54], v[53:54], off
	global_load_b64 v[55:56], v[55:56], off
.LBB120_100:                            ;   in Loop: Header=BB120_5 Depth=1
	s_or_b32 exec_lo, exec_lo, s28
	v_dual_mov_b32 v58, v52 :: v_dual_mov_b32 v57, v51
	s_and_saveexec_b32 s28, s3
	s_cbranch_execz .LBB120_102
; %bb.101:                              ;   in Loop: Header=BB120_5 Depth=1
	v_add_co_u32 v51, vcc_lo, v215, v3
	v_add_co_ci_u32_e32 v52, vcc_lo, v216, v4, vcc_lo
	v_add_co_u32 v57, vcc_lo, v217, v3
	v_add_co_ci_u32_e32 v58, vcc_lo, v218, v4, vcc_lo
	global_load_b64 v[51:52], v[51:52], off
	global_load_b64 v[57:58], v[57:58], off
.LBB120_102:                            ;   in Loop: Header=BB120_5 Depth=1
	s_or_b32 exec_lo, exec_lo, s28
	v_mov_b32_e32 v59, 0
	v_mov_b32_e32 v60, 0
	s_delay_alu instid0(VALU_DEP_1)
	v_dual_mov_b32 v62, v60 :: v_dual_mov_b32 v61, v59
	v_dual_mov_b32 v64, v60 :: v_dual_mov_b32 v63, v59
	s_and_saveexec_b32 s28, s3
	s_cbranch_execz .LBB120_104
; %bb.103:                              ;   in Loop: Header=BB120_5 Depth=1
	v_add_co_u32 v61, vcc_lo, v211, v3
	v_add_co_ci_u32_e32 v62, vcc_lo, v212, v4, vcc_lo
	v_add_co_u32 v63, vcc_lo, v213, v3
	v_add_co_ci_u32_e32 v64, vcc_lo, v214, v4, vcc_lo
	global_load_b64 v[61:62], v[61:62], off
	global_load_b64 v[63:64], v[63:64], off
.LBB120_104:                            ;   in Loop: Header=BB120_5 Depth=1
	s_or_b32 exec_lo, exec_lo, s28
	v_dual_mov_b32 v66, v60 :: v_dual_mov_b32 v65, v59
	s_and_saveexec_b32 s28, s3
	s_cbranch_execz .LBB120_106
; %bb.105:                              ;   in Loop: Header=BB120_5 Depth=1
	v_add_co_u32 v59, vcc_lo, v207, v3
	v_add_co_ci_u32_e32 v60, vcc_lo, v208, v4, vcc_lo
	v_add_co_u32 v65, vcc_lo, v209, v3
	v_add_co_ci_u32_e32 v66, vcc_lo, v210, v4, vcc_lo
	global_load_b64 v[59:60], v[59:60], off
	global_load_b64 v[65:66], v[65:66], off
.LBB120_106:                            ;   in Loop: Header=BB120_5 Depth=1
	s_or_b32 exec_lo, exec_lo, s28
	v_mov_b32_e32 v67, 0
	v_mov_b32_e32 v68, 0
	s_delay_alu instid0(VALU_DEP_1)
	v_dual_mov_b32 v70, v68 :: v_dual_mov_b32 v69, v67
	v_dual_mov_b32 v72, v68 :: v_dual_mov_b32 v71, v67
	s_and_saveexec_b32 s28, s3
	s_cbranch_execz .LBB120_108
; %bb.107:                              ;   in Loop: Header=BB120_5 Depth=1
	v_add_co_u32 v69, vcc_lo, v203, v3
	v_add_co_ci_u32_e32 v70, vcc_lo, v204, v4, vcc_lo
	v_add_co_u32 v71, vcc_lo, v205, v3
	v_add_co_ci_u32_e32 v72, vcc_lo, v206, v4, vcc_lo
	global_load_b64 v[69:70], v[69:70], off
	global_load_b64 v[71:72], v[71:72], off
.LBB120_108:                            ;   in Loop: Header=BB120_5 Depth=1
	s_or_b32 exec_lo, exec_lo, s28
	v_dual_mov_b32 v76, v68 :: v_dual_mov_b32 v75, v67
	s_and_saveexec_b32 s28, s3
	s_cbranch_execz .LBB120_110
; %bb.109:                              ;   in Loop: Header=BB120_5 Depth=1
	v_add_co_u32 v67, vcc_lo, v199, v3
	v_add_co_ci_u32_e32 v68, vcc_lo, v200, v4, vcc_lo
	v_add_co_u32 v73, vcc_lo, v201, v3
	v_add_co_ci_u32_e32 v74, vcc_lo, v202, v4, vcc_lo
	global_load_b64 v[67:68], v[67:68], off
	global_load_b64 v[75:76], v[73:74], off
.LBB120_110:                            ;   in Loop: Header=BB120_5 Depth=1
	s_or_b32 exec_lo, exec_lo, s28
	v_mov_b32_e32 v73, 0
	v_mov_b32_e32 v74, 0
	s_delay_alu instid0(VALU_DEP_1)
	v_dual_mov_b32 v80, v74 :: v_dual_mov_b32 v79, v73
	v_dual_mov_b32 v82, v74 :: v_dual_mov_b32 v81, v73
	s_and_saveexec_b32 s28, s3
	s_cbranch_execz .LBB120_112
; %bb.111:                              ;   in Loop: Header=BB120_5 Depth=1
	v_add_co_u32 v77, vcc_lo, v195, v3
	v_add_co_ci_u32_e32 v78, vcc_lo, v196, v4, vcc_lo
	v_add_co_u32 v81, vcc_lo, v197, v3
	v_add_co_ci_u32_e32 v82, vcc_lo, v198, v4, vcc_lo
	global_load_b64 v[79:80], v[77:78], off
	global_load_b64 v[81:82], v[81:82], off
.LBB120_112:                            ;   in Loop: Header=BB120_5 Depth=1
	s_or_b32 exec_lo, exec_lo, s28
	v_dual_mov_b32 v84, v74 :: v_dual_mov_b32 v83, v73
	s_and_saveexec_b32 s28, s3
	s_cbranch_execz .LBB120_114
; %bb.113:                              ;   in Loop: Header=BB120_5 Depth=1
	v_add_co_u32 v73, vcc_lo, v191, v3
	v_add_co_ci_u32_e32 v74, vcc_lo, v192, v4, vcc_lo
	v_add_co_u32 v77, vcc_lo, v193, v3
	v_add_co_ci_u32_e32 v78, vcc_lo, v194, v4, vcc_lo
	global_load_b64 v[73:74], v[73:74], off
	global_load_b64 v[83:84], v[77:78], off
.LBB120_114:                            ;   in Loop: Header=BB120_5 Depth=1
	s_or_b32 exec_lo, exec_lo, s28
	v_mov_b32_e32 v85, 0
	v_mov_b32_e32 v86, 0
	s_delay_alu instid0(VALU_DEP_1)
	v_dual_mov_b32 v88, v86 :: v_dual_mov_b32 v87, v85
	v_dual_mov_b32 v90, v86 :: v_dual_mov_b32 v89, v85
	s_and_saveexec_b32 s28, s3
	s_cbranch_execz .LBB120_116
; %bb.115:                              ;   in Loop: Header=BB120_5 Depth=1
	v_add_co_u32 v77, vcc_lo, v187, v3
	v_add_co_ci_u32_e32 v78, vcc_lo, v188, v4, vcc_lo
	v_add_co_u32 v89, vcc_lo, v189, v3
	v_add_co_ci_u32_e32 v90, vcc_lo, v190, v4, vcc_lo
	global_load_b64 v[87:88], v[77:78], off
	global_load_b64 v[89:90], v[89:90], off
.LBB120_116:                            ;   in Loop: Header=BB120_5 Depth=1
	s_or_b32 exec_lo, exec_lo, s28
	v_dual_mov_b32 v92, v86 :: v_dual_mov_b32 v91, v85
	s_and_saveexec_b32 s28, s3
	s_cbranch_execz .LBB120_118
; %bb.117:                              ;   in Loop: Header=BB120_5 Depth=1
	v_add_co_u32 v77, vcc_lo, v183, v3
	v_add_co_ci_u32_e32 v78, vcc_lo, v184, v4, vcc_lo
	v_add_co_u32 v91, vcc_lo, v185, v3
	v_add_co_ci_u32_e32 v92, vcc_lo, v186, v4, vcc_lo
	global_load_b64 v[85:86], v[77:78], off
	global_load_b64 v[91:92], v[91:92], off
.LBB120_118:                            ;   in Loop: Header=BB120_5 Depth=1
	s_or_b32 exec_lo, exec_lo, s28
	v_mov_b32_e32 v93, 0
	v_mov_b32_e32 v94, 0
	s_delay_alu instid0(VALU_DEP_1)
	v_dual_mov_b32 v96, v94 :: v_dual_mov_b32 v95, v93
	v_dual_mov_b32 v98, v94 :: v_dual_mov_b32 v97, v93
	s_and_saveexec_b32 s28, s3
	s_cbranch_execz .LBB120_120
; %bb.119:                              ;   in Loop: Header=BB120_5 Depth=1
	v_add_co_u32 v77, vcc_lo, v179, v3
	v_add_co_ci_u32_e32 v78, vcc_lo, v180, v4, vcc_lo
	v_add_co_u32 v97, vcc_lo, v181, v3
	v_add_co_ci_u32_e32 v98, vcc_lo, v182, v4, vcc_lo
	global_load_b64 v[95:96], v[77:78], off
	global_load_b64 v[97:98], v[97:98], off
.LBB120_120:                            ;   in Loop: Header=BB120_5 Depth=1
	s_or_b32 exec_lo, exec_lo, s28
	v_dual_mov_b32 v100, v94 :: v_dual_mov_b32 v99, v93
	s_and_saveexec_b32 s28, s3
	s_cbranch_execz .LBB120_122
; %bb.121:                              ;   in Loop: Header=BB120_5 Depth=1
	v_add_co_u32 v77, vcc_lo, v175, v3
	v_add_co_ci_u32_e32 v78, vcc_lo, v176, v4, vcc_lo
	v_add_co_u32 v99, vcc_lo, v177, v3
	v_add_co_ci_u32_e32 v100, vcc_lo, v178, v4, vcc_lo
	global_load_b64 v[93:94], v[77:78], off
	global_load_b64 v[99:100], v[99:100], off
.LBB120_122:                            ;   in Loop: Header=BB120_5 Depth=1
	s_or_b32 exec_lo, exec_lo, s28
	v_mov_b32_e32 v101, 0
	v_mov_b32_e32 v102, 0
	s_delay_alu instid0(VALU_DEP_1)
	v_dual_mov_b32 v104, v102 :: v_dual_mov_b32 v103, v101
	v_dual_mov_b32 v106, v102 :: v_dual_mov_b32 v105, v101
	s_and_saveexec_b32 s28, s3
	s_cbranch_execz .LBB120_124
; %bb.123:                              ;   in Loop: Header=BB120_5 Depth=1
	v_add_co_u32 v77, vcc_lo, v171, v3
	v_add_co_ci_u32_e32 v78, vcc_lo, v172, v4, vcc_lo
	v_add_co_u32 v105, vcc_lo, v173, v3
	v_add_co_ci_u32_e32 v106, vcc_lo, v174, v4, vcc_lo
	global_load_b64 v[103:104], v[77:78], off
	global_load_b64 v[105:106], v[105:106], off
.LBB120_124:                            ;   in Loop: Header=BB120_5 Depth=1
	s_or_b32 exec_lo, exec_lo, s28
	v_dual_mov_b32 v108, v102 :: v_dual_mov_b32 v107, v101
	s_and_saveexec_b32 s28, s3
	s_cbranch_execz .LBB120_126
; %bb.125:                              ;   in Loop: Header=BB120_5 Depth=1
	v_add_co_u32 v77, vcc_lo, v167, v3
	v_add_co_ci_u32_e32 v78, vcc_lo, v168, v4, vcc_lo
	v_add_co_u32 v107, vcc_lo, v169, v3
	v_add_co_ci_u32_e32 v108, vcc_lo, v170, v4, vcc_lo
	global_load_b64 v[101:102], v[77:78], off
	global_load_b64 v[107:108], v[107:108], off
.LBB120_126:                            ;   in Loop: Header=BB120_5 Depth=1
	s_or_b32 exec_lo, exec_lo, s28
	v_mov_b32_e32 v109, 0
	v_mov_b32_e32 v110, 0
	s_delay_alu instid0(VALU_DEP_1)
	v_dual_mov_b32 v112, v110 :: v_dual_mov_b32 v111, v109
	v_dual_mov_b32 v114, v110 :: v_dual_mov_b32 v113, v109
	s_and_saveexec_b32 s28, s3
	s_cbranch_execz .LBB120_128
; %bb.127:                              ;   in Loop: Header=BB120_5 Depth=1
	v_add_co_u32 v77, vcc_lo, v163, v3
	v_add_co_ci_u32_e32 v78, vcc_lo, v164, v4, vcc_lo
	v_add_co_u32 v113, vcc_lo, v165, v3
	v_add_co_ci_u32_e32 v114, vcc_lo, v166, v4, vcc_lo
	global_load_b64 v[111:112], v[77:78], off
	global_load_b64 v[113:114], v[113:114], off
.LBB120_128:                            ;   in Loop: Header=BB120_5 Depth=1
	s_or_b32 exec_lo, exec_lo, s28
	v_dual_mov_b32 v116, v110 :: v_dual_mov_b32 v115, v109
	s_and_saveexec_b32 s28, s3
	s_cbranch_execz .LBB120_130
; %bb.129:                              ;   in Loop: Header=BB120_5 Depth=1
	v_add_co_u32 v77, vcc_lo, v159, v3
	v_add_co_ci_u32_e32 v78, vcc_lo, v160, v4, vcc_lo
	v_add_co_u32 v115, vcc_lo, v161, v3
	v_add_co_ci_u32_e32 v116, vcc_lo, v162, v4, vcc_lo
	global_load_b64 v[109:110], v[77:78], off
	global_load_b64 v[115:116], v[115:116], off
.LBB120_130:                            ;   in Loop: Header=BB120_5 Depth=1
	s_or_b32 exec_lo, exec_lo, s28
	v_mov_b32_e32 v117, 0
	v_mov_b32_e32 v118, 0
	s_delay_alu instid0(VALU_DEP_1)
	v_dual_mov_b32 v120, v118 :: v_dual_mov_b32 v119, v117
	v_dual_mov_b32 v122, v118 :: v_dual_mov_b32 v121, v117
	s_and_saveexec_b32 s28, s3
	s_cbranch_execz .LBB120_132
; %bb.131:                              ;   in Loop: Header=BB120_5 Depth=1
	v_add_co_u32 v77, vcc_lo, v155, v3
	v_add_co_ci_u32_e32 v78, vcc_lo, v156, v4, vcc_lo
	v_add_co_u32 v121, vcc_lo, v157, v3
	v_add_co_ci_u32_e32 v122, vcc_lo, v158, v4, vcc_lo
	global_load_b64 v[119:120], v[77:78], off
	global_load_b64 v[121:122], v[121:122], off
.LBB120_132:                            ;   in Loop: Header=BB120_5 Depth=1
	s_or_b32 exec_lo, exec_lo, s28
	v_dual_mov_b32 v124, v118 :: v_dual_mov_b32 v123, v117
	s_and_saveexec_b32 s28, s3
	s_cbranch_execz .LBB120_134
; %bb.133:                              ;   in Loop: Header=BB120_5 Depth=1
	v_add_co_u32 v77, vcc_lo, v151, v3
	v_add_co_ci_u32_e32 v78, vcc_lo, v152, v4, vcc_lo
	v_add_co_u32 v123, vcc_lo, v153, v3
	v_add_co_ci_u32_e32 v124, vcc_lo, v154, v4, vcc_lo
	global_load_b64 v[117:118], v[77:78], off
	global_load_b64 v[123:124], v[123:124], off
.LBB120_134:                            ;   in Loop: Header=BB120_5 Depth=1
	s_or_b32 exec_lo, exec_lo, s28
	v_mov_b32_e32 v127, 0
	v_mov_b32_e32 v128, 0
	s_delay_alu instid0(VALU_DEP_1)
	v_dual_mov_b32 v130, v128 :: v_dual_mov_b32 v129, v127
	v_dual_mov_b32 v132, v128 :: v_dual_mov_b32 v131, v127
	s_and_saveexec_b32 s28, s3
	s_cbranch_execz .LBB120_136
; %bb.135:                              ;   in Loop: Header=BB120_5 Depth=1
	v_add_co_u32 v77, vcc_lo, v147, v3
	v_add_co_ci_u32_e32 v78, vcc_lo, v148, v4, vcc_lo
	v_add_co_u32 v131, vcc_lo, v149, v3
	v_add_co_ci_u32_e32 v132, vcc_lo, v150, v4, vcc_lo
	global_load_b64 v[129:130], v[77:78], off
	global_load_b64 v[131:132], v[131:132], off
.LBB120_136:                            ;   in Loop: Header=BB120_5 Depth=1
	s_or_b32 exec_lo, exec_lo, s28
	v_dual_mov_b32 v134, v128 :: v_dual_mov_b32 v133, v127
	s_and_saveexec_b32 s28, s3
	s_cbranch_execz .LBB120_138
; %bb.137:                              ;   in Loop: Header=BB120_5 Depth=1
	v_add_co_u32 v77, vcc_lo, v143, v3
	v_add_co_ci_u32_e32 v78, vcc_lo, v144, v4, vcc_lo
	v_add_co_u32 v133, vcc_lo, v145, v3
	v_add_co_ci_u32_e32 v134, vcc_lo, v146, v4, vcc_lo
	global_load_b64 v[127:128], v[77:78], off
	global_load_b64 v[133:134], v[133:134], off
.LBB120_138:                            ;   in Loop: Header=BB120_5 Depth=1
	s_or_b32 exec_lo, exec_lo, s28
	v_mov_b32_e32 v77, 0
	v_mov_b32_e32 v78, 0
	s_and_saveexec_b32 s28, s3
	s_cbranch_execz .LBB120_3
; %bb.139:                              ;   in Loop: Header=BB120_5 Depth=1
	v_add_co_u32 v77, vcc_lo, v1, v3
	v_add_co_ci_u32_e32 v78, vcc_lo, v140, v4, vcc_lo
	s_waitcnt vmcnt(0)
	v_dual_mov_b32 v13, v21 :: v_dual_mov_b32 v14, v22
	v_add_co_u32 v21, vcc_lo, v141, v3
	v_add_co_ci_u32_e32 v22, vcc_lo, v142, v4, vcc_lo
	global_load_b64 v[77:78], v[77:78], off
	global_load_b64 v[21:22], v[21:22], off
	s_waitcnt vmcnt(0)
	v_mul_f64 v[77:78], v[77:78], v[21:22]
	v_dual_mov_b32 v22, v14 :: v_dual_mov_b32 v21, v13
	s_branch .LBB120_3
.LBB120_140:
                                        ; implicit-def: $vgpr125_vgpr126
	s_load_b64 s[4:5], s[0:1], 0x30
	s_branch .LBB120_143
.LBB120_141:
	scratch_load_b32 v0, off, off offset:572 ; 4-byte Folded Reload
.LBB120_142:
	s_load_b64 s[4:5], s[0:1], 0x30
	s_cbranch_execnz .LBB120_219
.LBB120_143:
	v_mov_b32_e32 v125, 0
	v_mov_b32_e32 v126, 0
	s_and_not1_b32 vcc_lo, exec_lo, s26
	s_cbranch_vccnz .LBB120_219
; %bb.144:
	s_waitcnt vmcnt(0)
	v_bfe_u32 v7, v0, 10, 10
	s_add_u32 s10, s0, 64
	s_addc_u32 s11, s1, 0
	s_lshl_b64 s[12:13], s[8:9], 3
	s_delay_alu instid0(VALU_DEP_1) | instskip(SKIP_2) | instid1(VALU_DEP_1)
	v_dual_mov_b32 v194, v0 :: v_dual_lshlrev_b32 v1, 8, v7
	scratch_store_b32 off, v194, off offset:572 ; 4-byte Folded Spill
	v_add_co_u32 v121, s3, v1, s12
	v_add_co_ci_u32_e64 v122, null, 0, s13, s3
	s_delay_alu instid0(VALU_DEP_2) | instskip(NEXT) | instid1(VALU_DEP_2)
	v_add_co_u32 v11, vcc_lo, v121, 8
	v_add_co_ci_u32_e32 v6, vcc_lo, 0, v122, vcc_lo
	v_add_co_u32 v15, vcc_lo, v121, 16
	v_add_co_ci_u32_e32 v5, vcc_lo, 0, v122, vcc_lo
	;; [unrolled: 2-line block ×4, first 2 shown]
	s_delay_alu instid0(VALU_DEP_3)
	v_mul_lo_u32 v22, s18, v0
	v_lshlrev_b32_e32 v0, 5, v7
	scratch_store_b32 off, v7, off offset:564 ; 4-byte Folded Spill
	v_add_co_u32 v25, vcc_lo, v121, 40
	v_mad_u64_u32 v[1:2], null, s18, v11, s[20:21]
	scratch_store_b32 off, v0, off          ; 4-byte Folded Spill
	v_add_co_u32 v0, s3, v0, s8
	s_delay_alu instid0(VALU_DEP_1) | instskip(SKIP_1) | instid1(VALU_DEP_3)
	v_add_co_ci_u32_e64 v133, null, 0, 0, s3
	v_mul_lo_u32 v17, s19, v11
	v_mul_lo_u32 v14, s19, v0
	v_mad_u64_u32 v[125:126], null, s18, v0, 0
	s_delay_alu instid0(VALU_DEP_4)
	v_mul_lo_u32 v16, s18, v133
	v_mul_lo_u32 v18, s18, v6
	v_add_co_ci_u32_e32 v13, vcc_lo, 0, v122, vcc_lo
	v_mul_lo_u32 v26, s18, v9
	v_mad_u64_u32 v[9:10], null, s18, v11, s[22:23]
	v_mad_u64_u32 v[3:4], null, s18, v15, s[20:21]
	v_mul_lo_u32 v20, s18, v5
	v_mul_lo_u32 v21, s19, v15
	v_mad_u64_u32 v[5:6], null, s18, v19, s[20:21]
	v_mul_lo_u32 v23, s19, v19
	v_mul_lo_u32 v28, s18, v13
	v_add3_u32 v126, v126, v16, v14
	v_mad_u64_u32 v[13:14], null, s18, v15, s[22:23]
	v_mad_u64_u32 v[15:16], null, s18, v19, s[22:23]
	v_add3_u32 v2, v17, v2, v18
	v_mad_u64_u32 v[7:8], null, s18, v24, s[20:21]
	v_mul_lo_u32 v27, s19, v24
	v_add3_u32 v10, v17, v10, v18
	v_mad_u64_u32 v[17:18], null, s18, v24, s[22:23]
	v_add_co_u32 v30, vcc_lo, v121, 48
	v_add3_u32 v4, v21, v4, v20
	v_add3_u32 v6, v23, v6, v22
	v_mad_u64_u32 v[11:12], null, s18, v25, s[20:21]
	v_mul_lo_u32 v29, s19, v25
	v_add_co_ci_u32_e32 v31, vcc_lo, 0, v122, vcc_lo
	v_add3_u32 v14, v21, v14, v20
	v_add3_u32 v16, v23, v16, v22
	v_mad_u64_u32 v[21:22], null, s18, v25, s[22:23]
	v_mad_u64_u32 v[19:20], null, s18, v30, s[20:21]
	v_mul_lo_u32 v32, s19, v30
	v_mad_u64_u32 v[23:24], null, s18, v30, s[22:23]
	v_add_co_u32 v30, vcc_lo, v121, 56
	v_add3_u32 v8, v27, v8, v26
	v_add3_u32 v18, v27, v18, v26
	v_add_co_ci_u32_e32 v27, vcc_lo, 0, v122, vcc_lo
	v_add3_u32 v12, v29, v12, v28
	v_add3_u32 v22, v29, v22, v28
	v_mad_u64_u32 v[25:26], null, s18, v30, s[20:21]
	s_delay_alu instid0(VALU_DEP_4)
	v_mul_lo_u32 v29, s18, v27
	v_mul_lo_u32 v33, s19, v30
	v_mad_u64_u32 v[27:28], null, s18, v30, s[22:23]
	v_add_co_u32 v34, vcc_lo, v121, 64
	v_mul_lo_u32 v31, s18, v31
	v_add_co_ci_u32_e32 v30, vcc_lo, 0, v122, vcc_lo
	v_add_co_u32 v39, vcc_lo, 0x48, v121
	v_add3_u32 v26, v33, v26, v29
	v_add3_u32 v28, v33, v28, v29
	v_add_co_ci_u32_e32 v33, vcc_lo, 0, v122, vcc_lo
	v_add3_u32 v20, v32, v20, v31
	v_add3_u32 v24, v32, v24, v31
	v_mul_lo_u32 v37, s18, v30
	v_mul_lo_u32 v38, s19, v34
	v_mad_u64_u32 v[29:30], null, s18, v34, s[20:21]
	v_mad_u64_u32 v[31:32], null, s18, v34, s[22:23]
	v_mul_lo_u32 v40, s18, v33
	v_mul_lo_u32 v41, s19, v39
	v_mad_u64_u32 v[33:34], null, s18, v39, s[20:21]
	v_mad_u64_u32 v[35:36], null, s18, v39, s[22:23]
	v_add_co_u32 v42, vcc_lo, 0x50, v121
	v_add_co_ci_u32_e32 v39, vcc_lo, 0, v122, vcc_lo
	v_add_co_u32 v47, vcc_lo, 0x58, v121
	v_add3_u32 v34, v41, v34, v40
	v_add3_u32 v36, v41, v36, v40
	v_add_co_ci_u32_e32 v41, vcc_lo, 0, v122, vcc_lo
	v_add3_u32 v30, v38, v30, v37
	v_add3_u32 v32, v38, v32, v37
	v_mul_lo_u32 v45, s18, v39
	v_mul_lo_u32 v46, s19, v42
	v_mad_u64_u32 v[37:38], null, s18, v42, s[20:21]
	v_mad_u64_u32 v[39:40], null, s18, v42, s[22:23]
	v_mul_lo_u32 v48, s18, v41
	v_mul_lo_u32 v49, s19, v47
	v_mad_u64_u32 v[41:42], null, s18, v47, s[20:21]
	v_mad_u64_u32 v[43:44], null, s18, v47, s[22:23]
	v_add_co_u32 v50, vcc_lo, 0x60, v121
	;; [unrolled: 16-line block ×3, first 2 shown]
	v_add_co_ci_u32_e32 v55, vcc_lo, 0, v122, vcc_lo
	v_add3_u32 v46, v54, v46, v53
	v_add3_u32 v48, v54, v48, v53
	;; [unrolled: 1-line block ×4, first 2 shown]
	v_mul_lo_u32 v57, s18, v55
	v_mul_lo_u32 v59, s19, v58
	v_mad_u64_u32 v[53:54], null, s18, v58, s[20:21]
	v_mad_u64_u32 v[55:56], null, s18, v58, s[22:23]
	v_add_co_u32 v61, vcc_lo, 0x78, v121
	s_load_b32 s3, s[0:1], 0x44
	s_delay_alu instid0(VALU_DEP_3) | instskip(NEXT) | instid1(VALU_DEP_2)
	v_add3_u32 v54, v59, v54, v57
	v_mul_lo_u32 v63, s19, v61
	s_delay_alu instid0(VALU_DEP_4) | instskip(SKIP_3) | instid1(VALU_DEP_3)
	v_add3_u32 v56, v59, v56, v57
	v_add_co_ci_u32_e32 v57, vcc_lo, 0, v122, vcc_lo
	v_mad_u64_u32 v[59:60], null, s18, v61, s[22:23]
	v_add_co_u32 v65, vcc_lo, 0x80, v121
	v_mul_lo_u32 v62, s18, v57
	v_mad_u64_u32 v[57:58], null, s18, v61, s[20:21]
	v_add_co_ci_u32_e32 v61, vcc_lo, 0, v122, vcc_lo
	s_delay_alu instid0(VALU_DEP_4)
	v_mul_lo_u32 v67, s19, v65
	v_add_co_u32 v69, vcc_lo, 0x88, v121
	v_add3_u32 v60, v63, v60, v62
	v_add3_u32 v58, v63, v58, v62
	v_mul_lo_u32 v66, s18, v61
	v_mad_u64_u32 v[61:62], null, s18, v65, s[20:21]
	v_mad_u64_u32 v[63:64], null, s18, v65, s[22:23]
	v_add_co_ci_u32_e32 v65, vcc_lo, 0, v122, vcc_lo
	v_mul_lo_u32 v71, s19, v69
	v_add_co_u32 v73, vcc_lo, 0x90, v121
	v_add3_u32 v62, v67, v62, v66
	v_add3_u32 v64, v67, v64, v66
	v_mul_lo_u32 v70, s18, v65
	v_mad_u64_u32 v[65:66], null, s18, v69, s[20:21]
	v_mad_u64_u32 v[67:68], null, s18, v69, s[22:23]
	v_add_co_ci_u32_e32 v69, vcc_lo, 0, v122, vcc_lo
	;; [unrolled: 8-line block ×14, first 2 shown]
	v_mul_lo_u32 v127, s19, v123
	s_waitcnt lgkmcnt(0)
	s_lshl_b32 s3, s3, 5
	s_delay_alu instid0(VALU_DEP_4)
	v_add3_u32 v114, v119, v114, v118
	v_mul_lo_u32 v124, s18, v117
	v_add3_u32 v116, v119, v116, v118
	v_mad_u64_u32 v[117:118], null, s18, v123, s[20:21]
	v_mad_u64_u32 v[119:120], null, s18, v123, s[22:23]
	s_mul_i32 s12, s19, s3
	s_mul_hi_u32 s13, s18, s3
	s_delay_alu instid0(SALU_CYCLE_1) | instskip(NEXT) | instid1(VALU_DEP_2)
	s_add_i32 s13, s13, s12
	v_add3_u32 v118, v127, v118, v124
	s_mul_i32 s12, s18, s3
	s_delay_alu instid0(VALU_DEP_2) | instskip(SKIP_3) | instid1(VALU_DEP_2)
	v_add3_u32 v120, v127, v120, v124
	v_add_co_u32 v127, vcc_lo, 0xf8, v121
	v_add_co_ci_u32_e32 v121, vcc_lo, 0, v122, vcc_lo
	s_lshl_b64 s[12:13], s[12:13], 3
	v_mul_lo_u32 v129, s19, v127
	v_mad_u64_u32 v[123:124], null, s18, v127, s[22:23]
	s_delay_alu instid0(VALU_DEP_3) | instskip(SKIP_1) | instid1(VALU_DEP_2)
	v_mul_lo_u32 v128, s18, v121
	v_mad_u64_u32 v[121:122], null, s18, v127, s[20:21]
	v_add3_u32 v124, v129, v124, v128
	s_delay_alu instid0(VALU_DEP_2) | instskip(SKIP_2) | instid1(VALU_DEP_2)
	v_add3_u32 v122, v129, v122, v128
	v_add_co_u32 v129, vcc_lo, v0, 31
	v_add_co_ci_u32_e32 v127, vcc_lo, 0, v133, vcc_lo
	v_mul_lo_u32 v131, s19, v129
	s_delay_alu instid0(VALU_DEP_2) | instskip(SKIP_1) | instid1(VALU_DEP_1)
	v_mul_lo_u32 v130, s18, v127
	v_mad_u64_u32 v[127:128], null, s18, v129, 0
	v_add3_u32 v128, v128, v130, v131
	v_add_co_u32 v131, vcc_lo, v0, 30
	v_add_co_ci_u32_e32 v129, vcc_lo, 0, v133, vcc_lo
	s_delay_alu instid0(VALU_DEP_2) | instskip(NEXT) | instid1(VALU_DEP_2)
	v_mul_lo_u32 v134, s19, v131
	v_mul_lo_u32 v132, s18, v129
	v_mad_u64_u32 v[129:130], null, s18, v131, 0
	s_delay_alu instid0(VALU_DEP_1) | instskip(SKIP_2) | instid1(VALU_DEP_2)
	v_add3_u32 v130, v130, v132, v134
	v_add_co_u32 v134, vcc_lo, v0, 29
	v_add_co_ci_u32_e32 v131, vcc_lo, 0, v133, vcc_lo
	v_mul_lo_u32 v136, s19, v134
	s_delay_alu instid0(VALU_DEP_2) | instskip(SKIP_1) | instid1(VALU_DEP_1)
	v_mul_lo_u32 v135, s18, v131
	v_mad_u64_u32 v[131:132], null, s18, v134, 0
	v_add3_u32 v132, v132, v135, v136
	v_add_co_u32 v136, vcc_lo, v0, 28
	v_add_co_ci_u32_e32 v134, vcc_lo, 0, v133, vcc_lo
	s_delay_alu instid0(VALU_DEP_2) | instskip(NEXT) | instid1(VALU_DEP_2)
	v_mul_lo_u32 v138, s19, v136
	v_mul_lo_u32 v137, s18, v134
	v_mad_u64_u32 v[134:135], null, s18, v136, 0
	s_delay_alu instid0(VALU_DEP_1) | instskip(SKIP_2) | instid1(VALU_DEP_2)
	v_add3_u32 v135, v135, v137, v138
	v_add_co_u32 v138, vcc_lo, v0, 27
	v_add_co_ci_u32_e32 v136, vcc_lo, 0, v133, vcc_lo
	v_mul_lo_u32 v140, s19, v138
	s_delay_alu instid0(VALU_DEP_2) | instskip(SKIP_1) | instid1(VALU_DEP_1)
	v_mul_lo_u32 v139, s18, v136
	v_mad_u64_u32 v[136:137], null, s18, v138, 0
	v_add3_u32 v137, v137, v139, v140
	v_add_co_u32 v140, vcc_lo, v0, 26
	v_add_co_ci_u32_e32 v138, vcc_lo, 0, v133, vcc_lo
	s_delay_alu instid0(VALU_DEP_2) | instskip(NEXT) | instid1(VALU_DEP_2)
	v_mul_lo_u32 v142, s19, v140
	v_mul_lo_u32 v141, s18, v138
	v_mad_u64_u32 v[138:139], null, s18, v140, 0
	v_add_co_u32 v140, vcc_lo, v0, 25
	s_delay_alu instid0(VALU_DEP_1) | instskip(NEXT) | instid1(VALU_DEP_3)
	v_mad_u64_u32 v[144:145], null, s18, v140, 0
	v_add3_u32 v139, v139, v141, v142
	v_add_co_ci_u32_e32 v141, vcc_lo, 0, v133, vcc_lo
	v_mul_lo_u32 v142, s19, v140
	v_add_co_u32 v140, vcc_lo, v0, 24
	s_delay_alu instid0(VALU_DEP_3) | instskip(NEXT) | instid1(VALU_DEP_2)
	v_mul_lo_u32 v141, s18, v141
	v_mad_u64_u32 v[146:147], null, s18, v140, 0
	s_delay_alu instid0(VALU_DEP_2) | instskip(SKIP_3) | instid1(VALU_DEP_3)
	v_add3_u32 v145, v145, v141, v142
	v_add_co_ci_u32_e32 v141, vcc_lo, 0, v133, vcc_lo
	v_mul_lo_u32 v142, s19, v140
	v_add_co_u32 v140, vcc_lo, v0, 23
	v_mul_lo_u32 v141, s18, v141
	s_delay_alu instid0(VALU_DEP_2) | instskip(NEXT) | instid1(VALU_DEP_2)
	v_mad_u64_u32 v[148:149], null, s18, v140, 0
	v_add3_u32 v147, v147, v141, v142
	v_add_co_ci_u32_e32 v141, vcc_lo, 0, v133, vcc_lo
	v_mul_lo_u32 v142, s19, v140
	v_add_co_u32 v140, vcc_lo, v0, 22
	s_delay_alu instid0(VALU_DEP_3) | instskip(NEXT) | instid1(VALU_DEP_2)
	v_mul_lo_u32 v141, s18, v141
	v_mad_u64_u32 v[150:151], null, s18, v140, 0
	s_delay_alu instid0(VALU_DEP_2) | instskip(SKIP_3) | instid1(VALU_DEP_3)
	v_add3_u32 v149, v149, v141, v142
	v_add_co_ci_u32_e32 v141, vcc_lo, 0, v133, vcc_lo
	v_mul_lo_u32 v142, s19, v140
	v_add_co_u32 v140, vcc_lo, v0, 21
	v_mul_lo_u32 v141, s18, v141
	s_delay_alu instid0(VALU_DEP_2) | instskip(NEXT) | instid1(VALU_DEP_2)
	;; [unrolled: 15-line block ×11, first 2 shown]
	v_mad_u64_u32 v[188:189], null, s18, v140, 0
	v_add3_u32 v187, v187, v141, v142
	v_add_co_ci_u32_e32 v141, vcc_lo, 0, v133, vcc_lo
	v_add_co_u32 v0, vcc_lo, v0, 2
	v_add_co_ci_u32_e32 v133, vcc_lo, 0, v133, vcc_lo
	v_mul_lo_u32 v142, s19, v140
	s_delay_alu instid0(VALU_DEP_3) | instskip(SKIP_1) | instid1(VALU_DEP_4)
	v_mul_lo_u32 v140, s19, v0
	v_mad_u64_u32 v[190:191], null, s18, v0, 0
	v_mul_lo_u32 v133, s18, v133
	v_add_co_u32 v192, vcc_lo, v125, s18
	v_mul_lo_u32 v141, s18, v141
	v_add_co_ci_u32_e32 v193, vcc_lo, s19, v126, vcc_lo
	v_lshlrev_b64 v[125:126], 3, v[125:126]
	v_add3_u32 v191, v191, v133, v140
	s_delay_alu instid0(VALU_DEP_4) | instskip(NEXT) | instid1(VALU_DEP_3)
	v_add3_u32 v189, v189, v141, v142
	v_add_co_u32 v140, vcc_lo, s20, v125
	s_delay_alu instid0(VALU_DEP_4) | instskip(SKIP_4) | instid1(VALU_DEP_2)
	v_add_co_ci_u32_e32 v141, vcc_lo, s21, v126, vcc_lo
	v_add_co_u32 v142, vcc_lo, s22, v125
	v_add_co_ci_u32_e32 v143, vcc_lo, s23, v126, vcc_lo
	v_lshlrev_b64 v[125:126], 3, v[127:128]
	v_mov_b32_e32 v127, 0
	v_add_co_u32 v0, vcc_lo, s20, v125
	scratch_store_b32 off, v0, off offset:8 ; 4-byte Folded Spill
	v_add_co_ci_u32_e32 v0, vcc_lo, s21, v126, vcc_lo
	scratch_store_b32 off, v0, off offset:16 ; 4-byte Folded Spill
	v_add_co_u32 v0, vcc_lo, s22, v125
	scratch_store_b32 off, v0, off offset:24 ; 4-byte Folded Spill
	v_add_co_ci_u32_e32 v0, vcc_lo, s23, v126, vcc_lo
	v_lshlrev_b64 v[125:126], 3, v[129:130]
	scratch_store_b32 off, v0, off offset:32 ; 4-byte Folded Spill
	v_add_co_u32 v0, vcc_lo, s20, v125
	scratch_store_b32 off, v0, off offset:40 ; 4-byte Folded Spill
	v_add_co_ci_u32_e32 v0, vcc_lo, s21, v126, vcc_lo
	scratch_store_b32 off, v0, off offset:48 ; 4-byte Folded Spill
	v_add_co_u32 v0, vcc_lo, s22, v125
	scratch_store_b32 off, v0, off offset:52 ; 4-byte Folded Spill
	v_add_co_ci_u32_e32 v0, vcc_lo, s23, v126, vcc_lo
	v_lshlrev_b64 v[125:126], 3, v[131:132]
	scratch_store_b32 off, v0, off offset:56 ; 4-byte Folded Spill
	;; [unrolled: 9-line block ×22, first 2 shown]
	v_add_co_u32 v196, vcc_lo, s20, v125
	v_add_co_ci_u32_e32 v152, vcc_lo, s21, v126, vcc_lo
	v_add_co_u32 v153, vcc_lo, s22, v125
	v_add_co_ci_u32_e32 v156, vcc_lo, s23, v126, vcc_lo
	v_lshlrev_b64 v[125:126], 3, v[178:179]
	s_delay_alu instid0(VALU_DEP_1) | instskip(NEXT) | instid1(VALU_DEP_2)
	v_add_co_u32 v157, vcc_lo, s20, v125
	v_add_co_ci_u32_e32 v158, vcc_lo, s21, v126, vcc_lo
	v_add_co_u32 v159, vcc_lo, s22, v125
	v_add_co_ci_u32_e32 v160, vcc_lo, s23, v126, vcc_lo
	v_lshlrev_b64 v[125:126], 3, v[180:181]
	s_delay_alu instid0(VALU_DEP_1) | instskip(NEXT) | instid1(VALU_DEP_2)
	;; [unrolled: 6-line block ×7, first 2 shown]
	v_add_co_u32 v183, vcc_lo, s20, v125
	v_add_co_ci_u32_e32 v184, vcc_lo, s21, v126, vcc_lo
	v_add_co_u32 v185, vcc_lo, s22, v125
	v_add_co_ci_u32_e32 v188, vcc_lo, s23, v126, vcc_lo
	v_lshlrev_b64 v[125:126], 3, v[192:193]
	v_mov_b32_e32 v193, v127
	s_delay_alu instid0(VALU_DEP_2) | instskip(NEXT) | instid1(VALU_DEP_3)
	v_add_co_u32 v189, vcc_lo, s20, v125
	v_add_co_ci_u32_e32 v190, vcc_lo, s21, v126, vcc_lo
	v_add_co_u32 v191, vcc_lo, s22, v125
	v_and_b32_e32 v125, 0x3ff, v194
	v_add_co_ci_u32_e32 v192, vcc_lo, s23, v126, vcc_lo
	s_mov_b64 s[20:21], 31
	s_mov_b64 s[22:23], s[8:9]
	s_delay_alu instid0(VALU_DEP_2)
	v_add_nc_u32_e32 v126, s15, v125
	scratch_store_b32 off, v125, off offset:568 ; 4-byte Folded Spill
	v_lshlrev_b64 v[128:129], 3, v[126:127]
	v_mov_b32_e32 v125, 0
	v_mov_b32_e32 v126, 0
	s_branch .LBB120_147
.LBB120_145:                            ;   in Loop: Header=BB120_147 Depth=1
	s_or_b32 exec_lo, exec_lo, s9
	v_add_co_u32 v130, vcc_lo, v140, v128
	v_add_co_ci_u32_e32 v131, vcc_lo, v141, v129, vcc_lo
	v_add_co_u32 v132, vcc_lo, v142, v128
	v_add_co_ci_u32_e32 v133, vcc_lo, v143, v129, vcc_lo
	global_load_b64 v[130:131], v[130:131], off
	global_load_b64 v[132:133], v[132:133], off
	scratch_load_b64 v[134:135], off, off offset:380 ; 8-byte Folded Reload
	s_waitcnt vmcnt(1)
	v_mul_f64 v[130:131], v[130:131], v[132:133]
	ds_bpermute_b32 v132, v127, v125
	ds_bpermute_b32 v133, v127, v126
	s_waitcnt vmcnt(0) lgkmcnt(0)
	v_fma_f64 v[130:131], v[130:131], v[132:133], v[134:135]
	v_add_co_u32 v132, vcc_lo, v1, v128
	v_add_co_ci_u32_e32 v133, vcc_lo, v2, v129, vcc_lo
	v_add_co_u32 v134, vcc_lo, v9, v128
	v_add_co_ci_u32_e32 v135, vcc_lo, v10, v129, vcc_lo
	global_load_b64 v[132:133], v[132:133], off
	global_load_b64 v[134:135], v[134:135], off
	s_waitcnt vmcnt(0)
	v_mul_f64 v[132:133], v[132:133], v[134:135]
	ds_bpermute_b32 v134, v127, v125 offset:4
	ds_bpermute_b32 v135, v127, v126 offset:4
	s_waitcnt lgkmcnt(0)
	v_fma_f64 v[130:131], v[132:133], v[134:135], v[130:131]
	v_add_co_u32 v132, vcc_lo, v3, v128
	v_add_co_ci_u32_e32 v133, vcc_lo, v4, v129, vcc_lo
	v_add_co_u32 v134, vcc_lo, v13, v128
	v_add_co_ci_u32_e32 v135, vcc_lo, v14, v129, vcc_lo
	global_load_b64 v[132:133], v[132:133], off
	global_load_b64 v[134:135], v[134:135], off
	s_waitcnt vmcnt(0)
	v_mul_f64 v[132:133], v[132:133], v[134:135]
	ds_bpermute_b32 v134, v127, v125 offset:8
	ds_bpermute_b32 v135, v127, v126 offset:8
	s_waitcnt lgkmcnt(0)
	;; [unrolled: 12-line block ×29, first 2 shown]
	v_fma_f64 v[130:131], v[132:133], v[134:135], v[130:131]
	v_add_co_u32 v132, vcc_lo, v117, v128
	v_add_co_ci_u32_e32 v133, vcc_lo, v118, v129, vcc_lo
	v_add_co_u32 v134, vcc_lo, v119, v128
	v_add_co_ci_u32_e32 v135, vcc_lo, v120, v129, vcc_lo
	global_load_b64 v[132:133], v[132:133], off
	global_load_b64 v[134:135], v[134:135], off
	s_waitcnt vmcnt(0)
	v_mul_f64 v[132:133], v[132:133], v[134:135]
	ds_bpermute_b32 v134, v127, v125 offset:120
	ds_bpermute_b32 v135, v127, v126 offset:120
	ds_bpermute_b32 v125, v127, v125 offset:124
	ds_bpermute_b32 v126, v127, v126 offset:124
	s_waitcnt lgkmcnt(2)
	v_fma_f64 v[130:131], v[132:133], v[134:135], v[130:131]
	v_add_co_u32 v132, vcc_lo, v121, v128
	v_add_co_ci_u32_e32 v133, vcc_lo, v122, v129, vcc_lo
	v_add_co_u32 v134, vcc_lo, v123, v128
	v_add_co_ci_u32_e32 v135, vcc_lo, v124, v129, vcc_lo
	global_load_b64 v[132:133], v[132:133], off
	global_load_b64 v[134:135], v[134:135], off
	s_waitcnt vmcnt(0)
	v_mul_f64 v[132:133], v[132:133], v[134:135]
	s_waitcnt lgkmcnt(0)
	s_delay_alu instid0(VALU_DEP_1)
	v_fma_f64 v[125:126], v[132:133], v[125:126], v[130:131]
.LBB120_146:                            ;   in Loop: Header=BB120_147 Depth=1
	scratch_load_b32 v130, off, off         ; 4-byte Folded Reload
	v_add_co_u32 v1, vcc_lo, v1, s12
	v_add_co_ci_u32_e32 v2, vcc_lo, s13, v2, vcc_lo
	v_add_co_u32 v3, vcc_lo, v3, s12
	v_add_co_ci_u32_e32 v4, vcc_lo, s13, v4, vcc_lo
	;; [unrolled: 2-line block ×64, first 2 shown]
	s_add_u32 s22, s22, s3
	s_addc_u32 s23, s23, 0
	s_add_u32 s20, s20, s3
	v_cmp_ge_i64_e64 s9, s[22:23], s[16:17]
	s_addc_u32 s21, s21, 0
	s_waitcnt vmcnt(0)
	v_add_co_u32 v130, vcc_lo, v130, s3
	v_add_co_ci_u32_e32 v193, vcc_lo, 0, v193, vcc_lo
	scratch_store_b32 off, v130, off        ; 4-byte Folded Spill
	scratch_load_b32 v130, off, off offset:8 ; 4-byte Folded Reload
	s_waitcnt vmcnt(0)
	v_add_co_u32 v130, vcc_lo, v130, s12
	scratch_store_b32 off, v130, off offset:8 ; 4-byte Folded Spill
	scratch_load_b32 v130, off, off offset:16 ; 4-byte Folded Reload
	s_waitcnt vmcnt(0)
	v_add_co_ci_u32_e32 v130, vcc_lo, s13, v130, vcc_lo
	scratch_store_b32 off, v130, off offset:16 ; 4-byte Folded Spill
	scratch_load_b32 v130, off, off offset:24 ; 4-byte Folded Reload
	s_waitcnt vmcnt(0)
	v_add_co_u32 v130, vcc_lo, v130, s12
	scratch_store_b32 off, v130, off offset:24 ; 4-byte Folded Spill
	scratch_load_b32 v130, off, off offset:32 ; 4-byte Folded Reload
	s_waitcnt vmcnt(0)
	v_add_co_ci_u32_e32 v130, vcc_lo, s13, v130, vcc_lo
	scratch_store_b32 off, v130, off offset:32 ; 4-byte Folded Spill
	;; [unrolled: 8-line block ×43, first 2 shown]
	scratch_load_b32 v130, off, off offset:372 ; 4-byte Folded Reload
	s_waitcnt vmcnt(0)
	v_add_co_u32 v130, vcc_lo, v130, s12
	scratch_store_b32 off, v130, off offset:372 ; 4-byte Folded Spill
	scratch_load_b32 v130, off, off offset:376 ; 4-byte Folded Reload
	s_waitcnt vmcnt(0)
	v_add_co_ci_u32_e32 v130, vcc_lo, s13, v130, vcc_lo
	v_add_co_u32 v196, vcc_lo, v196, s12
	v_add_co_ci_u32_e32 v152, vcc_lo, s13, v152, vcc_lo
	v_add_co_u32 v153, vcc_lo, v153, s12
	v_add_co_ci_u32_e32 v156, vcc_lo, s13, v156, vcc_lo
	v_add_co_u32 v157, vcc_lo, v157, s12
	v_add_co_ci_u32_e32 v158, vcc_lo, s13, v158, vcc_lo
	v_add_co_u32 v159, vcc_lo, v159, s12
	v_add_co_ci_u32_e32 v160, vcc_lo, s13, v160, vcc_lo
	v_add_co_u32 v161, vcc_lo, v161, s12
	v_add_co_ci_u32_e32 v164, vcc_lo, s13, v164, vcc_lo
	v_add_co_u32 v165, vcc_lo, v165, s12
	v_add_co_ci_u32_e32 v166, vcc_lo, s13, v166, vcc_lo
	v_add_co_u32 v167, vcc_lo, v167, s12
	v_add_co_ci_u32_e32 v200, vcc_lo, s13, v200, vcc_lo
	v_add_co_u32 v201, vcc_lo, v201, s12
	v_add_co_ci_u32_e32 v169, vcc_lo, s13, v169, vcc_lo
	v_add_co_u32 v0, vcc_lo, v0, s12
	v_add_co_ci_u32_e32 v172, vcc_lo, s13, v172, vcc_lo
	v_add_co_u32 v173, vcc_lo, v173, s12
	v_add_co_ci_u32_e32 v198, vcc_lo, s13, v198, vcc_lo
	v_add_co_u32 v199, vcc_lo, v199, s12
	v_add_co_ci_u32_e32 v174, vcc_lo, s13, v174, vcc_lo
	v_add_co_u32 v175, vcc_lo, v175, s12
	v_add_co_ci_u32_e32 v176, vcc_lo, s13, v176, vcc_lo
	v_add_co_u32 v177, vcc_lo, v177, s12
	v_add_co_ci_u32_e32 v180, vcc_lo, s13, v180, vcc_lo
	v_add_co_u32 v181, vcc_lo, v181, s12
	v_add_co_ci_u32_e32 v182, vcc_lo, s13, v182, vcc_lo
	v_add_co_u32 v183, vcc_lo, v183, s12
	v_add_co_ci_u32_e32 v184, vcc_lo, s13, v184, vcc_lo
	v_add_co_u32 v185, vcc_lo, v185, s12
	v_add_co_ci_u32_e32 v188, vcc_lo, s13, v188, vcc_lo
	v_add_co_u32 v189, vcc_lo, v189, s12
	v_add_co_ci_u32_e32 v190, vcc_lo, s13, v190, vcc_lo
	v_add_co_u32 v191, vcc_lo, v191, s12
	v_add_co_ci_u32_e32 v192, vcc_lo, s13, v192, vcc_lo
	s_and_b32 vcc_lo, exec_lo, s9
	scratch_store_b32 off, v130, off offset:376 ; 4-byte Folded Spill
	s_cbranch_vccnz .LBB120_218
.LBB120_147:                            ; =>This Inner Loop Header: Depth=1
	scratch_store_b64 off, v[125:126], off offset:380 ; 8-byte Folded Spill
	scratch_load_b32 v125, off, off         ; 4-byte Folded Reload
	s_add_u32 s24, s8, s20
	s_addc_u32 s25, 0, s21
	s_delay_alu instid0(SALU_CYCLE_1) | instskip(SKIP_3) | instid1(VALU_DEP_3)
	v_cmp_ge_i64_e64 s9, s[24:25], s[16:17]
	s_waitcnt vmcnt(0)
	v_add_co_u32 v132, vcc_lo, s8, v125
	v_add_co_ci_u32_e32 v133, vcc_lo, 0, v193, vcc_lo
	s_and_b32 vcc_lo, exec_lo, s9
	s_cbranch_vccz .LBB120_215
; %bb.148:                              ;   in Loop: Header=BB120_147 Depth=1
	s_load_b32 s9, s[10:11], 0xc
	s_clause 0x1
	scratch_load_b32 v125, off, off offset:564
	scratch_load_b32 v126, off, off offset:568
	v_mov_b32_e32 v134, 0
	v_mov_b32_e32 v135, 0
	s_waitcnt lgkmcnt(0)
	s_and_b32 s9, s9, 0xffff
	s_waitcnt vmcnt(0)
	v_mad_u32_u24 v125, v125, s9, v126
	s_mov_b32 s9, exec_lo
	s_delay_alu instid0(VALU_DEP_1) | instskip(NEXT) | instid1(VALU_DEP_1)
	v_and_b32_e32 v125, 31, v125
	v_add_co_u32 v130, vcc_lo, v132, v125
	v_add_co_ci_u32_e32 v131, vcc_lo, 0, v133, vcc_lo
	v_dual_mov_b32 v125, v134 :: v_dual_mov_b32 v126, v135
	s_delay_alu instid0(VALU_DEP_2)
	v_cmpx_gt_i64_e64 s[16:17], v[130:131]
	s_cbranch_execz .LBB120_150
; %bb.149:                              ;   in Loop: Header=BB120_147 Depth=1
	v_lshlrev_b64 v[125:126], 3, v[130:131]
	s_delay_alu instid0(VALU_DEP_1) | instskip(NEXT) | instid1(VALU_DEP_2)
	v_add_co_u32 v125, vcc_lo, s6, v125
	v_add_co_ci_u32_e32 v126, vcc_lo, s7, v126, vcc_lo
	global_load_b64 v[125:126], v[125:126], off
.LBB120_150:                            ;   in Loop: Header=BB120_147 Depth=1
	s_or_b32 exec_lo, exec_lo, s9
	v_dual_mov_b32 v149, v135 :: v_dual_mov_b32 v148, v134
	s_mov_b32 s9, exec_lo
	v_cmpx_gt_i64_e64 s[16:17], v[132:133]
	s_cbranch_execz .LBB120_152
; %bb.151:                              ;   in Loop: Header=BB120_147 Depth=1
	v_add_co_u32 v130, vcc_lo, v140, v128
	v_add_co_ci_u32_e32 v131, vcc_lo, v141, v129, vcc_lo
	v_add_co_u32 v136, vcc_lo, v142, v128
	v_add_co_ci_u32_e32 v137, vcc_lo, v143, v129, vcc_lo
	global_load_b64 v[134:135], v[130:131], off
	global_load_b64 v[148:149], v[136:137], off
.LBB120_152:                            ;   in Loop: Header=BB120_147 Depth=1
	s_or_b32 exec_lo, exec_lo, s9
	v_mov_b32_e32 v138, 0
	v_mov_b32_e32 v139, 0
	v_add_co_u32 v130, vcc_lo, v132, 1
	v_add_co_ci_u32_e32 v131, vcc_lo, 0, v133, vcc_lo
	s_delay_alu instid0(VALU_DEP_3) | instskip(SKIP_2) | instid1(VALU_DEP_3)
	v_dual_mov_b32 v151, v139 :: v_dual_mov_b32 v150, v138
	v_dual_mov_b32 v145, v139 :: v_dual_mov_b32 v144, v138
	s_mov_b32 s9, exec_lo
	v_cmpx_gt_i64_e64 s[16:17], v[130:131]
	s_cbranch_execz .LBB120_154
; %bb.153:                              ;   in Loop: Header=BB120_147 Depth=1
	v_add_co_u32 v130, vcc_lo, v189, v128
	v_add_co_ci_u32_e32 v131, vcc_lo, v190, v129, vcc_lo
	v_add_co_u32 v136, vcc_lo, v191, v128
	v_add_co_ci_u32_e32 v137, vcc_lo, v192, v129, vcc_lo
	global_load_b64 v[150:151], v[130:131], off
	global_load_b64 v[144:145], v[136:137], off
.LBB120_154:                            ;   in Loop: Header=BB120_147 Depth=1
	s_or_b32 exec_lo, exec_lo, s9
	v_add_co_u32 v130, vcc_lo, v132, 2
	v_add_co_ci_u32_e32 v131, vcc_lo, 0, v133, vcc_lo
	s_mov_b32 s9, exec_lo
	scratch_store_b64 off, v[138:139], off offset:388 ; 8-byte Folded Spill
	v_cmpx_gt_i64_e64 s[16:17], v[130:131]
	s_cbranch_execz .LBB120_156
; %bb.155:                              ;   in Loop: Header=BB120_147 Depth=1
	v_add_co_u32 v130, vcc_lo, v183, v128
	v_add_co_ci_u32_e32 v131, vcc_lo, v184, v129, vcc_lo
	v_add_co_u32 v136, vcc_lo, v185, v128
	v_add_co_ci_u32_e32 v137, vcc_lo, v188, v129, vcc_lo
	global_load_b64 v[138:139], v[130:131], off
	global_load_b64 v[130:131], v[136:137], off
	s_waitcnt vmcnt(0)
	scratch_store_b64 off, v[130:131], off offset:388 ; 8-byte Folded Spill
.LBB120_156:                            ;   in Loop: Header=BB120_147 Depth=1
	s_or_b32 exec_lo, exec_lo, s9
	v_add_co_u32 v130, vcc_lo, v132, 3
	v_mov_b32_e32 v146, 0
	v_mov_b32_e32 v147, 0
	v_add_co_ci_u32_e32 v131, vcc_lo, 0, v133, vcc_lo
	s_mov_b32 s9, exec_lo
	s_clause 0x1
	scratch_store_b64 off, v[146:147], off offset:396
	scratch_store_b64 off, v[146:147], off offset:404
	v_cmpx_gt_i64_e64 s[16:17], v[130:131]
	s_cbranch_execz .LBB120_158
; %bb.157:                              ;   in Loop: Header=BB120_147 Depth=1
	v_add_co_u32 v130, vcc_lo, v177, v128
	v_add_co_ci_u32_e32 v131, vcc_lo, v180, v129, vcc_lo
	v_add_co_u32 v136, vcc_lo, v181, v128
	v_add_co_ci_u32_e32 v137, vcc_lo, v182, v129, vcc_lo
	global_load_b64 v[130:131], v[130:131], off
	s_waitcnt vmcnt(0)
	scratch_store_b64 off, v[130:131], off offset:396 ; 8-byte Folded Spill
	global_load_b64 v[130:131], v[136:137], off
	s_waitcnt vmcnt(0)
	scratch_store_b64 off, v[130:131], off offset:404 ; 8-byte Folded Spill
.LBB120_158:                            ;   in Loop: Header=BB120_147 Depth=1
	s_or_b32 exec_lo, exec_lo, s9
	v_add_co_u32 v130, vcc_lo, v132, 4
	v_add_co_ci_u32_e32 v131, vcc_lo, 0, v133, vcc_lo
	s_mov_b32 s9, exec_lo
	scratch_store_b64 off, v[146:147], off offset:412 ; 8-byte Folded Spill
	v_cmpx_gt_i64_e64 s[16:17], v[130:131]
	s_cbranch_execz .LBB120_160
; %bb.159:                              ;   in Loop: Header=BB120_147 Depth=1
	v_add_co_u32 v130, vcc_lo, v199, v128
	v_add_co_ci_u32_e32 v131, vcc_lo, v174, v129, vcc_lo
	v_add_co_u32 v136, vcc_lo, v175, v128
	v_add_co_ci_u32_e32 v137, vcc_lo, v176, v129, vcc_lo
	global_load_b64 v[146:147], v[130:131], off
	global_load_b64 v[130:131], v[136:137], off
	s_waitcnt vmcnt(0)
	scratch_store_b64 off, v[130:131], off offset:412 ; 8-byte Folded Spill
.LBB120_160:                            ;   in Loop: Header=BB120_147 Depth=1
	s_or_b32 exec_lo, exec_lo, s9
	v_add_co_u32 v130, vcc_lo, v132, 5
	v_mov_b32_e32 v154, 0
	v_mov_b32_e32 v155, 0
	v_add_co_ci_u32_e32 v131, vcc_lo, 0, v133, vcc_lo
	s_mov_b32 s9, exec_lo
	s_clause 0x1
	scratch_store_b64 off, v[154:155], off offset:420
	scratch_store_b64 off, v[154:155], off offset:428
	v_cmpx_gt_i64_e64 s[16:17], v[130:131]
	s_cbranch_execz .LBB120_162
; %bb.161:                              ;   in Loop: Header=BB120_147 Depth=1
	v_add_co_u32 v130, vcc_lo, v0, v128
	v_add_co_ci_u32_e32 v131, vcc_lo, v172, v129, vcc_lo
	v_add_co_u32 v136, vcc_lo, v173, v128
	v_add_co_ci_u32_e32 v137, vcc_lo, v198, v129, vcc_lo
	global_load_b64 v[130:131], v[130:131], off
	s_waitcnt vmcnt(0)
	scratch_store_b64 off, v[130:131], off offset:420 ; 8-byte Folded Spill
	global_load_b64 v[130:131], v[136:137], off
	s_waitcnt vmcnt(0)
	scratch_store_b64 off, v[130:131], off offset:428 ; 8-byte Folded Spill
.LBB120_162:                            ;   in Loop: Header=BB120_147 Depth=1
	;; [unrolled: 40-line block ×4, first 2 shown]
	s_or_b32 exec_lo, exec_lo, s9
	v_add_co_u32 v130, vcc_lo, v132, 10
	v_add_co_ci_u32_e32 v131, vcc_lo, 0, v133, vcc_lo
	s_mov_b32 s9, exec_lo
	scratch_store_b64 off, v[170:171], off offset:484 ; 8-byte Folded Spill
	v_cmpx_gt_i64_e64 s[16:17], v[130:131]
	s_cbranch_execz .LBB120_172
; %bb.171:                              ;   in Loop: Header=BB120_147 Depth=1
	s_clause 0x3
	scratch_load_b32 v130, off, off offset:364
	scratch_load_b32 v131, off, off offset:368
	scratch_load_b32 v136, off, off offset:372
	scratch_load_b32 v137, off, off offset:376
	s_waitcnt vmcnt(3)
	v_add_co_u32 v130, vcc_lo, v130, v128
	s_waitcnt vmcnt(2)
	v_add_co_ci_u32_e32 v131, vcc_lo, v131, v129, vcc_lo
	s_waitcnt vmcnt(1)
	v_add_co_u32 v136, vcc_lo, v136, v128
	s_waitcnt vmcnt(0)
	v_add_co_ci_u32_e32 v137, vcc_lo, v137, v129, vcc_lo
	global_load_b64 v[170:171], v[130:131], off
	global_load_b64 v[130:131], v[136:137], off
	s_waitcnt vmcnt(0)
	scratch_store_b64 off, v[130:131], off offset:484 ; 8-byte Folded Spill
.LBB120_172:                            ;   in Loop: Header=BB120_147 Depth=1
	s_or_b32 exec_lo, exec_lo, s9
	v_add_co_u32 v130, vcc_lo, v132, 11
	v_mov_b32_e32 v178, 0
	v_mov_b32_e32 v179, 0
	v_add_co_ci_u32_e32 v131, vcc_lo, 0, v133, vcc_lo
	s_mov_b32 s9, exec_lo
	s_clause 0x1
	scratch_store_b64 off, v[178:179], off offset:492
	scratch_store_b64 off, v[178:179], off offset:500
	v_cmpx_gt_i64_e64 s[16:17], v[130:131]
	s_cbranch_execz .LBB120_174
; %bb.173:                              ;   in Loop: Header=BB120_147 Depth=1
	s_clause 0x3
	scratch_load_b32 v130, off, off offset:348
	scratch_load_b32 v131, off, off offset:352
	scratch_load_b32 v136, off, off offset:356
	scratch_load_b32 v137, off, off offset:360
	s_waitcnt vmcnt(3)
	v_add_co_u32 v130, vcc_lo, v130, v128
	s_waitcnt vmcnt(2)
	v_add_co_ci_u32_e32 v131, vcc_lo, v131, v129, vcc_lo
	s_waitcnt vmcnt(1)
	v_add_co_u32 v136, vcc_lo, v136, v128
	s_waitcnt vmcnt(0)
	v_add_co_ci_u32_e32 v137, vcc_lo, v137, v129, vcc_lo
	global_load_b64 v[130:131], v[130:131], off
	s_waitcnt vmcnt(0)
	scratch_store_b64 off, v[130:131], off offset:492 ; 8-byte Folded Spill
	global_load_b64 v[130:131], v[136:137], off
	s_waitcnt vmcnt(0)
	scratch_store_b64 off, v[130:131], off offset:500 ; 8-byte Folded Spill
.LBB120_174:                            ;   in Loop: Header=BB120_147 Depth=1
	s_or_b32 exec_lo, exec_lo, s9
	v_add_co_u32 v130, vcc_lo, v132, 12
	v_add_co_ci_u32_e32 v131, vcc_lo, 0, v133, vcc_lo
	s_mov_b32 s9, exec_lo
	scratch_store_b64 off, v[178:179], off offset:508 ; 8-byte Folded Spill
	v_cmpx_gt_i64_e64 s[16:17], v[130:131]
	s_cbranch_execz .LBB120_176
; %bb.175:                              ;   in Loop: Header=BB120_147 Depth=1
	s_clause 0x3
	scratch_load_b32 v130, off, off offset:332
	scratch_load_b32 v131, off, off offset:336
	scratch_load_b32 v136, off, off offset:340
	scratch_load_b32 v137, off, off offset:344
	s_waitcnt vmcnt(3)
	v_add_co_u32 v130, vcc_lo, v130, v128
	s_waitcnt vmcnt(2)
	v_add_co_ci_u32_e32 v131, vcc_lo, v131, v129, vcc_lo
	s_waitcnt vmcnt(1)
	v_add_co_u32 v136, vcc_lo, v136, v128
	s_waitcnt vmcnt(0)
	v_add_co_ci_u32_e32 v137, vcc_lo, v137, v129, vcc_lo
	global_load_b64 v[178:179], v[130:131], off
	global_load_b64 v[130:131], v[136:137], off
	s_waitcnt vmcnt(0)
	scratch_store_b64 off, v[130:131], off offset:508 ; 8-byte Folded Spill
.LBB120_176:                            ;   in Loop: Header=BB120_147 Depth=1
	s_or_b32 exec_lo, exec_lo, s9
	v_add_co_u32 v130, vcc_lo, v132, 13
	v_mov_b32_e32 v186, 0
	v_mov_b32_e32 v187, 0
	v_add_co_ci_u32_e32 v131, vcc_lo, 0, v133, vcc_lo
	s_mov_b32 s9, exec_lo
	s_clause 0x1
	scratch_store_b64 off, v[186:187], off offset:516
	scratch_store_b64 off, v[186:187], off offset:524
	v_cmpx_gt_i64_e64 s[16:17], v[130:131]
	s_cbranch_execz .LBB120_178
; %bb.177:                              ;   in Loop: Header=BB120_147 Depth=1
	s_clause 0x3
	scratch_load_b32 v130, off, off offset:316
	scratch_load_b32 v131, off, off offset:320
	scratch_load_b32 v136, off, off offset:324
	scratch_load_b32 v137, off, off offset:328
	s_waitcnt vmcnt(3)
	v_add_co_u32 v130, vcc_lo, v130, v128
	s_waitcnt vmcnt(2)
	v_add_co_ci_u32_e32 v131, vcc_lo, v131, v129, vcc_lo
	s_waitcnt vmcnt(1)
	v_add_co_u32 v136, vcc_lo, v136, v128
	s_waitcnt vmcnt(0)
	v_add_co_ci_u32_e32 v137, vcc_lo, v137, v129, vcc_lo
	global_load_b64 v[130:131], v[130:131], off
	s_waitcnt vmcnt(0)
	scratch_store_b64 off, v[130:131], off offset:516 ; 8-byte Folded Spill
	global_load_b64 v[130:131], v[136:137], off
	s_waitcnt vmcnt(0)
	scratch_store_b64 off, v[130:131], off offset:524 ; 8-byte Folded Spill
.LBB120_178:                            ;   in Loop: Header=BB120_147 Depth=1
	;; [unrolled: 58-line block ×3, first 2 shown]
	s_or_b32 exec_lo, exec_lo, s9
	v_add_co_u32 v130, vcc_lo, v132, 16
	v_add_co_ci_u32_e32 v131, vcc_lo, 0, v133, vcc_lo
	s_mov_b32 s9, exec_lo
	scratch_store_b64 off, v[194:195], off offset:556 ; 8-byte Folded Spill
	v_cmpx_gt_i64_e64 s[16:17], v[130:131]
	s_cbranch_execz .LBB120_184
; %bb.183:                              ;   in Loop: Header=BB120_147 Depth=1
	s_clause 0x3
	scratch_load_b32 v130, off, off offset:268
	scratch_load_b32 v131, off, off offset:272
	;; [unrolled: 1-line block ×4, first 2 shown]
	s_waitcnt vmcnt(3)
	v_add_co_u32 v130, vcc_lo, v130, v128
	s_waitcnt vmcnt(2)
	v_add_co_ci_u32_e32 v131, vcc_lo, v131, v129, vcc_lo
	s_waitcnt vmcnt(1)
	v_add_co_u32 v136, vcc_lo, v136, v128
	s_waitcnt vmcnt(0)
	v_add_co_ci_u32_e32 v137, vcc_lo, v137, v129, vcc_lo
	global_load_b64 v[194:195], v[130:131], off
	global_load_b64 v[130:131], v[136:137], off
	s_waitcnt vmcnt(0)
	scratch_store_b64 off, v[130:131], off offset:556 ; 8-byte Folded Spill
.LBB120_184:                            ;   in Loop: Header=BB120_147 Depth=1
	s_or_b32 exec_lo, exec_lo, s9
	v_mov_b32_e32 v202, 0
	v_mov_b32_e32 v203, 0
	v_add_co_u32 v130, vcc_lo, v132, 17
	v_add_co_ci_u32_e32 v131, vcc_lo, 0, v133, vcc_lo
	s_delay_alu instid0(VALU_DEP_3) | instskip(SKIP_2) | instid1(VALU_DEP_3)
	v_dual_mov_b32 v205, v203 :: v_dual_mov_b32 v204, v202
	v_dual_mov_b32 v207, v203 :: v_dual_mov_b32 v206, v202
	s_mov_b32 s9, exec_lo
	v_cmpx_gt_i64_e64 s[16:17], v[130:131]
	s_cbranch_execz .LBB120_186
; %bb.185:                              ;   in Loop: Header=BB120_147 Depth=1
	s_clause 0x3
	scratch_load_b32 v130, off, off offset:252
	scratch_load_b32 v131, off, off offset:256
	scratch_load_b32 v136, off, off offset:260
	scratch_load_b32 v137, off, off offset:264
	s_waitcnt vmcnt(3)
	v_add_co_u32 v130, vcc_lo, v130, v128
	s_waitcnt vmcnt(2)
	v_add_co_ci_u32_e32 v131, vcc_lo, v131, v129, vcc_lo
	s_waitcnt vmcnt(1)
	v_add_co_u32 v136, vcc_lo, v136, v128
	s_waitcnt vmcnt(0)
	v_add_co_ci_u32_e32 v137, vcc_lo, v137, v129, vcc_lo
	global_load_b64 v[204:205], v[130:131], off
	global_load_b64 v[206:207], v[136:137], off
.LBB120_186:                            ;   in Loop: Header=BB120_147 Depth=1
	s_or_b32 exec_lo, exec_lo, s9
	v_add_co_u32 v130, vcc_lo, v132, 18
	v_add_co_ci_u32_e32 v131, vcc_lo, 0, v133, vcc_lo
	v_dual_mov_b32 v209, v203 :: v_dual_mov_b32 v208, v202
	s_mov_b32 s9, exec_lo
	s_delay_alu instid0(VALU_DEP_2)
	v_cmpx_gt_i64_e64 s[16:17], v[130:131]
	s_cbranch_execz .LBB120_188
; %bb.187:                              ;   in Loop: Header=BB120_147 Depth=1
	s_clause 0x3
	scratch_load_b32 v130, off, off offset:236
	scratch_load_b32 v131, off, off offset:240
	scratch_load_b32 v136, off, off offset:244
	scratch_load_b32 v137, off, off offset:248
	s_waitcnt vmcnt(3)
	v_add_co_u32 v130, vcc_lo, v130, v128
	s_waitcnt vmcnt(2)
	v_add_co_ci_u32_e32 v131, vcc_lo, v131, v129, vcc_lo
	s_waitcnt vmcnt(1)
	v_add_co_u32 v136, vcc_lo, v136, v128
	s_waitcnt vmcnt(0)
	v_add_co_ci_u32_e32 v137, vcc_lo, v137, v129, vcc_lo
	global_load_b64 v[202:203], v[130:131], off
	global_load_b64 v[208:209], v[136:137], off
.LBB120_188:                            ;   in Loop: Header=BB120_147 Depth=1
	s_or_b32 exec_lo, exec_lo, s9
	v_mov_b32_e32 v210, 0
	v_mov_b32_e32 v211, 0
	v_add_co_u32 v130, vcc_lo, v132, 19
	v_add_co_ci_u32_e32 v131, vcc_lo, 0, v133, vcc_lo
	s_delay_alu instid0(VALU_DEP_3) | instskip(SKIP_2) | instid1(VALU_DEP_3)
	v_dual_mov_b32 v213, v211 :: v_dual_mov_b32 v212, v210
	v_dual_mov_b32 v215, v211 :: v_dual_mov_b32 v214, v210
	s_mov_b32 s9, exec_lo
	v_cmpx_gt_i64_e64 s[16:17], v[130:131]
	s_cbranch_execz .LBB120_190
; %bb.189:                              ;   in Loop: Header=BB120_147 Depth=1
	s_clause 0x3
	scratch_load_b32 v130, off, off offset:220
	scratch_load_b32 v131, off, off offset:224
	scratch_load_b32 v136, off, off offset:228
	scratch_load_b32 v137, off, off offset:232
	s_waitcnt vmcnt(3)
	v_add_co_u32 v130, vcc_lo, v130, v128
	s_waitcnt vmcnt(2)
	v_add_co_ci_u32_e32 v131, vcc_lo, v131, v129, vcc_lo
	s_waitcnt vmcnt(1)
	v_add_co_u32 v136, vcc_lo, v136, v128
	s_waitcnt vmcnt(0)
	v_add_co_ci_u32_e32 v137, vcc_lo, v137, v129, vcc_lo
	global_load_b64 v[212:213], v[130:131], off
	global_load_b64 v[214:215], v[136:137], off
.LBB120_190:                            ;   in Loop: Header=BB120_147 Depth=1
	s_or_b32 exec_lo, exec_lo, s9
	v_add_co_u32 v130, vcc_lo, v132, 20
	v_add_co_ci_u32_e32 v131, vcc_lo, 0, v133, vcc_lo
	v_dual_mov_b32 v217, v211 :: v_dual_mov_b32 v216, v210
	s_mov_b32 s9, exec_lo
	s_delay_alu instid0(VALU_DEP_2)
	v_cmpx_gt_i64_e64 s[16:17], v[130:131]
	s_cbranch_execz .LBB120_192
; %bb.191:                              ;   in Loop: Header=BB120_147 Depth=1
	s_clause 0x3
	scratch_load_b32 v130, off, off offset:204
	scratch_load_b32 v131, off, off offset:208
	scratch_load_b32 v136, off, off offset:212
	scratch_load_b32 v137, off, off offset:216
	s_waitcnt vmcnt(3)
	v_add_co_u32 v130, vcc_lo, v130, v128
	s_waitcnt vmcnt(2)
	v_add_co_ci_u32_e32 v131, vcc_lo, v131, v129, vcc_lo
	s_waitcnt vmcnt(1)
	v_add_co_u32 v136, vcc_lo, v136, v128
	s_waitcnt vmcnt(0)
	v_add_co_ci_u32_e32 v137, vcc_lo, v137, v129, vcc_lo
	global_load_b64 v[210:211], v[130:131], off
	global_load_b64 v[216:217], v[136:137], off
.LBB120_192:                            ;   in Loop: Header=BB120_147 Depth=1
	;; [unrolled: 53-line block ×6, first 2 shown]
	s_or_b32 exec_lo, exec_lo, s9
	v_mov_b32_e32 v250, 0
	v_mov_b32_e32 v251, 0
	v_add_co_u32 v130, vcc_lo, v132, 29
	v_add_co_ci_u32_e32 v131, vcc_lo, 0, v133, vcc_lo
	s_delay_alu instid0(VALU_DEP_3) | instskip(SKIP_2) | instid1(VALU_DEP_3)
	v_dual_mov_b32 v253, v251 :: v_dual_mov_b32 v252, v250
	v_dual_mov_b32 v255, v251 :: v_dual_mov_b32 v254, v250
	s_mov_b32 s9, exec_lo
	v_cmpx_gt_i64_e64 s[16:17], v[130:131]
	s_cbranch_execz .LBB120_210
; %bb.209:                              ;   in Loop: Header=BB120_147 Depth=1
	s_clause 0x3
	scratch_load_b32 v130, off, off offset:60
	scratch_load_b32 v131, off, off offset:64
	;; [unrolled: 1-line block ×4, first 2 shown]
	s_waitcnt vmcnt(3)
	v_add_co_u32 v130, vcc_lo, v130, v128
	s_waitcnt vmcnt(2)
	v_add_co_ci_u32_e32 v131, vcc_lo, v131, v129, vcc_lo
	s_waitcnt vmcnt(1)
	v_add_co_u32 v136, vcc_lo, v136, v128
	s_waitcnt vmcnt(0)
	v_add_co_ci_u32_e32 v137, vcc_lo, v137, v129, vcc_lo
	global_load_b64 v[252:253], v[130:131], off
	global_load_b64 v[254:255], v[136:137], off
.LBB120_210:                            ;   in Loop: Header=BB120_147 Depth=1
	s_or_b32 exec_lo, exec_lo, s9
	v_add_co_u32 v130, vcc_lo, v132, 30
	v_add_co_ci_u32_e32 v131, vcc_lo, 0, v133, vcc_lo
	s_delay_alu instid0(VALU_DEP_1)
	v_cmp_gt_i64_e32 vcc_lo, s[16:17], v[130:131]
	v_dual_mov_b32 v130, v250 :: v_dual_mov_b32 v131, v251
	s_and_saveexec_b32 s9, vcc_lo
	s_cbranch_execz .LBB120_212
; %bb.211:                              ;   in Loop: Header=BB120_147 Depth=1
	s_clause 0x3
	scratch_load_b32 v130, off, off offset:40
	scratch_load_b32 v131, off, off offset:48
	;; [unrolled: 1-line block ×4, first 2 shown]
	s_waitcnt vmcnt(3)
	v_add_co_u32 v130, vcc_lo, v130, v128
	s_waitcnt vmcnt(2)
	v_add_co_ci_u32_e32 v131, vcc_lo, v131, v129, vcc_lo
	s_waitcnt vmcnt(1)
	v_add_co_u32 v136, vcc_lo, v136, v128
	s_waitcnt vmcnt(0)
	v_add_co_ci_u32_e32 v137, vcc_lo, v137, v129, vcc_lo
	global_load_b64 v[250:251], v[130:131], off
	global_load_b64 v[130:131], v[136:137], off
.LBB120_212:                            ;   in Loop: Header=BB120_147 Depth=1
	s_or_b32 exec_lo, exec_lo, s9
	v_add_co_u32 v136, vcc_lo, v132, 31
	v_add_co_ci_u32_e32 v137, vcc_lo, 0, v133, vcc_lo
	s_delay_alu instid0(VALU_DEP_1)
	v_cmp_gt_i64_e32 vcc_lo, s[16:17], v[136:137]
	v_mov_b32_e32 v136, 0
	v_mov_b32_e32 v137, 0
	s_and_saveexec_b32 s9, vcc_lo
	s_cbranch_execz .LBB120_214
; %bb.213:                              ;   in Loop: Header=BB120_147 Depth=1
	s_clause 0x1
	scratch_load_b32 v136, off, off offset:8
	scratch_load_b32 v137, off, off offset:16
	v_dual_mov_b32 v168, v167 :: v_dual_mov_b32 v167, v166
	v_dual_mov_b32 v166, v165 :: v_dual_mov_b32 v165, v164
	;; [unrolled: 1-line block ×6, first 2 shown]
	s_waitcnt vmcnt(3)
	v_dual_mov_b32 v152, v196 :: v_dual_mov_b32 v197, v151
	s_waitcnt vmcnt(2)
	v_dual_mov_b32 v196, v150 :: v_dual_mov_b32 v151, v149
	v_dual_mov_b32 v150, v148 :: v_dual_mov_b32 v149, v145
	v_mov_b32_e32 v148, v144
	s_clause 0x1
	scratch_load_b32 v144, off, off offset:24
	scratch_load_b32 v145, off, off offset:32
	s_waitcnt vmcnt(3)
	v_add_co_u32 v136, vcc_lo, v136, v128
	s_waitcnt vmcnt(2)
	v_add_co_ci_u32_e32 v137, vcc_lo, v137, v129, vcc_lo
	s_waitcnt vmcnt(1)
	v_add_co_u32 v144, vcc_lo, v144, v128
	s_waitcnt vmcnt(0)
	v_add_co_ci_u32_e32 v145, vcc_lo, v145, v129, vcc_lo
	global_load_b64 v[136:137], v[136:137], off
	global_load_b64 v[144:145], v[144:145], off
	s_waitcnt vmcnt(0)
	v_mul_f64 v[136:137], v[136:137], v[144:145]
	v_dual_mov_b32 v144, v148 :: v_dual_mov_b32 v145, v149
	v_dual_mov_b32 v148, v150 :: v_dual_mov_b32 v149, v151
	;; [unrolled: 1-line block ×3, first 2 shown]
	v_mov_b32_e32 v196, v152
	v_dual_mov_b32 v152, v153 :: v_dual_mov_b32 v153, v156
	v_dual_mov_b32 v156, v157 :: v_dual_mov_b32 v157, v158
	v_dual_mov_b32 v158, v159 :: v_dual_mov_b32 v159, v160
	v_dual_mov_b32 v160, v161 :: v_dual_mov_b32 v161, v164
	v_dual_mov_b32 v164, v165 :: v_dual_mov_b32 v165, v166
	v_dual_mov_b32 v166, v167 :: v_dual_mov_b32 v167, v168
.LBB120_214:                            ;   in Loop: Header=BB120_147 Depth=1
	s_or_b32 exec_lo, exec_lo, s9
	s_waitcnt vmcnt(0)
	v_mul_f64 v[144:145], v[150:151], v[144:145]
	scratch_load_b64 v[150:151], off, off offset:380 ; 8-byte Folded Reload
	v_mul_f64 v[134:135], v[134:135], v[148:149]
	ds_bpermute_b32 v148, v127, v125
	ds_bpermute_b32 v149, v127, v126
	v_mul_f64 v[130:131], v[250:251], v[130:131]
	s_waitcnt vmcnt(0) lgkmcnt(0)
	v_fma_f64 v[134:135], v[134:135], v[148:149], v[150:151]
	ds_bpermute_b32 v148, v127, v125 offset:4
	ds_bpermute_b32 v149, v127, v126 offset:4
	s_waitcnt lgkmcnt(0)
	v_fma_f64 v[134:135], v[144:145], v[148:149], v[134:135]
	scratch_load_b64 v[144:145], off, off offset:388 ; 8-byte Folded Reload
	s_waitcnt vmcnt(0)
	v_mul_f64 v[138:139], v[138:139], v[144:145]
	ds_bpermute_b32 v144, v127, v125 offset:8
	ds_bpermute_b32 v145, v127, v126 offset:8
	s_waitcnt lgkmcnt(0)
	v_fma_f64 v[134:135], v[138:139], v[144:145], v[134:135]
	s_clause 0x1
	scratch_load_b64 v[138:139], off, off offset:396
	scratch_load_b64 v[144:145], off, off offset:404
	s_waitcnt vmcnt(0)
	v_mul_f64 v[138:139], v[138:139], v[144:145]
	ds_bpermute_b32 v144, v127, v125 offset:12
	ds_bpermute_b32 v145, v127, v126 offset:12
	s_waitcnt lgkmcnt(0)
	v_fma_f64 v[134:135], v[138:139], v[144:145], v[134:135]
	scratch_load_b64 v[138:139], off, off offset:412 ; 8-byte Folded Reload
	ds_bpermute_b32 v144, v127, v125 offset:16
	ds_bpermute_b32 v145, v127, v126 offset:16
	s_waitcnt vmcnt(0)
	v_mul_f64 v[138:139], v[146:147], v[138:139]
	ds_bpermute_b32 v146, v127, v125 offset:64
	ds_bpermute_b32 v147, v127, v126 offset:64
	s_waitcnt lgkmcnt(2)
	v_fma_f64 v[134:135], v[138:139], v[144:145], v[134:135]
	s_clause 0x1
	scratch_load_b64 v[138:139], off, off offset:420
	scratch_load_b64 v[144:145], off, off offset:428
	s_waitcnt vmcnt(0)
	v_mul_f64 v[138:139], v[138:139], v[144:145]
	ds_bpermute_b32 v144, v127, v125 offset:20
	ds_bpermute_b32 v145, v127, v126 offset:20
	s_waitcnt lgkmcnt(0)
	v_fma_f64 v[134:135], v[138:139], v[144:145], v[134:135]
	scratch_load_b64 v[138:139], off, off offset:436 ; 8-byte Folded Reload
	ds_bpermute_b32 v144, v127, v125 offset:24
	ds_bpermute_b32 v145, v127, v126 offset:24
	s_waitcnt vmcnt(0)
	v_mul_f64 v[138:139], v[154:155], v[138:139]
	s_waitcnt lgkmcnt(0)
	s_delay_alu instid0(VALU_DEP_1)
	v_fma_f64 v[134:135], v[138:139], v[144:145], v[134:135]
	s_clause 0x1
	scratch_load_b64 v[138:139], off, off offset:444
	scratch_load_b64 v[144:145], off, off offset:452
	s_waitcnt vmcnt(0)
	v_mul_f64 v[138:139], v[138:139], v[144:145]
	ds_bpermute_b32 v144, v127, v125 offset:28
	ds_bpermute_b32 v145, v127, v126 offset:28
	s_waitcnt lgkmcnt(0)
	v_fma_f64 v[134:135], v[138:139], v[144:145], v[134:135]
	scratch_load_b64 v[138:139], off, off offset:460 ; 8-byte Folded Reload
	ds_bpermute_b32 v144, v127, v125 offset:32
	ds_bpermute_b32 v145, v127, v126 offset:32
	s_waitcnt vmcnt(0)
	v_mul_f64 v[138:139], v[162:163], v[138:139]
	s_waitcnt lgkmcnt(0)
	s_delay_alu instid0(VALU_DEP_1)
	;; [unrolled: 17-line block ×5, first 2 shown]
	v_fma_f64 v[134:135], v[138:139], v[144:145], v[134:135]
	s_clause 0x1
	scratch_load_b64 v[138:139], off, off offset:540
	scratch_load_b64 v[144:145], off, off offset:548
	s_waitcnt vmcnt(0)
	v_mul_f64 v[138:139], v[138:139], v[144:145]
	ds_bpermute_b32 v144, v127, v125 offset:60
	ds_bpermute_b32 v145, v127, v126 offset:60
	s_waitcnt lgkmcnt(0)
	v_fma_f64 v[134:135], v[138:139], v[144:145], v[134:135]
	scratch_load_b64 v[138:139], off, off offset:556 ; 8-byte Folded Reload
	v_mul_f64 v[144:145], v[204:205], v[206:207]
	s_waitcnt vmcnt(0)
	v_mul_f64 v[138:139], v[194:195], v[138:139]
	s_delay_alu instid0(VALU_DEP_1)
	v_fma_f64 v[134:135], v[138:139], v[146:147], v[134:135]
	ds_bpermute_b32 v138, v127, v125 offset:68
	ds_bpermute_b32 v139, v127, v126 offset:68
	v_mul_f64 v[146:147], v[202:203], v[208:209]
	s_waitcnt lgkmcnt(0)
	v_fma_f64 v[134:135], v[144:145], v[138:139], v[134:135]
	ds_bpermute_b32 v138, v127, v125 offset:72
	ds_bpermute_b32 v139, v127, v126 offset:72
	v_mul_f64 v[144:145], v[212:213], v[214:215]
	s_waitcnt lgkmcnt(0)
	v_fma_f64 v[134:135], v[146:147], v[138:139], v[134:135]
	ds_bpermute_b32 v138, v127, v125 offset:76
	ds_bpermute_b32 v139, v127, v126 offset:76
	v_mul_f64 v[146:147], v[210:211], v[216:217]
	s_waitcnt lgkmcnt(0)
	v_fma_f64 v[134:135], v[144:145], v[138:139], v[134:135]
	ds_bpermute_b32 v138, v127, v125 offset:80
	ds_bpermute_b32 v139, v127, v126 offset:80
	v_mul_f64 v[144:145], v[220:221], v[222:223]
	s_waitcnt lgkmcnt(0)
	v_fma_f64 v[134:135], v[146:147], v[138:139], v[134:135]
	ds_bpermute_b32 v138, v127, v125 offset:84
	ds_bpermute_b32 v139, v127, v126 offset:84
	v_mul_f64 v[146:147], v[218:219], v[224:225]
	s_waitcnt lgkmcnt(0)
	v_fma_f64 v[134:135], v[144:145], v[138:139], v[134:135]
	ds_bpermute_b32 v138, v127, v125 offset:88
	ds_bpermute_b32 v139, v127, v126 offset:88
	v_mul_f64 v[144:145], v[228:229], v[230:231]
	s_waitcnt lgkmcnt(0)
	v_fma_f64 v[134:135], v[146:147], v[138:139], v[134:135]
	ds_bpermute_b32 v138, v127, v125 offset:92
	ds_bpermute_b32 v139, v127, v126 offset:92
	v_mul_f64 v[146:147], v[226:227], v[232:233]
	s_waitcnt lgkmcnt(0)
	v_fma_f64 v[134:135], v[144:145], v[138:139], v[134:135]
	ds_bpermute_b32 v138, v127, v125 offset:96
	ds_bpermute_b32 v139, v127, v126 offset:96
	v_mul_f64 v[144:145], v[236:237], v[238:239]
	s_waitcnt lgkmcnt(0)
	v_fma_f64 v[134:135], v[146:147], v[138:139], v[134:135]
	ds_bpermute_b32 v138, v127, v125 offset:100
	ds_bpermute_b32 v139, v127, v126 offset:100
	v_mul_f64 v[146:147], v[234:235], v[240:241]
	s_waitcnt lgkmcnt(0)
	v_fma_f64 v[134:135], v[144:145], v[138:139], v[134:135]
	ds_bpermute_b32 v138, v127, v125 offset:104
	ds_bpermute_b32 v139, v127, v126 offset:104
	v_mul_f64 v[144:145], v[244:245], v[246:247]
	s_waitcnt lgkmcnt(0)
	v_fma_f64 v[134:135], v[146:147], v[138:139], v[134:135]
	ds_bpermute_b32 v138, v127, v125 offset:108
	ds_bpermute_b32 v139, v127, v126 offset:108
	v_mul_f64 v[146:147], v[242:243], v[248:249]
	s_waitcnt lgkmcnt(0)
	v_fma_f64 v[134:135], v[144:145], v[138:139], v[134:135]
	ds_bpermute_b32 v138, v127, v125 offset:112
	ds_bpermute_b32 v139, v127, v126 offset:112
	v_mul_f64 v[144:145], v[252:253], v[254:255]
	s_waitcnt lgkmcnt(0)
	v_fma_f64 v[134:135], v[146:147], v[138:139], v[134:135]
	ds_bpermute_b32 v138, v127, v125 offset:116
	ds_bpermute_b32 v139, v127, v126 offset:116
	s_waitcnt lgkmcnt(0)
	v_fma_f64 v[134:135], v[144:145], v[138:139], v[134:135]
	ds_bpermute_b32 v138, v127, v125 offset:120
	ds_bpermute_b32 v139, v127, v126 offset:120
	;; [unrolled: 1-line block ×4, first 2 shown]
	s_waitcnt lgkmcnt(2)
	v_fma_f64 v[130:131], v[130:131], v[138:139], v[134:135]
	s_waitcnt lgkmcnt(0)
	s_delay_alu instid0(VALU_DEP_1)
	v_fma_f64 v[125:126], v[136:137], v[125:126], v[130:131]
	s_branch .LBB120_146
.LBB120_215:                            ;   in Loop: Header=BB120_147 Depth=1
                                        ; implicit-def: $vgpr125_vgpr126
	s_cbranch_execz .LBB120_146
; %bb.216:                              ;   in Loop: Header=BB120_147 Depth=1
	s_load_b32 s9, s[10:11], 0x0
	s_waitcnt lgkmcnt(0)
	s_cmp_lt_u32 s14, s9
	s_cselect_b32 s9, 12, 18
	s_delay_alu instid0(SALU_CYCLE_1)
	s_add_u32 s24, s10, s9
	s_addc_u32 s25, s11, 0
	s_mov_b32 s9, exec_lo
	global_load_u16 v125, v127, s[24:25]
	s_clause 0x1
	scratch_load_b32 v126, off, off offset:564
	scratch_load_b32 v130, off, off offset:568
	s_waitcnt vmcnt(0)
	v_mad_u32_u24 v125, v126, v125, v130
	s_delay_alu instid0(VALU_DEP_1) | instskip(NEXT) | instid1(VALU_DEP_1)
	v_and_b32_e32 v125, 31, v125
	v_add_co_u32 v130, vcc_lo, v132, v125
	v_mov_b32_e32 v125, 0
	v_add_co_ci_u32_e32 v131, vcc_lo, 0, v133, vcc_lo
	v_mov_b32_e32 v126, 0
	s_delay_alu instid0(VALU_DEP_2)
	v_cmpx_gt_i64_e64 s[16:17], v[130:131]
	s_cbranch_execz .LBB120_145
; %bb.217:                              ;   in Loop: Header=BB120_147 Depth=1
	v_lshlrev_b64 v[125:126], 3, v[130:131]
	s_delay_alu instid0(VALU_DEP_1) | instskip(NEXT) | instid1(VALU_DEP_2)
	v_add_co_u32 v125, vcc_lo, s6, v125
	v_add_co_ci_u32_e32 v126, vcc_lo, s7, v126, vcc_lo
	global_load_b64 v[125:126], v[125:126], off
	s_branch .LBB120_145
.LBB120_218:
	scratch_load_b32 v0, off, off offset:572 ; 4-byte Folded Reload
.LBB120_219:
	s_mov_b32 s15, 0
	s_delay_alu instid0(SALU_CYCLE_1)
	s_lshl_b64 s[6:7], s[14:15], 6
	s_waitcnt vmcnt(0)
	v_dual_mov_b32 v2, s7 :: v_dual_and_b32 v1, 0x3ff, v0
	s_waitcnt lgkmcnt(0)
	s_cmp_lg_u64 s[4:5], 0
	s_cselect_b32 s3, -1, 0
	s_delay_alu instid0(VALU_DEP_1) | instskip(NEXT) | instid1(VALU_DEP_1)
	v_or_b32_e32 v1, s6, v1
	v_cmp_gt_i64_e32 vcc_lo, s[18:19], v[1:2]
	s_and_b32 s3, vcc_lo, s3
	s_delay_alu instid0(SALU_CYCLE_1)
	s_and_saveexec_b32 s6, s3
	s_cbranch_execz .LBB120_221
; %bb.220:
	s_load_b32 s0, s[0:1], 0x4c
	v_bfe_u32 v3, v0, 10, 10
	v_mov_b32_e32 v4, 0
	s_waitcnt lgkmcnt(0)
	s_lshr_b32 s0, s0, 16
	s_delay_alu instid0(VALU_DEP_1) | instid1(SALU_CYCLE_1)
	v_mad_u64_u32 v[5:6], null, s0, s2, v[3:4]
	s_delay_alu instid0(VALU_DEP_1) | instskip(NEXT) | instid1(VALU_DEP_2)
	v_mul_lo_u32 v0, v6, s18
	v_mul_lo_u32 v6, v5, s19
	v_mad_u64_u32 v[3:4], null, v5, s18, 0
	s_delay_alu instid0(VALU_DEP_1) | instskip(SKIP_1) | instid1(VALU_DEP_2)
	v_add3_u32 v4, v4, v6, v0
	v_lshlrev_b64 v[0:1], 3, v[1:2]
	v_lshlrev_b64 v[3:4], 3, v[3:4]
	s_delay_alu instid0(VALU_DEP_1) | instskip(NEXT) | instid1(VALU_DEP_2)
	v_add_co_u32 v2, vcc_lo, s4, v3
	v_add_co_ci_u32_e32 v3, vcc_lo, s5, v4, vcc_lo
	s_delay_alu instid0(VALU_DEP_2) | instskip(NEXT) | instid1(VALU_DEP_2)
	v_add_co_u32 v0, vcc_lo, v2, v0
	v_add_co_ci_u32_e32 v1, vcc_lo, v3, v1, vcc_lo
	global_store_b64 v[0:1], v[125:126], off
.LBB120_221:
	s_endpgm
	.section	.rodata,"a",@progbits
	.p2align	6, 0x0
	.amdhsa_kernel _ZN2at6native12_GLOBAL__N_135GammaBetaBackwardCUDAKernelTemplateIddLj64ELj1ELj32ELb1ELb0ELb1EEEvllPKT_S5_PKT0_S8_PS3_S9_
		.amdhsa_group_segment_fixed_size 0
		.amdhsa_private_segment_fixed_size 580
		.amdhsa_kernarg_size 320
		.amdhsa_user_sgpr_count 14
		.amdhsa_user_sgpr_dispatch_ptr 0
		.amdhsa_user_sgpr_queue_ptr 0
		.amdhsa_user_sgpr_kernarg_segment_ptr 1
		.amdhsa_user_sgpr_dispatch_id 0
		.amdhsa_user_sgpr_private_segment_size 0
		.amdhsa_wavefront_size32 1
		.amdhsa_uses_dynamic_stack 0
		.amdhsa_enable_private_segment 1
		.amdhsa_system_sgpr_workgroup_id_x 1
		.amdhsa_system_sgpr_workgroup_id_y 1
		.amdhsa_system_sgpr_workgroup_id_z 0
		.amdhsa_system_sgpr_workgroup_info 0
		.amdhsa_system_vgpr_workitem_id 1
		.amdhsa_next_free_vgpr 256
		.amdhsa_next_free_sgpr 30
		.amdhsa_reserve_vcc 1
		.amdhsa_float_round_mode_32 0
		.amdhsa_float_round_mode_16_64 0
		.amdhsa_float_denorm_mode_32 3
		.amdhsa_float_denorm_mode_16_64 3
		.amdhsa_dx10_clamp 1
		.amdhsa_ieee_mode 1
		.amdhsa_fp16_overflow 0
		.amdhsa_workgroup_processor_mode 1
		.amdhsa_memory_ordered 1
		.amdhsa_forward_progress 0
		.amdhsa_shared_vgpr_count 0
		.amdhsa_exception_fp_ieee_invalid_op 0
		.amdhsa_exception_fp_denorm_src 0
		.amdhsa_exception_fp_ieee_div_zero 0
		.amdhsa_exception_fp_ieee_overflow 0
		.amdhsa_exception_fp_ieee_underflow 0
		.amdhsa_exception_fp_ieee_inexact 0
		.amdhsa_exception_int_div_zero 0
	.end_amdhsa_kernel
	.section	.text._ZN2at6native12_GLOBAL__N_135GammaBetaBackwardCUDAKernelTemplateIddLj64ELj1ELj32ELb1ELb0ELb1EEEvllPKT_S5_PKT0_S8_PS3_S9_,"axG",@progbits,_ZN2at6native12_GLOBAL__N_135GammaBetaBackwardCUDAKernelTemplateIddLj64ELj1ELj32ELb1ELb0ELb1EEEvllPKT_S5_PKT0_S8_PS3_S9_,comdat
.Lfunc_end120:
	.size	_ZN2at6native12_GLOBAL__N_135GammaBetaBackwardCUDAKernelTemplateIddLj64ELj1ELj32ELb1ELb0ELb1EEEvllPKT_S5_PKT0_S8_PS3_S9_, .Lfunc_end120-_ZN2at6native12_GLOBAL__N_135GammaBetaBackwardCUDAKernelTemplateIddLj64ELj1ELj32ELb1ELb0ELb1EEEvllPKT_S5_PKT0_S8_PS3_S9_
                                        ; -- End function
	.section	.AMDGPU.csdata,"",@progbits
; Kernel info:
; codeLenInByte = 29784
; NumSgprs: 32
; NumVgprs: 256
; ScratchSize: 580
; MemoryBound: 1
; FloatMode: 240
; IeeeMode: 1
; LDSByteSize: 0 bytes/workgroup (compile time only)
; SGPRBlocks: 3
; VGPRBlocks: 31
; NumSGPRsForWavesPerEU: 32
; NumVGPRsForWavesPerEU: 256
; Occupancy: 5
; WaveLimiterHint : 0
; COMPUTE_PGM_RSRC2:SCRATCH_EN: 1
; COMPUTE_PGM_RSRC2:USER_SGPR: 14
; COMPUTE_PGM_RSRC2:TRAP_HANDLER: 0
; COMPUTE_PGM_RSRC2:TGID_X_EN: 1
; COMPUTE_PGM_RSRC2:TGID_Y_EN: 1
; COMPUTE_PGM_RSRC2:TGID_Z_EN: 0
; COMPUTE_PGM_RSRC2:TIDIG_COMP_CNT: 1
	.section	.text._ZN2at6native12_GLOBAL__N_135GammaBetaBackwardCUDAKernelTemplateIddLj64ELj1ELj8ELb1ELb1ELb1EEEvllPKT_S5_PKT0_S8_PS3_S9_,"axG",@progbits,_ZN2at6native12_GLOBAL__N_135GammaBetaBackwardCUDAKernelTemplateIddLj64ELj1ELj8ELb1ELb1ELb1EEEvllPKT_S5_PKT0_S8_PS3_S9_,comdat
	.globl	_ZN2at6native12_GLOBAL__N_135GammaBetaBackwardCUDAKernelTemplateIddLj64ELj1ELj8ELb1ELb1ELb1EEEvllPKT_S5_PKT0_S8_PS3_S9_ ; -- Begin function _ZN2at6native12_GLOBAL__N_135GammaBetaBackwardCUDAKernelTemplateIddLj64ELj1ELj8ELb1ELb1ELb1EEEvllPKT_S5_PKT0_S8_PS3_S9_
	.p2align	8
	.type	_ZN2at6native12_GLOBAL__N_135GammaBetaBackwardCUDAKernelTemplateIddLj64ELj1ELj8ELb1ELb1ELb1EEEvllPKT_S5_PKT0_S8_PS3_S9_,@function
_ZN2at6native12_GLOBAL__N_135GammaBetaBackwardCUDAKernelTemplateIddLj64ELj1ELj8ELb1ELb1ELb1EEEvllPKT_S5_PKT0_S8_PS3_S9_: ; @_ZN2at6native12_GLOBAL__N_135GammaBetaBackwardCUDAKernelTemplateIddLj64ELj1ELj8ELb1ELb1ELb1EEEvllPKT_S5_PKT0_S8_PS3_S9_
; %bb.0:
	s_clause 0x1
	s_load_b128 s[4:7], s[0:1], 0x0
	s_load_b64 s[12:13], s[0:1], 0x30
	s_mov_b32 s17, 0
	s_lshl_b32 s16, s15, 3
	v_mov_b32_e32 v10, 0
	v_mov_b32_e32 v11, 0
	v_bfe_u32 v1, v0, 10, 10
	v_and_b32_e32 v0, 0x3ff, v0
	s_waitcnt lgkmcnt(0)
	v_cmp_ge_i64_e64 s2, s[16:17], s[4:5]
	s_delay_alu instid0(VALU_DEP_1)
	s_and_b32 vcc_lo, exec_lo, s2
	s_cbranch_vccnz .LBB121_7
; %bb.1:
	s_clause 0x3
	s_load_b32 s2, s[0:1], 0x4c
	s_load_b32 s3, s[0:1], 0x44
	s_load_b128 s[8:11], s[0:1], 0x10
	s_load_b64 s[20:21], s[0:1], 0x28
	v_dual_mov_b32 v15, 4 :: v_dual_lshlrev_b32 v4, 3, v1
	v_dual_mov_b32 v14, 8 :: v_dual_mov_b32 v3, 0
	v_lshl_or_b32 v2, s14, 6, v0
	s_delay_alu instid0(VALU_DEP_3) | instskip(NEXT) | instid1(VALU_DEP_1)
	v_add_co_u32 v4, s18, v4, s16
	v_add_co_ci_u32_e64 v5, null, 0, 0, s18
	s_delay_alu instid0(VALU_DEP_3) | instskip(NEXT) | instid1(VALU_DEP_3)
	v_lshlrev_b64 v[10:11], 3, v[2:3]
	v_mul_lo_u32 v12, s7, v4
	v_mad_u64_u32 v[8:9], null, s6, v4, 0
	s_delay_alu instid0(VALU_DEP_4)
	v_mul_lo_u32 v13, s6, v5
	v_dual_mov_b32 v16, 12 :: v_dual_mov_b32 v17, 16
	s_waitcnt lgkmcnt(0)
	s_and_b32 s2, s2, 0xffff
	s_lshl_b32 s18, s3, 3
	v_mad_u32_u24 v6, v1, s2, v0
	v_mov_b32_e32 v20, 28
	s_mul_i32 s3, s7, s18
	v_add3_u32 v9, v9, v13, v12
	s_mul_hi_u32 s22, s6, s18
	v_dual_mov_b32 v6, 0 :: v_dual_and_b32 v23, 31, v6
	v_mov_b32_e32 v7, 0
	s_delay_alu instid0(VALU_DEP_3) | instskip(SKIP_1) | instid1(VALU_DEP_4)
	v_lshlrev_b64 v[21:22], 3, v[8:9]
	v_dual_mov_b32 v18, 20 :: v_dual_mov_b32 v19, 24
	v_add_co_u32 v4, vcc_lo, v4, v23
	v_add_co_ci_u32_e32 v5, vcc_lo, 0, v5, vcc_lo
	v_cmp_gt_u32_e64 s2, 8, v23
	s_mov_b32 s19, s17
	s_add_i32 s23, s22, s3
	s_delay_alu instid0(VALU_DEP_2) | instskip(SKIP_3) | instid1(VALU_DEP_1)
	v_lshlrev_b64 v[12:13], 3, v[4:5]
	s_mul_i32 s22, s6, s18
	s_lshl_b64 s[24:25], s[6:7], 3
	s_lshl_b64 s[22:23], s[22:23], 3
	v_add_co_u32 v8, vcc_lo, s20, v12
	s_delay_alu instid0(VALU_DEP_2)
	v_add_co_ci_u32_e32 v9, vcc_lo, s21, v13, vcc_lo
	v_add_co_u32 v2, vcc_lo, v21, v10
	v_add_co_ci_u32_e32 v21, vcc_lo, v22, v11, vcc_lo
	v_dual_mov_b32 v11, v7 :: v_dual_mov_b32 v10, v6
	s_lshl_b64 s[20:21], s[18:19], 3
	s_branch .LBB121_4
.LBB121_2:                              ;   in Loop: Header=BB121_4 Depth=1
	s_or_b32 exec_lo, exec_lo, s19
.LBB121_3:                              ;   in Loop: Header=BB121_4 Depth=1
	s_delay_alu instid0(SALU_CYCLE_1)
	s_or_b32 exec_lo, exec_lo, s3
	v_add_co_u32 v22, vcc_lo, s8, v2
	v_add_co_ci_u32_e32 v23, vcc_lo, s9, v21, vcc_lo
	v_add_co_u32 v24, vcc_lo, s10, v2
	v_add_co_ci_u32_e32 v25, vcc_lo, s11, v21, vcc_lo
	s_add_u32 s16, s16, s18
	global_load_b64 v[26:27], v[22:23], off
	global_load_b64 v[28:29], v[24:25], off
	v_add_co_u32 v22, vcc_lo, v22, s24
	v_add_co_ci_u32_e32 v23, vcc_lo, s25, v23, vcc_lo
	v_add_co_u32 v24, vcc_lo, v24, s24
	v_add_co_ci_u32_e32 v25, vcc_lo, s25, v25, vcc_lo
	global_load_b64 v[30:31], v[22:23], off
	global_load_b64 v[32:33], v[24:25], off
	v_add_co_u32 v22, vcc_lo, v22, s24
	v_add_co_ci_u32_e32 v23, vcc_lo, s25, v23, vcc_lo
	v_add_co_u32 v24, vcc_lo, v24, s24
	v_add_co_ci_u32_e32 v25, vcc_lo, s25, v25, vcc_lo
	;; [unrolled: 6-line block ×7, first 2 shown]
	global_load_b64 v[22:23], v[22:23], off
	global_load_b64 v[24:25], v[24:25], off
	v_add_co_u32 v8, vcc_lo, v8, s20
	v_add_co_ci_u32_e32 v9, vcc_lo, s21, v9, vcc_lo
	s_addc_u32 s17, s17, 0
	v_add_co_u32 v4, vcc_lo, v4, s18
	v_cmp_lt_i64_e64 s3, s[16:17], s[4:5]
	v_add_co_ci_u32_e32 v5, vcc_lo, 0, v5, vcc_lo
	v_add_co_u32 v2, vcc_lo, v2, s22
	v_add_co_ci_u32_e32 v21, vcc_lo, s23, v21, vcc_lo
	s_delay_alu instid0(VALU_DEP_4)
	s_and_b32 vcc_lo, exec_lo, s3
	s_waitcnt vmcnt(14)
	v_mul_f64 v[26:27], v[26:27], v[28:29]
	ds_bpermute_b32 v28, v3, v12
	ds_bpermute_b32 v29, v3, v13
	s_waitcnt vmcnt(12)
	v_mul_f64 v[30:31], v[30:31], v[32:33]
	s_waitcnt lgkmcnt(0)
	v_fma_f64 v[10:11], v[26:27], v[28:29], v[10:11]
	ds_bpermute_b32 v26, v15, v12
	ds_bpermute_b32 v27, v15, v13
	s_waitcnt vmcnt(10)
	v_mul_f64 v[28:29], v[34:35], v[36:37]
	s_waitcnt lgkmcnt(0)
	v_fma_f64 v[10:11], v[30:31], v[26:27], v[10:11]
	ds_bpermute_b32 v26, v14, v12
	ds_bpermute_b32 v27, v14, v13
	s_waitcnt vmcnt(8)
	v_mul_f64 v[30:31], v[38:39], v[40:41]
	s_waitcnt vmcnt(0)
	v_mul_f64 v[22:23], v[22:23], v[24:25]
	s_waitcnt lgkmcnt(0)
	v_fma_f64 v[10:11], v[28:29], v[26:27], v[10:11]
	ds_bpermute_b32 v26, v16, v12
	ds_bpermute_b32 v27, v16, v13
	v_mul_f64 v[28:29], v[42:43], v[44:45]
	s_waitcnt lgkmcnt(0)
	v_fma_f64 v[10:11], v[30:31], v[26:27], v[10:11]
	ds_bpermute_b32 v26, v17, v12
	ds_bpermute_b32 v27, v17, v13
	;; [unrolled: 5-line block ×4, first 2 shown]
	ds_bpermute_b32 v12, v20, v12
	ds_bpermute_b32 v13, v20, v13
	s_waitcnt lgkmcnt(2)
	v_fma_f64 v[10:11], v[28:29], v[26:27], v[10:11]
	s_waitcnt lgkmcnt(0)
	s_delay_alu instid0(VALU_DEP_1)
	v_fma_f64 v[10:11], v[22:23], v[12:13], v[10:11]
	s_cbranch_vccz .LBB121_7
.LBB121_4:                              ; =>This Inner Loop Header: Depth=1
	v_dual_mov_b32 v13, v7 :: v_dual_mov_b32 v12, v6
	s_and_saveexec_b32 s3, s2
	s_cbranch_execz .LBB121_3
; %bb.5:                                ;   in Loop: Header=BB121_4 Depth=1
	v_mov_b32_e32 v12, 0
	v_mov_b32_e32 v13, 0
	s_mov_b32 s19, exec_lo
	v_cmpx_gt_i64_e64 s[4:5], v[4:5]
	s_cbranch_execz .LBB121_2
; %bb.6:                                ;   in Loop: Header=BB121_4 Depth=1
	global_load_b64 v[12:13], v[8:9], off
	s_branch .LBB121_2
.LBB121_7:
	s_cmp_eq_u64 s[12:13], 0
	s_cbranch_scc1 .LBB121_9
; %bb.8:
	s_load_b32 s0, s[0:1], 0x4c
	v_mov_b32_e32 v2, 0
	v_lshlrev_b32_e32 v0, 3, v0
	s_waitcnt lgkmcnt(0)
	s_lshr_b32 s0, s0, 16
	s_delay_alu instid0(VALU_DEP_2) | instid1(SALU_CYCLE_1)
	v_mad_u64_u32 v[3:4], null, s0, s15, v[1:2]
	s_mov_b32 s15, 0
	s_delay_alu instid0(SALU_CYCLE_1) | instskip(NEXT) | instid1(SALU_CYCLE_1)
	s_lshl_b64 s[0:1], s[14:15], 9
	s_add_u32 s0, s0, s12
	s_addc_u32 s1, s1, s13
	s_delay_alu instid0(VALU_DEP_1) | instskip(NEXT) | instid1(VALU_DEP_2)
	v_mul_lo_u32 v4, v4, s6
	v_mul_lo_u32 v5, v3, s7
	v_mad_u64_u32 v[1:2], null, v3, s6, 0
	s_delay_alu instid0(VALU_DEP_1) | instskip(NEXT) | instid1(VALU_DEP_1)
	v_add3_u32 v2, v2, v5, v4
	v_lshlrev_b64 v[1:2], 3, v[1:2]
	s_delay_alu instid0(VALU_DEP_1) | instskip(NEXT) | instid1(VALU_DEP_2)
	v_add_co_u32 v1, vcc_lo, s0, v1
	v_add_co_ci_u32_e32 v2, vcc_lo, s1, v2, vcc_lo
	s_delay_alu instid0(VALU_DEP_2) | instskip(NEXT) | instid1(VALU_DEP_2)
	v_add_co_u32 v0, vcc_lo, v1, v0
	v_add_co_ci_u32_e32 v1, vcc_lo, 0, v2, vcc_lo
	global_store_b64 v[0:1], v[10:11], off
.LBB121_9:
	s_nop 0
	s_sendmsg sendmsg(MSG_DEALLOC_VGPRS)
	s_endpgm
	.section	.rodata,"a",@progbits
	.p2align	6, 0x0
	.amdhsa_kernel _ZN2at6native12_GLOBAL__N_135GammaBetaBackwardCUDAKernelTemplateIddLj64ELj1ELj8ELb1ELb1ELb1EEEvllPKT_S5_PKT0_S8_PS3_S9_
		.amdhsa_group_segment_fixed_size 0
		.amdhsa_private_segment_fixed_size 0
		.amdhsa_kernarg_size 320
		.amdhsa_user_sgpr_count 14
		.amdhsa_user_sgpr_dispatch_ptr 0
		.amdhsa_user_sgpr_queue_ptr 0
		.amdhsa_user_sgpr_kernarg_segment_ptr 1
		.amdhsa_user_sgpr_dispatch_id 0
		.amdhsa_user_sgpr_private_segment_size 0
		.amdhsa_wavefront_size32 1
		.amdhsa_uses_dynamic_stack 0
		.amdhsa_enable_private_segment 0
		.amdhsa_system_sgpr_workgroup_id_x 1
		.amdhsa_system_sgpr_workgroup_id_y 1
		.amdhsa_system_sgpr_workgroup_id_z 0
		.amdhsa_system_sgpr_workgroup_info 0
		.amdhsa_system_vgpr_workitem_id 1
		.amdhsa_next_free_vgpr 54
		.amdhsa_next_free_sgpr 26
		.amdhsa_reserve_vcc 1
		.amdhsa_float_round_mode_32 0
		.amdhsa_float_round_mode_16_64 0
		.amdhsa_float_denorm_mode_32 3
		.amdhsa_float_denorm_mode_16_64 3
		.amdhsa_dx10_clamp 1
		.amdhsa_ieee_mode 1
		.amdhsa_fp16_overflow 0
		.amdhsa_workgroup_processor_mode 1
		.amdhsa_memory_ordered 1
		.amdhsa_forward_progress 0
		.amdhsa_shared_vgpr_count 0
		.amdhsa_exception_fp_ieee_invalid_op 0
		.amdhsa_exception_fp_denorm_src 0
		.amdhsa_exception_fp_ieee_div_zero 0
		.amdhsa_exception_fp_ieee_overflow 0
		.amdhsa_exception_fp_ieee_underflow 0
		.amdhsa_exception_fp_ieee_inexact 0
		.amdhsa_exception_int_div_zero 0
	.end_amdhsa_kernel
	.section	.text._ZN2at6native12_GLOBAL__N_135GammaBetaBackwardCUDAKernelTemplateIddLj64ELj1ELj8ELb1ELb1ELb1EEEvllPKT_S5_PKT0_S8_PS3_S9_,"axG",@progbits,_ZN2at6native12_GLOBAL__N_135GammaBetaBackwardCUDAKernelTemplateIddLj64ELj1ELj8ELb1ELb1ELb1EEEvllPKT_S5_PKT0_S8_PS3_S9_,comdat
.Lfunc_end121:
	.size	_ZN2at6native12_GLOBAL__N_135GammaBetaBackwardCUDAKernelTemplateIddLj64ELj1ELj8ELb1ELb1ELb1EEEvllPKT_S5_PKT0_S8_PS3_S9_, .Lfunc_end121-_ZN2at6native12_GLOBAL__N_135GammaBetaBackwardCUDAKernelTemplateIddLj64ELj1ELj8ELb1ELb1ELb1EEEvllPKT_S5_PKT0_S8_PS3_S9_
                                        ; -- End function
	.section	.AMDGPU.csdata,"",@progbits
; Kernel info:
; codeLenInByte = 1300
; NumSgprs: 28
; NumVgprs: 54
; ScratchSize: 0
; MemoryBound: 0
; FloatMode: 240
; IeeeMode: 1
; LDSByteSize: 0 bytes/workgroup (compile time only)
; SGPRBlocks: 3
; VGPRBlocks: 6
; NumSGPRsForWavesPerEU: 28
; NumVGPRsForWavesPerEU: 54
; Occupancy: 16
; WaveLimiterHint : 0
; COMPUTE_PGM_RSRC2:SCRATCH_EN: 0
; COMPUTE_PGM_RSRC2:USER_SGPR: 14
; COMPUTE_PGM_RSRC2:TRAP_HANDLER: 0
; COMPUTE_PGM_RSRC2:TGID_X_EN: 1
; COMPUTE_PGM_RSRC2:TGID_Y_EN: 1
; COMPUTE_PGM_RSRC2:TGID_Z_EN: 0
; COMPUTE_PGM_RSRC2:TIDIG_COMP_CNT: 1
	.section	.text._ZN2at6native12_GLOBAL__N_135GammaBetaBackwardCUDAKernelTemplateIddLj64ELj1ELj8ELb1ELb0ELb1EEEvllPKT_S5_PKT0_S8_PS3_S9_,"axG",@progbits,_ZN2at6native12_GLOBAL__N_135GammaBetaBackwardCUDAKernelTemplateIddLj64ELj1ELj8ELb1ELb0ELb1EEEvllPKT_S5_PKT0_S8_PS3_S9_,comdat
	.globl	_ZN2at6native12_GLOBAL__N_135GammaBetaBackwardCUDAKernelTemplateIddLj64ELj1ELj8ELb1ELb0ELb1EEEvllPKT_S5_PKT0_S8_PS3_S9_ ; -- Begin function _ZN2at6native12_GLOBAL__N_135GammaBetaBackwardCUDAKernelTemplateIddLj64ELj1ELj8ELb1ELb0ELb1EEEvllPKT_S5_PKT0_S8_PS3_S9_
	.p2align	8
	.type	_ZN2at6native12_GLOBAL__N_135GammaBetaBackwardCUDAKernelTemplateIddLj64ELj1ELj8ELb1ELb0ELb1EEEvllPKT_S5_PKT0_S8_PS3_S9_,@function
_ZN2at6native12_GLOBAL__N_135GammaBetaBackwardCUDAKernelTemplateIddLj64ELj1ELj8ELb1ELb0ELb1EEEvllPKT_S5_PKT0_S8_PS3_S9_: ; @_ZN2at6native12_GLOBAL__N_135GammaBetaBackwardCUDAKernelTemplateIddLj64ELj1ELj8ELb1ELb0ELb1EEEvllPKT_S5_PKT0_S8_PS3_S9_
; %bb.0:
	s_clause 0x1
	s_load_b256 s[36:43], s[0:1], 0x0
	s_load_b64 s[6:7], s[0:1], 0x28
	s_mov_b32 s2, s15
	s_lshl_b32 s15, s14, 6
	s_mov_b32 s9, 0
	s_or_b32 s8, s15, 63
	s_waitcnt lgkmcnt(0)
	v_cmp_ge_i64_e64 s3, s[8:9], s[38:39]
	s_lshl_b32 s8, s2, 3
	s_delay_alu instid0(SALU_CYCLE_1) | instskip(NEXT) | instid1(VALU_DEP_2)
	v_cmp_lt_i64_e64 s33, s[8:9], s[36:37]
	s_and_b32 vcc_lo, exec_lo, s3
	s_delay_alu instid0(VALU_DEP_1) | instskip(NEXT) | instid1(VALU_DEP_1)
	v_cndmask_b32_e64 v1, 0, 1, s33
	v_cmp_ne_u32_e64 s3, 1, v1
	s_cbranch_vccz .LBB122_48
; %bb.1:
	v_mov_b32_e32 v51, 0
	v_mov_b32_e32 v52, 0
	s_delay_alu instid0(VALU_DEP_3)
	s_and_b32 vcc_lo, exec_lo, s3
	s_cbranch_vccnz .LBB122_49
; %bb.2:
	v_bfe_u32 v57, v0, 10, 10
	s_load_b32 s4, s[0:1], 0x44
	s_add_u32 s10, s0, 64
	s_addc_u32 s11, s1, 0
	s_mov_b32 s16, 0
	v_dual_mov_b32 v3, 0 :: v_dual_lshlrev_b32 v58, 3, v57
	v_and_b32_e32 v59, 0x3ff, v0
	s_mov_b64 s[34:35], s[8:9]
	v_mov_b32_e32 v51, 0
	s_delay_alu instid0(VALU_DEP_3) | instskip(SKIP_2) | instid1(VALU_DEP_3)
	v_add_co_u32 v8, s3, v58, s8
	v_mov_b32_e32 v60, v3
	v_add_co_ci_u32_e64 v9, null, 0, 0, s3
	v_add_co_u32 v1, vcc_lo, v8, 7
	v_add_nc_u32_e32 v2, s15, v59
	s_delay_alu instid0(VALU_DEP_3) | instskip(NEXT) | instid1(VALU_DEP_3)
	v_add_co_ci_u32_e32 v4, vcc_lo, 0, v9, vcc_lo
	v_mul_lo_u32 v6, s39, v1
	v_add_co_u32 v10, vcc_lo, v8, 6
	s_delay_alu instid0(VALU_DEP_3)
	v_mul_lo_u32 v7, s38, v4
	v_mad_u64_u32 v[4:5], null, s38, v1, 0
	v_add_co_ci_u32_e32 v1, vcc_lo, 0, v9, vcc_lo
	v_cmp_gt_i64_e64 s3, s[38:39], v[2:3]
	v_lshlrev_b64 v[49:50], 3, v[2:3]
	s_waitcnt lgkmcnt(0)
	s_lshl_b32 s44, s4, 3
	v_mov_b32_e32 v52, 0
	v_add3_u32 v5, v5, v7, v6
	v_mul_lo_u32 v6, s39, v10
	v_mul_lo_u32 v7, s38, v1
	s_mul_i32 s4, s39, s44
	s_mul_hi_u32 s5, s38, s44
	v_lshlrev_b64 v[1:2], 3, v[4:5]
	v_mad_u64_u32 v[4:5], null, s38, v10, 0
	s_add_i32 s13, s5, s4
	s_mul_i32 s12, s38, s44
	s_delay_alu instid0(VALU_DEP_2) | instskip(NEXT) | instid1(VALU_DEP_3)
	v_add_co_u32 v61, vcc_lo, s40, v1
	v_add_co_ci_u32_e32 v62, vcc_lo, s41, v2, vcc_lo
	s_delay_alu instid0(VALU_DEP_3) | instskip(SKIP_2) | instid1(VALU_DEP_1)
	v_add3_u32 v5, v5, v7, v6
	v_add_co_u32 v6, vcc_lo, v8, 5
	v_add_co_u32 v63, s4, s42, v1
	v_add_co_ci_u32_e64 v64, s4, s43, v2, s4
	s_delay_alu instid0(VALU_DEP_4) | instskip(SKIP_3) | instid1(VALU_DEP_3)
	v_lshlrev_b64 v[1:2], 3, v[4:5]
	v_add_co_ci_u32_e32 v4, vcc_lo, 0, v9, vcc_lo
	v_add_co_u32 v11, vcc_lo, v8, 4
	v_mul_lo_u32 v10, s39, v6
	v_mul_lo_u32 v12, s38, v4
	v_mad_u64_u32 v[4:5], null, s38, v6, 0
	v_add_co_ci_u32_e32 v7, vcc_lo, 0, v9, vcc_lo
	v_mul_lo_u32 v13, s39, v11
	v_add_co_u32 v65, vcc_lo, s40, v1
	s_delay_alu instid0(VALU_DEP_3)
	v_mul_lo_u32 v14, s38, v7
	v_mad_u64_u32 v[6:7], null, s38, v11, 0
	v_add3_u32 v5, v5, v12, v10
	v_add_co_ci_u32_e32 v66, vcc_lo, s41, v2, vcc_lo
	v_add_co_u32 v67, vcc_lo, s42, v1
	v_add_co_ci_u32_e32 v68, vcc_lo, s43, v2, vcc_lo
	s_delay_alu instid0(VALU_DEP_4) | instskip(SKIP_3) | instid1(VALU_DEP_4)
	v_lshlrev_b64 v[1:2], 3, v[4:5]
	v_add3_u32 v7, v7, v14, v13
	v_add_co_u32 v10, vcc_lo, v8, 3
	v_add_co_ci_u32_e32 v11, vcc_lo, 0, v9, vcc_lo
	v_add_co_u32 v69, vcc_lo, s40, v1
	s_delay_alu instid0(VALU_DEP_4)
	v_lshlrev_b64 v[4:5], 3, v[6:7]
	v_add_co_ci_u32_e32 v70, vcc_lo, s41, v2, vcc_lo
	v_mul_lo_u32 v12, s39, v10
	v_mul_lo_u32 v11, s38, v11
	v_mad_u64_u32 v[6:7], null, s38, v10, 0
	v_add_co_u32 v71, vcc_lo, s42, v1
	v_add_co_ci_u32_e32 v72, vcc_lo, s43, v2, vcc_lo
	v_add_co_u32 v73, vcc_lo, s40, v4
	v_add_co_ci_u32_e32 v74, vcc_lo, s41, v5, vcc_lo
	v_add_co_u32 v10, vcc_lo, v8, 2
	v_add3_u32 v7, v7, v11, v12
	v_add_co_ci_u32_e32 v11, vcc_lo, 0, v9, vcc_lo
	v_add_co_u32 v75, vcc_lo, s42, v4
	v_add_co_ci_u32_e32 v76, vcc_lo, s43, v5, vcc_lo
	v_mul_lo_u32 v12, s39, v10
	s_delay_alu instid0(VALU_DEP_4)
	v_mul_lo_u32 v11, s38, v11
	v_mad_u64_u32 v[4:5], null, s38, v10, 0
	v_lshlrev_b64 v[1:2], 3, v[6:7]
	v_mul_lo_u32 v10, s39, v8
	v_mul_lo_u32 v9, s38, v9
	v_mad_u64_u32 v[6:7], null, s38, v8, 0
	s_mov_b64 s[4:5], 7
	s_delay_alu instid0(VALU_DEP_4)
	v_add_co_u32 v77, vcc_lo, s40, v1
	v_add3_u32 v5, v5, v11, v12
	v_add_co_ci_u32_e32 v78, vcc_lo, s41, v2, vcc_lo
	v_add_co_u32 v79, vcc_lo, s42, v1
	v_add3_u32 v7, v7, v9, v10
	v_add_co_ci_u32_e32 v80, vcc_lo, s43, v2, vcc_lo
	v_lshlrev_b64 v[1:2], 3, v[4:5]
	v_add_co_u32 v4, vcc_lo, v6, s38
	s_delay_alu instid0(VALU_DEP_4) | instskip(SKIP_1) | instid1(VALU_DEP_3)
	v_add_co_ci_u32_e32 v5, vcc_lo, s39, v7, vcc_lo
	s_lshl_b64 s[12:13], s[12:13], 3
	v_add_co_u32 v81, vcc_lo, s40, v1
	s_delay_alu instid0(VALU_DEP_2) | instskip(SKIP_3) | instid1(VALU_DEP_4)
	v_lshlrev_b64 v[4:5], 3, v[4:5]
	v_add_co_ci_u32_e32 v82, vcc_lo, s41, v2, vcc_lo
	v_add_co_u32 v83, vcc_lo, s42, v1
	v_add_co_ci_u32_e32 v84, vcc_lo, s43, v2, vcc_lo
	v_add_co_u32 v85, vcc_lo, s40, v4
	v_lshlrev_b64 v[1:2], 3, v[6:7]
	v_add_co_ci_u32_e32 v86, vcc_lo, s41, v5, vcc_lo
	v_add_co_u32 v87, vcc_lo, s42, v4
	v_add_co_ci_u32_e32 v88, vcc_lo, s43, v5, vcc_lo
	s_delay_alu instid0(VALU_DEP_4)
	v_add_co_u32 v89, vcc_lo, s40, v1
	v_add_co_ci_u32_e32 v90, vcc_lo, s41, v2, vcc_lo
	v_add_co_u32 v91, vcc_lo, s42, v1
	v_add_co_ci_u32_e32 v92, vcc_lo, s43, v2, vcc_lo
	s_branch .LBB122_5
.LBB122_3:                              ;   in Loop: Header=BB122_5 Depth=1
	s_or_b32 exec_lo, exec_lo, s17
	s_waitcnt vmcnt(0)
	v_mul_f64 v[1:2], v[17:18], v[33:34]
	ds_bpermute_b32 v4, v3, v55
	ds_bpermute_b32 v5, v3, v56
	v_mul_f64 v[6:7], v[19:20], v[35:36]
	v_mul_f64 v[8:9], v[21:22], v[37:38]
	s_waitcnt lgkmcnt(0)
	v_fma_f64 v[1:2], v[1:2], v[4:5], v[51:52]
	ds_bpermute_b32 v4, v3, v55 offset:4
	ds_bpermute_b32 v5, v3, v56 offset:4
	s_waitcnt lgkmcnt(0)
	v_fma_f64 v[1:2], v[6:7], v[4:5], v[1:2]
	ds_bpermute_b32 v4, v3, v55 offset:8
	ds_bpermute_b32 v5, v3, v56 offset:8
	v_mul_f64 v[6:7], v[23:24], v[39:40]
	s_waitcnt lgkmcnt(0)
	v_fma_f64 v[1:2], v[8:9], v[4:5], v[1:2]
	ds_bpermute_b32 v4, v3, v55 offset:12
	ds_bpermute_b32 v5, v3, v56 offset:12
	v_mul_f64 v[8:9], v[25:26], v[41:42]
	;; [unrolled: 5-line block ×3, first 2 shown]
	s_waitcnt lgkmcnt(0)
	v_fma_f64 v[1:2], v[8:9], v[4:5], v[1:2]
	ds_bpermute_b32 v4, v3, v55 offset:20
	ds_bpermute_b32 v5, v3, v56 offset:20
	s_waitcnt lgkmcnt(0)
	v_fma_f64 v[1:2], v[6:7], v[4:5], v[1:2]
	v_mul_f64 v[4:5], v[29:30], v[45:46]
	ds_bpermute_b32 v6, v3, v55 offset:24
	ds_bpermute_b32 v7, v3, v56 offset:24
	s_waitcnt lgkmcnt(0)
	v_fma_f64 v[1:2], v[4:5], v[6:7], v[1:2]
	ds_bpermute_b32 v4, v3, v55 offset:28
	ds_bpermute_b32 v5, v3, v56 offset:28
.LBB122_4:                              ;   in Loop: Header=BB122_5 Depth=1
	v_mul_f64 v[6:7], v[47:48], v[31:32]
	v_add_co_u32 v61, vcc_lo, v61, s12
	v_add_co_ci_u32_e32 v62, vcc_lo, s13, v62, vcc_lo
	v_add_co_u32 v63, vcc_lo, v63, s12
	v_add_co_ci_u32_e32 v64, vcc_lo, s13, v64, vcc_lo
	;; [unrolled: 2-line block ×9, first 2 shown]
	v_add_co_u32 v79, vcc_lo, v79, s12
	s_waitcnt lgkmcnt(0)
	v_fma_f64 v[51:52], v[6:7], v[4:5], v[1:2]
	v_add_co_ci_u32_e32 v80, vcc_lo, s13, v80, vcc_lo
	v_add_co_u32 v81, vcc_lo, v81, s12
	v_add_co_ci_u32_e32 v82, vcc_lo, s13, v82, vcc_lo
	v_add_co_u32 v83, vcc_lo, v83, s12
	;; [unrolled: 2-line block ×5, first 2 shown]
	s_add_u32 s34, s34, s44
	v_add_co_ci_u32_e32 v60, vcc_lo, 0, v60, vcc_lo
	s_addc_u32 s35, s35, 0
	v_add_co_u32 v89, vcc_lo, v89, s12
	v_add_co_ci_u32_e32 v90, vcc_lo, s13, v90, vcc_lo
	v_cmp_lt_i64_e64 s17, s[34:35], s[36:37]
	v_add_co_u32 v91, vcc_lo, v91, s12
	v_add_co_ci_u32_e32 v92, vcc_lo, s13, v92, vcc_lo
	s_add_u32 s4, s4, s44
	s_addc_u32 s5, s5, 0
	s_delay_alu instid0(VALU_DEP_3)
	s_and_b32 vcc_lo, exec_lo, s17
	s_cbranch_vccz .LBB122_49
.LBB122_5:                              ; =>This Inner Loop Header: Depth=1
	s_add_u32 s18, s8, s4
	s_addc_u32 s19, 0, s5
	v_add_co_u32 v53, vcc_lo, s8, v58
	v_cmp_ge_i64_e64 s17, s[18:19], s[36:37]
	v_add_co_ci_u32_e32 v54, vcc_lo, 0, v60, vcc_lo
	s_delay_alu instid0(VALU_DEP_2)
	s_and_b32 vcc_lo, exec_lo, s17
	s_cbranch_vccz .LBB122_27
; %bb.6:                                ;   in Loop: Header=BB122_5 Depth=1
	s_load_b32 s17, s[10:11], 0xc
	v_mov_b32_e32 v55, 0
	v_mov_b32_e32 v56, 0
	s_waitcnt lgkmcnt(0)
	s_and_b32 s17, s17, 0xffff
	s_delay_alu instid0(SALU_CYCLE_1) | instskip(SKIP_1) | instid1(VALU_DEP_1)
	v_mad_u32_u24 v1, v57, s17, v59
	s_mov_b32 s17, exec_lo
	v_and_b32_e32 v1, 31, v1
	s_delay_alu instid0(VALU_DEP_1)
	v_cmpx_gt_u32_e32 8, v1
	s_cbranch_execz .LBB122_10
; %bb.7:                                ;   in Loop: Header=BB122_5 Depth=1
	v_add_co_u32 v1, vcc_lo, v53, v1
	v_mov_b32_e32 v55, 0
	v_add_co_ci_u32_e32 v2, vcc_lo, 0, v54, vcc_lo
	v_mov_b32_e32 v56, 0
	s_mov_b32 s18, exec_lo
	s_delay_alu instid0(VALU_DEP_2)
	v_cmpx_gt_i64_e64 s[36:37], v[1:2]
	s_cbranch_execz .LBB122_9
; %bb.8:                                ;   in Loop: Header=BB122_5 Depth=1
	v_lshlrev_b64 v[1:2], 3, v[1:2]
	s_delay_alu instid0(VALU_DEP_1) | instskip(NEXT) | instid1(VALU_DEP_2)
	v_add_co_u32 v1, vcc_lo, s6, v1
	v_add_co_ci_u32_e32 v2, vcc_lo, s7, v2, vcc_lo
	global_load_b64 v[55:56], v[1:2], off
.LBB122_9:                              ;   in Loop: Header=BB122_5 Depth=1
	s_or_b32 exec_lo, exec_lo, s18
.LBB122_10:                             ;   in Loop: Header=BB122_5 Depth=1
	s_delay_alu instid0(SALU_CYCLE_1)
	s_or_b32 exec_lo, exec_lo, s17
	s_mov_b32 s31, s16
	s_mov_b32 s17, s16
	s_mov_b32 s18, s16
	s_mov_b32 s19, s16
	s_mov_b32 s20, s16
	s_mov_b32 s21, s16
	s_mov_b32 s22, s16
	s_mov_b32 s23, s16
	s_mov_b32 s24, s16
	s_mov_b32 s25, s16
	s_mov_b32 s26, s16
	s_mov_b32 s27, s16
	s_mov_b32 s28, s16
	s_mov_b32 s29, s16
	s_mov_b32 s30, s16
	s_delay_alu instid0(SALU_CYCLE_1)
	v_dual_mov_b32 v32, s31 :: v_dual_mov_b32 v31, s30
	v_dual_mov_b32 v30, s29 :: v_dual_mov_b32 v29, s28
	;; [unrolled: 1-line block ×8, first 2 shown]
	v_cmp_gt_i64_e32 vcc_lo, s[36:37], v[53:54]
	v_dual_mov_b32 v48, v32 :: v_dual_mov_b32 v47, v31
	v_dual_mov_b32 v46, v30 :: v_dual_mov_b32 v45, v29
	;; [unrolled: 1-line block ×8, first 2 shown]
	s_and_b32 s18, s3, vcc_lo
	s_delay_alu instid0(SALU_CYCLE_1)
	s_and_saveexec_b32 s17, s18
	s_cbranch_execz .LBB122_12
; %bb.11:                               ;   in Loop: Header=BB122_5 Depth=1
	v_add_co_u32 v1, vcc_lo, v89, v49
	v_add_co_ci_u32_e32 v2, vcc_lo, v90, v50, vcc_lo
	v_add_co_u32 v4, vcc_lo, v91, v49
	v_add_co_ci_u32_e32 v5, vcc_lo, v92, v50, vcc_lo
	global_load_b64 v[1:2], v[1:2], off
	v_mov_b32_e32 v16, v3
	v_mov_b32_e32 v6, v3
	global_load_b64 v[17:18], v[4:5], off
	v_mov_b32_e32 v4, v3
	v_mov_b32_e32 v5, v3
	;; [unrolled: 1-line block ×11, first 2 shown]
	s_waitcnt vmcnt(1)
	v_dual_mov_b32 v19, v3 :: v_dual_mov_b32 v48, v16
	v_dual_mov_b32 v20, v3 :: v_dual_mov_b32 v45, v13
	;; [unrolled: 1-line block ×7, first 2 shown]
	v_mov_b32_e32 v26, v3
	v_dual_mov_b32 v27, v3 :: v_dual_mov_b32 v40, v8
	v_mov_b32_e32 v28, v3
	v_dual_mov_b32 v29, v3 :: v_dual_mov_b32 v38, v6
	;; [unrolled: 2-line block ×3, first 2 shown]
	v_mov_b32_e32 v47, v15
	v_mov_b32_e32 v43, v11
	;; [unrolled: 1-line block ×5, first 2 shown]
	v_dual_mov_b32 v34, v2 :: v_dual_mov_b32 v33, v1
.LBB122_12:                             ;   in Loop: Header=BB122_5 Depth=1
	s_or_b32 exec_lo, exec_lo, s17
	v_add_co_u32 v1, vcc_lo, v53, 1
	v_add_co_ci_u32_e32 v2, vcc_lo, 0, v54, vcc_lo
	s_delay_alu instid0(VALU_DEP_1) | instskip(SKIP_1) | instid1(SALU_CYCLE_1)
	v_cmp_gt_i64_e32 vcc_lo, s[36:37], v[1:2]
	s_and_b32 s18, s3, vcc_lo
	s_and_saveexec_b32 s17, s18
	s_cbranch_execz .LBB122_14
; %bb.13:                               ;   in Loop: Header=BB122_5 Depth=1
	v_add_co_u32 v1, vcc_lo, v85, v49
	v_add_co_ci_u32_e32 v2, vcc_lo, v86, v50, vcc_lo
	v_add_co_u32 v4, vcc_lo, v87, v49
	v_add_co_ci_u32_e32 v5, vcc_lo, v88, v50, vcc_lo
	global_load_b64 v[35:36], v[1:2], off
	global_load_b64 v[19:20], v[4:5], off
.LBB122_14:                             ;   in Loop: Header=BB122_5 Depth=1
	s_or_b32 exec_lo, exec_lo, s17
	v_add_co_u32 v1, vcc_lo, v53, 2
	v_add_co_ci_u32_e32 v2, vcc_lo, 0, v54, vcc_lo
	s_delay_alu instid0(VALU_DEP_1) | instskip(SKIP_1) | instid1(SALU_CYCLE_1)
	v_cmp_gt_i64_e32 vcc_lo, s[36:37], v[1:2]
	s_and_b32 s18, s3, vcc_lo
	s_and_saveexec_b32 s17, s18
	s_cbranch_execz .LBB122_16
; %bb.15:                               ;   in Loop: Header=BB122_5 Depth=1
	v_add_co_u32 v1, vcc_lo, v81, v49
	v_add_co_ci_u32_e32 v2, vcc_lo, v82, v50, vcc_lo
	v_add_co_u32 v4, vcc_lo, v83, v49
	v_add_co_ci_u32_e32 v5, vcc_lo, v84, v50, vcc_lo
	global_load_b64 v[37:38], v[1:2], off
	global_load_b64 v[21:22], v[4:5], off
.LBB122_16:                             ;   in Loop: Header=BB122_5 Depth=1
	;; [unrolled: 16-line block ×7, first 2 shown]
	s_or_b32 exec_lo, exec_lo, s17
	s_waitcnt vmcnt(0)
	v_mul_f64 v[1:2], v[17:18], v[33:34]
	ds_bpermute_b32 v4, v3, v55
	ds_bpermute_b32 v5, v3, v56
	v_mul_f64 v[6:7], v[19:20], v[35:36]
	v_mul_f64 v[8:9], v[21:22], v[37:38]
	s_waitcnt lgkmcnt(0)
	v_fma_f64 v[1:2], v[1:2], v[4:5], v[51:52]
	ds_bpermute_b32 v4, v3, v55 offset:4
	ds_bpermute_b32 v5, v3, v56 offset:4
	s_waitcnt lgkmcnt(0)
	v_fma_f64 v[1:2], v[6:7], v[4:5], v[1:2]
	ds_bpermute_b32 v4, v3, v55 offset:8
	ds_bpermute_b32 v5, v3, v56 offset:8
	v_mul_f64 v[6:7], v[23:24], v[39:40]
	s_waitcnt lgkmcnt(0)
	v_fma_f64 v[1:2], v[8:9], v[4:5], v[1:2]
	ds_bpermute_b32 v4, v3, v55 offset:12
	ds_bpermute_b32 v5, v3, v56 offset:12
	v_mul_f64 v[8:9], v[25:26], v[41:42]
	;; [unrolled: 5-line block ×3, first 2 shown]
	s_waitcnt lgkmcnt(0)
	v_fma_f64 v[1:2], v[8:9], v[4:5], v[1:2]
	ds_bpermute_b32 v4, v3, v55 offset:20
	ds_bpermute_b32 v5, v3, v56 offset:20
	s_waitcnt lgkmcnt(0)
	v_fma_f64 v[1:2], v[6:7], v[4:5], v[1:2]
	v_mul_f64 v[4:5], v[29:30], v[45:46]
	ds_bpermute_b32 v6, v3, v55 offset:24
	ds_bpermute_b32 v7, v3, v56 offset:24
	s_waitcnt lgkmcnt(0)
	v_fma_f64 v[1:2], v[4:5], v[6:7], v[1:2]
	ds_bpermute_b32 v4, v3, v55 offset:28
	ds_bpermute_b32 v5, v3, v56 offset:28
	s_branch .LBB122_4
.LBB122_27:                             ;   in Loop: Header=BB122_5 Depth=1
                                        ; implicit-def: $vgpr1_vgpr2
                                        ; implicit-def: $vgpr17_vgpr18_vgpr19_vgpr20_vgpr21_vgpr22_vgpr23_vgpr24_vgpr25_vgpr26_vgpr27_vgpr28_vgpr29_vgpr30_vgpr31_vgpr32
                                        ; implicit-def: $vgpr33_vgpr34_vgpr35_vgpr36_vgpr37_vgpr38_vgpr39_vgpr40_vgpr41_vgpr42_vgpr43_vgpr44_vgpr45_vgpr46_vgpr47_vgpr48
                                        ; implicit-def: $vgpr4
	s_cbranch_execz .LBB122_4
; %bb.28:                               ;   in Loop: Header=BB122_5 Depth=1
	s_load_b32 s17, s[10:11], 0x0
	v_mov_b32_e32 v55, 0
	v_mov_b32_e32 v56, 0
	s_waitcnt lgkmcnt(0)
	s_cmp_lt_u32 s14, s17
	s_cselect_b32 s17, 12, 18
	s_delay_alu instid0(SALU_CYCLE_1)
	s_add_u32 s18, s10, s17
	s_addc_u32 s19, s11, 0
	s_mov_b32 s17, exec_lo
	global_load_u16 v1, v3, s[18:19]
	s_waitcnt vmcnt(0)
	v_mad_u32_u24 v1, v57, v1, v59
	s_delay_alu instid0(VALU_DEP_1) | instskip(NEXT) | instid1(VALU_DEP_1)
	v_and_b32_e32 v1, 31, v1
	v_cmpx_gt_u32_e32 8, v1
	s_cbranch_execz .LBB122_32
; %bb.29:                               ;   in Loop: Header=BB122_5 Depth=1
	v_add_co_u32 v1, vcc_lo, v53, v1
	v_mov_b32_e32 v55, 0
	v_add_co_ci_u32_e32 v2, vcc_lo, 0, v54, vcc_lo
	v_mov_b32_e32 v56, 0
	s_mov_b32 s18, exec_lo
	s_delay_alu instid0(VALU_DEP_2)
	v_cmpx_gt_i64_e64 s[36:37], v[1:2]
	s_cbranch_execz .LBB122_31
; %bb.30:                               ;   in Loop: Header=BB122_5 Depth=1
	v_lshlrev_b64 v[1:2], 3, v[1:2]
	s_delay_alu instid0(VALU_DEP_1) | instskip(NEXT) | instid1(VALU_DEP_2)
	v_add_co_u32 v1, vcc_lo, s6, v1
	v_add_co_ci_u32_e32 v2, vcc_lo, s7, v2, vcc_lo
	global_load_b64 v[55:56], v[1:2], off
.LBB122_31:                             ;   in Loop: Header=BB122_5 Depth=1
	s_or_b32 exec_lo, exec_lo, s18
.LBB122_32:                             ;   in Loop: Header=BB122_5 Depth=1
	s_delay_alu instid0(SALU_CYCLE_1)
	s_or_b32 exec_lo, exec_lo, s17
	s_mov_b32 s31, s16
	s_mov_b32 s17, s16
	;; [unrolled: 1-line block ×15, first 2 shown]
	s_delay_alu instid0(SALU_CYCLE_1)
	v_dual_mov_b32 v32, s31 :: v_dual_mov_b32 v31, s30
	v_dual_mov_b32 v30, s29 :: v_dual_mov_b32 v29, s28
	;; [unrolled: 1-line block ×16, first 2 shown]
	s_and_saveexec_b32 s17, s3
	s_cbranch_execnz .LBB122_40
; %bb.33:                               ;   in Loop: Header=BB122_5 Depth=1
	s_or_b32 exec_lo, exec_lo, s17
	s_and_saveexec_b32 s17, s3
	s_cbranch_execnz .LBB122_41
.LBB122_34:                             ;   in Loop: Header=BB122_5 Depth=1
	s_or_b32 exec_lo, exec_lo, s17
	s_and_saveexec_b32 s17, s3
	s_cbranch_execnz .LBB122_42
.LBB122_35:                             ;   in Loop: Header=BB122_5 Depth=1
	s_or_b32 exec_lo, exec_lo, s17
	s_and_saveexec_b32 s17, s3
	s_cbranch_execnz .LBB122_43
.LBB122_36:                             ;   in Loop: Header=BB122_5 Depth=1
	s_or_b32 exec_lo, exec_lo, s17
	s_and_saveexec_b32 s17, s3
	s_cbranch_execnz .LBB122_44
.LBB122_37:                             ;   in Loop: Header=BB122_5 Depth=1
	s_or_b32 exec_lo, exec_lo, s17
	s_and_saveexec_b32 s17, s3
	s_cbranch_execnz .LBB122_45
.LBB122_38:                             ;   in Loop: Header=BB122_5 Depth=1
	s_or_b32 exec_lo, exec_lo, s17
	s_and_saveexec_b32 s17, s3
	s_cbranch_execnz .LBB122_46
.LBB122_39:                             ;   in Loop: Header=BB122_5 Depth=1
	s_or_b32 exec_lo, exec_lo, s17
	s_and_saveexec_b32 s17, s3
	s_cbranch_execz .LBB122_3
	s_branch .LBB122_47
.LBB122_40:                             ;   in Loop: Header=BB122_5 Depth=1
	v_add_co_u32 v1, vcc_lo, v89, v49
	v_add_co_ci_u32_e32 v2, vcc_lo, v90, v50, vcc_lo
	v_add_co_u32 v4, vcc_lo, v91, v49
	v_add_co_ci_u32_e32 v5, vcc_lo, v92, v50, vcc_lo
	global_load_b64 v[1:2], v[1:2], off
	v_mov_b32_e32 v16, v3
	v_mov_b32_e32 v6, v3
	global_load_b64 v[17:18], v[4:5], off
	v_mov_b32_e32 v4, v3
	v_mov_b32_e32 v5, v3
	;; [unrolled: 1-line block ×11, first 2 shown]
	s_waitcnt vmcnt(1)
	v_dual_mov_b32 v19, v3 :: v_dual_mov_b32 v48, v16
	v_dual_mov_b32 v20, v3 :: v_dual_mov_b32 v45, v13
	;; [unrolled: 1-line block ×7, first 2 shown]
	v_mov_b32_e32 v26, v3
	v_dual_mov_b32 v27, v3 :: v_dual_mov_b32 v40, v8
	v_mov_b32_e32 v28, v3
	v_dual_mov_b32 v29, v3 :: v_dual_mov_b32 v38, v6
	;; [unrolled: 2-line block ×3, first 2 shown]
	v_mov_b32_e32 v47, v15
	v_mov_b32_e32 v43, v11
	;; [unrolled: 1-line block ×5, first 2 shown]
	v_dual_mov_b32 v34, v2 :: v_dual_mov_b32 v33, v1
	s_or_b32 exec_lo, exec_lo, s17
	s_and_saveexec_b32 s17, s3
	s_cbranch_execz .LBB122_34
.LBB122_41:                             ;   in Loop: Header=BB122_5 Depth=1
	v_add_co_u32 v1, vcc_lo, v85, v49
	v_add_co_ci_u32_e32 v2, vcc_lo, v86, v50, vcc_lo
	v_add_co_u32 v4, vcc_lo, v87, v49
	v_add_co_ci_u32_e32 v5, vcc_lo, v88, v50, vcc_lo
	global_load_b64 v[35:36], v[1:2], off
	global_load_b64 v[19:20], v[4:5], off
	s_or_b32 exec_lo, exec_lo, s17
	s_and_saveexec_b32 s17, s3
	s_cbranch_execz .LBB122_35
.LBB122_42:                             ;   in Loop: Header=BB122_5 Depth=1
	v_add_co_u32 v1, vcc_lo, v81, v49
	v_add_co_ci_u32_e32 v2, vcc_lo, v82, v50, vcc_lo
	v_add_co_u32 v4, vcc_lo, v83, v49
	v_add_co_ci_u32_e32 v5, vcc_lo, v84, v50, vcc_lo
	global_load_b64 v[37:38], v[1:2], off
	global_load_b64 v[21:22], v[4:5], off
	s_or_b32 exec_lo, exec_lo, s17
	s_and_saveexec_b32 s17, s3
	s_cbranch_execz .LBB122_36
.LBB122_43:                             ;   in Loop: Header=BB122_5 Depth=1
	v_add_co_u32 v1, vcc_lo, v77, v49
	v_add_co_ci_u32_e32 v2, vcc_lo, v78, v50, vcc_lo
	v_add_co_u32 v4, vcc_lo, v79, v49
	v_add_co_ci_u32_e32 v5, vcc_lo, v80, v50, vcc_lo
	global_load_b64 v[39:40], v[1:2], off
	global_load_b64 v[23:24], v[4:5], off
	s_or_b32 exec_lo, exec_lo, s17
	s_and_saveexec_b32 s17, s3
	s_cbranch_execz .LBB122_37
.LBB122_44:                             ;   in Loop: Header=BB122_5 Depth=1
	v_add_co_u32 v1, vcc_lo, v73, v49
	v_add_co_ci_u32_e32 v2, vcc_lo, v74, v50, vcc_lo
	v_add_co_u32 v4, vcc_lo, v75, v49
	v_add_co_ci_u32_e32 v5, vcc_lo, v76, v50, vcc_lo
	global_load_b64 v[41:42], v[1:2], off
	global_load_b64 v[25:26], v[4:5], off
	s_or_b32 exec_lo, exec_lo, s17
	s_and_saveexec_b32 s17, s3
	s_cbranch_execz .LBB122_38
.LBB122_45:                             ;   in Loop: Header=BB122_5 Depth=1
	v_add_co_u32 v1, vcc_lo, v69, v49
	v_add_co_ci_u32_e32 v2, vcc_lo, v70, v50, vcc_lo
	v_add_co_u32 v4, vcc_lo, v71, v49
	v_add_co_ci_u32_e32 v5, vcc_lo, v72, v50, vcc_lo
	global_load_b64 v[43:44], v[1:2], off
	global_load_b64 v[27:28], v[4:5], off
	s_or_b32 exec_lo, exec_lo, s17
	s_and_saveexec_b32 s17, s3
	s_cbranch_execz .LBB122_39
.LBB122_46:                             ;   in Loop: Header=BB122_5 Depth=1
	v_add_co_u32 v1, vcc_lo, v65, v49
	v_add_co_ci_u32_e32 v2, vcc_lo, v66, v50, vcc_lo
	v_add_co_u32 v4, vcc_lo, v67, v49
	v_add_co_ci_u32_e32 v5, vcc_lo, v68, v50, vcc_lo
	global_load_b64 v[45:46], v[1:2], off
	global_load_b64 v[29:30], v[4:5], off
	s_or_b32 exec_lo, exec_lo, s17
	s_and_saveexec_b32 s17, s3
	s_cbranch_execz .LBB122_3
.LBB122_47:                             ;   in Loop: Header=BB122_5 Depth=1
	v_add_co_u32 v1, vcc_lo, v61, v49
	v_add_co_ci_u32_e32 v2, vcc_lo, v62, v50, vcc_lo
	v_add_co_u32 v4, vcc_lo, v63, v49
	v_add_co_ci_u32_e32 v5, vcc_lo, v64, v50, vcc_lo
	global_load_b64 v[47:48], v[1:2], off
	global_load_b64 v[31:32], v[4:5], off
	s_branch .LBB122_3
.LBB122_48:
                                        ; implicit-def: $vgpr51_vgpr52
	s_load_b64 s[4:5], s[0:1], 0x30
	s_branch .LBB122_50
.LBB122_49:
	s_load_b64 s[4:5], s[0:1], 0x30
	s_cbranch_execnz .LBB122_82
.LBB122_50:
	v_mov_b32_e32 v51, 0
	v_mov_b32_e32 v52, 0
	s_and_not1_b32 vcc_lo, exec_lo, s33
	s_cbranch_vccnz .LBB122_82
; %bb.51:
	v_bfe_u32 v85, v0, 10, 10
	v_dual_mov_b32 v3, 0 :: v_dual_and_b32 v86, 0x3ff, v0
	s_add_u32 s10, s0, 64
	s_load_b32 s3, s[0:1], 0x44
	s_delay_alu instid0(VALU_DEP_2)
	v_lshlrev_b32_e32 v1, 6, v85
	s_addc_u32 s11, s1, 0
	v_mov_b32_e32 v88, v3
	s_lshl_b64 s[12:13], s[8:9], 3
	v_dual_mov_b32 v81, 0 :: v_dual_add_nc_u32 v2, s15, v86
	v_add_co_u32 v1, s12, v1, s12
	s_delay_alu instid0(VALU_DEP_1) | instskip(NEXT) | instid1(VALU_DEP_3)
	v_add_co_ci_u32_e64 v4, null, 0, s13, s12
	v_lshlrev_b64 v[53:54], 3, v[2:3]
	s_delay_alu instid0(VALU_DEP_3) | instskip(NEXT) | instid1(VALU_DEP_3)
	v_add_co_u32 v6, vcc_lo, v1, 8
	v_add_co_ci_u32_e32 v5, vcc_lo, 0, v4, vcc_lo
	v_add_co_u32 v9, vcc_lo, v1, 16
	v_add_co_ci_u32_e32 v2, vcc_lo, 0, v4, vcc_lo
	v_add_co_u32 v11, vcc_lo, v1, 24
	v_dual_mov_b32 v82, 0 :: v_dual_lshlrev_b32 v87, 3, v85
	s_delay_alu instid0(VALU_DEP_3)
	v_mul_lo_u32 v10, s38, v2
	v_add_co_ci_u32_e32 v2, vcc_lo, 0, v4, vcc_lo
	v_add_co_u32 v13, vcc_lo, v1, 32
	s_waitcnt lgkmcnt(0)
	s_lshl_b32 s15, s3, 3
	v_mul_lo_u32 v7, s38, v5
	v_add_co_ci_u32_e32 v5, vcc_lo, 0, v4, vcc_lo
	v_add_co_u32 v17, vcc_lo, v1, 40
	s_mul_i32 s3, s39, s15
	s_mul_hi_u32 s12, s38, s15
	v_mul_lo_u32 v14, s38, v2
	v_add_co_ci_u32_e32 v2, vcc_lo, 0, v4, vcc_lo
	s_add_i32 s13, s12, s3
	v_add_co_u32 v19, vcc_lo, v1, 48
	v_add_co_u32 v24, s3, v87, s8
	v_mul_lo_u32 v16, s38, v5
	v_add_co_ci_u32_e32 v5, vcc_lo, 0, v4, vcc_lo
	v_add_co_ci_u32_e64 v25, null, 0, 0, s3
	v_mul_lo_u32 v20, s38, v2
	s_delay_alu instid0(VALU_DEP_3)
	v_mul_lo_u32 v22, s38, v5
	v_add_co_u32 v26, vcc_lo, v1, 56
	v_mul_lo_u32 v5, s39, v24
	v_mul_lo_u32 v27, s38, v25
	v_mad_u64_u32 v[1:2], null, s38, v24, 0
	v_add_co_ci_u32_e32 v4, vcc_lo, 0, v4, vcc_lo
	v_mad_u64_u32 v[49:50], null, s38, v6, s[40:41]
	v_mul_lo_u32 v8, s39, v6
	s_delay_alu instid0(VALU_DEP_3) | instskip(SKIP_3) | instid1(VALU_DEP_3)
	v_mul_lo_u32 v28, s38, v4
	v_add3_u32 v2, v2, v27, v5
	v_mad_u64_u32 v[67:68], null, s38, v6, s[42:43]
	v_mad_u64_u32 v[55:56], null, s38, v9, s[40:41]
	v_lshlrev_b64 v[4:5], 3, v[1:2]
	v_mul_lo_u32 v12, s39, v9
	v_mad_u64_u32 v[69:70], null, s38, v9, s[42:43]
	v_add3_u32 v50, v8, v50, v7
	v_add3_u32 v68, v8, v68, v7
	v_add_co_u32 v89, vcc_lo, s40, v4
	v_add_co_ci_u32_e32 v90, vcc_lo, s41, v5, vcc_lo
	v_add_co_u32 v8, vcc_lo, v24, 7
	v_add_co_ci_u32_e32 v6, vcc_lo, 0, v25, vcc_lo
	v_mad_u64_u32 v[57:58], null, s38, v11, s[40:41]
	v_mul_lo_u32 v15, s39, v11
	v_mad_u64_u32 v[71:72], null, s38, v11, s[42:43]
	v_add3_u32 v56, v12, v56, v10
	v_add3_u32 v70, v12, v70, v10
	v_add_co_u32 v12, vcc_lo, v24, 6
	v_mul_lo_u32 v10, s39, v8
	v_mul_lo_u32 v11, s38, v6
	v_mad_u64_u32 v[6:7], null, s38, v8, 0
	v_add_co_ci_u32_e32 v9, vcc_lo, 0, v25, vcc_lo
	v_mad_u64_u32 v[59:60], null, s38, v13, s[40:41]
	v_mul_lo_u32 v18, s39, v13
	v_add3_u32 v58, v15, v58, v14
	v_mad_u64_u32 v[73:74], null, s38, v13, s[42:43]
	v_add3_u32 v72, v15, v72, v14
	v_mul_lo_u32 v13, s39, v12
	v_mul_lo_u32 v14, s38, v9
	v_mad_u64_u32 v[8:9], null, s38, v12, 0
	v_add3_u32 v7, v7, v11, v10
	v_add_co_u32 v91, vcc_lo, s42, v4
	v_add_co_ci_u32_e32 v92, vcc_lo, s43, v5, vcc_lo
	s_delay_alu instid0(VALU_DEP_3) | instskip(SKIP_3) | instid1(VALU_DEP_4)
	v_lshlrev_b64 v[4:5], 3, v[6:7]
	v_add3_u32 v9, v9, v14, v13
	v_add_co_u32 v10, vcc_lo, v24, 5
	v_add_co_ci_u32_e32 v11, vcc_lo, 0, v25, vcc_lo
	v_add_co_u32 v93, vcc_lo, s40, v4
	s_delay_alu instid0(VALU_DEP_4)
	v_lshlrev_b64 v[6:7], 3, v[8:9]
	v_add_co_ci_u32_e32 v94, vcc_lo, s41, v5, vcc_lo
	v_mul_lo_u32 v12, s39, v10
	v_mul_lo_u32 v11, s38, v11
	v_mad_u64_u32 v[8:9], null, s38, v10, 0
	v_add_co_u32 v95, vcc_lo, s42, v4
	v_add_co_ci_u32_e32 v96, vcc_lo, s43, v5, vcc_lo
	v_add_co_u32 v97, vcc_lo, s40, v6
	v_add_co_ci_u32_e32 v98, vcc_lo, s41, v7, vcc_lo
	v_add_co_u32 v10, vcc_lo, v24, 4
	v_add3_u32 v9, v9, v11, v12
	v_add_co_u32 v99, s3, s42, v6
	v_add_co_ci_u32_e32 v6, vcc_lo, 0, v25, vcc_lo
	v_add_co_u32 v12, vcc_lo, v24, 3
	s_delay_alu instid0(VALU_DEP_4)
	v_lshlrev_b64 v[4:5], 3, v[8:9]
	v_add_co_ci_u32_e32 v8, vcc_lo, 0, v25, vcc_lo
	v_add_co_ci_u32_e64 v100, s3, s43, v7, s3
	v_mul_lo_u32 v11, s39, v10
	v_mul_lo_u32 v13, s38, v6
	v_mad_u64_u32 v[6:7], null, s38, v10, 0
	v_mul_lo_u32 v10, s39, v12
	v_mul_lo_u32 v14, s38, v8
	v_mad_u64_u32 v[8:9], null, s38, v12, 0
	v_add_co_u32 v101, vcc_lo, s40, v4
	v_add_co_ci_u32_e32 v102, vcc_lo, s41, v5, vcc_lo
	v_add3_u32 v7, v7, v13, v11
	v_add_co_u32 v103, vcc_lo, s42, v4
	v_add_co_ci_u32_e32 v104, vcc_lo, s43, v5, vcc_lo
	v_add3_u32 v9, v9, v14, v10
	v_add_co_u32 v10, vcc_lo, v24, 2
	v_lshlrev_b64 v[4:5], 3, v[6:7]
	v_add_co_ci_u32_e32 v11, vcc_lo, 0, v25, vcc_lo
	s_delay_alu instid0(VALU_DEP_4) | instskip(NEXT) | instid1(VALU_DEP_4)
	v_lshlrev_b64 v[6:7], 3, v[8:9]
	v_mul_lo_u32 v12, s39, v10
	v_mad_u64_u32 v[8:9], null, s38, v10, 0
	v_add_co_u32 v105, vcc_lo, s40, v4
	v_mul_lo_u32 v11, s38, v11
	v_add_co_ci_u32_e32 v106, vcc_lo, s41, v5, vcc_lo
	v_add_co_u32 v107, vcc_lo, s42, v4
	v_add_co_ci_u32_e32 v108, vcc_lo, s43, v5, vcc_lo
	v_add_co_u32 v109, vcc_lo, s40, v6
	v_add_co_ci_u32_e32 v110, vcc_lo, s41, v7, vcc_lo
	v_add3_u32 v9, v9, v11, v12
	v_add_co_u32 v111, vcc_lo, s42, v6
	v_add_co_ci_u32_e32 v112, vcc_lo, s43, v7, vcc_lo
	v_add_co_u32 v1, vcc_lo, v1, s38
	s_delay_alu instid0(VALU_DEP_4) | instskip(SKIP_3) | instid1(VALU_DEP_4)
	v_lshlrev_b64 v[4:5], 3, v[8:9]
	v_add_co_ci_u32_e32 v2, vcc_lo, s39, v2, vcc_lo
	v_mad_u64_u32 v[61:62], null, s38, v17, s[40:41]
	v_mul_lo_u32 v21, s39, v17
	v_add_co_u32 v113, vcc_lo, s40, v4
	s_delay_alu instid0(VALU_DEP_4)
	v_lshlrev_b64 v[1:2], 3, v[1:2]
	v_add_co_ci_u32_e32 v114, vcc_lo, s41, v5, vcc_lo
	v_mad_u64_u32 v[63:64], null, s38, v19, s[40:41]
	v_mul_lo_u32 v23, s39, v19
	v_mad_u64_u32 v[65:66], null, s38, v26, s[40:41]
	v_mul_lo_u32 v29, s39, v26
	v_mad_u64_u32 v[75:76], null, s38, v17, s[42:43]
	v_mad_u64_u32 v[77:78], null, s38, v19, s[42:43]
	;; [unrolled: 1-line block ×3, first 2 shown]
	v_add_co_u32 v115, vcc_lo, s42, v4
	v_add_co_ci_u32_e32 v116, vcc_lo, s43, v5, vcc_lo
	v_add_co_u32 v117, vcc_lo, s40, v1
	v_add_co_ci_u32_e32 v118, vcc_lo, s41, v2, vcc_lo
	v_add_co_u32 v119, vcc_lo, s42, v1
	v_add3_u32 v60, v18, v60, v16
	v_add3_u32 v62, v21, v62, v20
	v_add3_u32 v64, v23, v64, v22
	v_add3_u32 v66, v29, v66, v28
	v_add3_u32 v74, v18, v74, v16
	v_add3_u32 v76, v21, v76, v20
	v_add3_u32 v78, v23, v78, v22
	v_add3_u32 v80, v29, v80, v28
	v_add_co_ci_u32_e32 v120, vcc_lo, s43, v2, vcc_lo
	s_mul_i32 s12, s38, s15
	s_mov_b32 s16, 0
	s_lshl_b64 s[12:13], s[12:13], 3
	s_mov_b64 s[34:35], 7
	s_mov_b64 s[40:41], s[8:9]
.LBB122_52:                             ; =>This Inner Loop Header: Depth=1
	s_add_u32 s18, s8, s34
	s_addc_u32 s19, 0, s35
	v_add_co_u32 v83, vcc_lo, s8, v87
	v_cmp_ge_i64_e64 s3, s[18:19], s[36:37]
	v_add_co_ci_u32_e32 v84, vcc_lo, 0, v88, vcc_lo
	s_delay_alu instid0(VALU_DEP_2)
	s_and_b32 vcc_lo, exec_lo, s3
	s_cbranch_vccz .LBB122_74
; %bb.53:                               ;   in Loop: Header=BB122_52 Depth=1
	s_load_b32 s3, s[10:11], 0xc
	v_mov_b32_e32 v51, 0
	v_mov_b32_e32 v52, 0
	s_waitcnt lgkmcnt(0)
	s_and_b32 s3, s3, 0xffff
	s_delay_alu instid0(SALU_CYCLE_1) | instskip(SKIP_1) | instid1(VALU_DEP_1)
	v_mad_u32_u24 v1, v85, s3, v86
	s_mov_b32 s3, exec_lo
	v_and_b32_e32 v1, 31, v1
	s_delay_alu instid0(VALU_DEP_1)
	v_cmpx_gt_u32_e32 8, v1
	s_cbranch_execz .LBB122_57
; %bb.54:                               ;   in Loop: Header=BB122_52 Depth=1
	v_add_co_u32 v1, vcc_lo, v83, v1
	v_mov_b32_e32 v51, 0
	v_add_co_ci_u32_e32 v2, vcc_lo, 0, v84, vcc_lo
	v_mov_b32_e32 v52, 0
	s_mov_b32 s9, exec_lo
	s_delay_alu instid0(VALU_DEP_2)
	v_cmpx_gt_i64_e64 s[36:37], v[1:2]
	s_cbranch_execz .LBB122_56
; %bb.55:                               ;   in Loop: Header=BB122_52 Depth=1
	v_lshlrev_b64 v[1:2], 3, v[1:2]
	s_delay_alu instid0(VALU_DEP_1) | instskip(NEXT) | instid1(VALU_DEP_2)
	v_add_co_u32 v1, vcc_lo, s6, v1
	v_add_co_ci_u32_e32 v2, vcc_lo, s7, v2, vcc_lo
	global_load_b64 v[51:52], v[1:2], off
.LBB122_56:                             ;   in Loop: Header=BB122_52 Depth=1
	s_or_b32 exec_lo, exec_lo, s9
.LBB122_57:                             ;   in Loop: Header=BB122_52 Depth=1
	s_delay_alu instid0(SALU_CYCLE_1)
	s_or_b32 exec_lo, exec_lo, s3
	s_mov_b32 s31, s16
	s_mov_b32 s17, s16
	;; [unrolled: 1-line block ×15, first 2 shown]
	s_delay_alu instid0(SALU_CYCLE_1)
	v_dual_mov_b32 v32, s31 :: v_dual_mov_b32 v31, s30
	v_dual_mov_b32 v30, s29 :: v_dual_mov_b32 v29, s28
	;; [unrolled: 1-line block ×16, first 2 shown]
	s_mov_b32 s3, exec_lo
	v_cmpx_gt_i64_e64 s[36:37], v[83:84]
	s_cbranch_execz .LBB122_59
; %bb.58:                               ;   in Loop: Header=BB122_52 Depth=1
	v_add_co_u32 v1, vcc_lo, v89, v53
	v_add_co_ci_u32_e32 v2, vcc_lo, v90, v54, vcc_lo
	v_add_co_u32 v4, vcc_lo, v91, v53
	v_add_co_ci_u32_e32 v5, vcc_lo, v92, v54, vcc_lo
	global_load_b64 v[1:2], v[1:2], off
	v_mov_b32_e32 v16, v3
	v_mov_b32_e32 v6, v3
	global_load_b64 v[17:18], v[4:5], off
	v_mov_b32_e32 v4, v3
	v_mov_b32_e32 v5, v3
	;; [unrolled: 1-line block ×11, first 2 shown]
	s_waitcnt vmcnt(1)
	v_dual_mov_b32 v19, v3 :: v_dual_mov_b32 v48, v16
	v_dual_mov_b32 v20, v3 :: v_dual_mov_b32 v45, v13
	;; [unrolled: 1-line block ×7, first 2 shown]
	v_mov_b32_e32 v26, v3
	v_dual_mov_b32 v27, v3 :: v_dual_mov_b32 v40, v8
	v_mov_b32_e32 v28, v3
	v_dual_mov_b32 v29, v3 :: v_dual_mov_b32 v38, v6
	;; [unrolled: 2-line block ×3, first 2 shown]
	v_mov_b32_e32 v47, v15
	v_mov_b32_e32 v43, v11
	;; [unrolled: 1-line block ×5, first 2 shown]
	v_dual_mov_b32 v34, v2 :: v_dual_mov_b32 v33, v1
.LBB122_59:                             ;   in Loop: Header=BB122_52 Depth=1
	s_or_b32 exec_lo, exec_lo, s3
	v_add_co_u32 v1, vcc_lo, v83, 1
	v_add_co_ci_u32_e32 v2, vcc_lo, 0, v84, vcc_lo
	s_mov_b32 s3, exec_lo
	s_delay_alu instid0(VALU_DEP_1)
	v_cmpx_gt_i64_e64 s[36:37], v[1:2]
	s_cbranch_execz .LBB122_61
; %bb.60:                               ;   in Loop: Header=BB122_52 Depth=1
	v_add_co_u32 v1, vcc_lo, v117, v53
	v_add_co_ci_u32_e32 v2, vcc_lo, v118, v54, vcc_lo
	v_add_co_u32 v4, vcc_lo, v119, v53
	v_add_co_ci_u32_e32 v5, vcc_lo, v120, v54, vcc_lo
	global_load_b64 v[35:36], v[1:2], off
	global_load_b64 v[19:20], v[4:5], off
.LBB122_61:                             ;   in Loop: Header=BB122_52 Depth=1
	s_or_b32 exec_lo, exec_lo, s3
	v_add_co_u32 v1, vcc_lo, v83, 2
	v_add_co_ci_u32_e32 v2, vcc_lo, 0, v84, vcc_lo
	s_mov_b32 s3, exec_lo
	s_delay_alu instid0(VALU_DEP_1)
	v_cmpx_gt_i64_e64 s[36:37], v[1:2]
	s_cbranch_execz .LBB122_63
; %bb.62:                               ;   in Loop: Header=BB122_52 Depth=1
	v_add_co_u32 v1, vcc_lo, v113, v53
	v_add_co_ci_u32_e32 v2, vcc_lo, v114, v54, vcc_lo
	v_add_co_u32 v4, vcc_lo, v115, v53
	v_add_co_ci_u32_e32 v5, vcc_lo, v116, v54, vcc_lo
	global_load_b64 v[37:38], v[1:2], off
	global_load_b64 v[21:22], v[4:5], off
.LBB122_63:                             ;   in Loop: Header=BB122_52 Depth=1
	;; [unrolled: 15-line block ×7, first 2 shown]
	s_or_b32 exec_lo, exec_lo, s3
	s_waitcnt vmcnt(0)
	v_mul_f64 v[1:2], v[17:18], v[33:34]
	ds_bpermute_b32 v4, v3, v51
	ds_bpermute_b32 v5, v3, v52
	v_mul_f64 v[6:7], v[19:20], v[35:36]
	v_mul_f64 v[8:9], v[21:22], v[37:38]
	s_waitcnt lgkmcnt(0)
	v_fma_f64 v[1:2], v[1:2], v[4:5], v[81:82]
	ds_bpermute_b32 v4, v3, v51 offset:4
	ds_bpermute_b32 v5, v3, v52 offset:4
	s_waitcnt lgkmcnt(0)
	v_fma_f64 v[1:2], v[6:7], v[4:5], v[1:2]
	ds_bpermute_b32 v4, v3, v51 offset:8
	ds_bpermute_b32 v5, v3, v52 offset:8
	v_mul_f64 v[6:7], v[23:24], v[39:40]
	s_waitcnt lgkmcnt(0)
	v_fma_f64 v[1:2], v[8:9], v[4:5], v[1:2]
	ds_bpermute_b32 v4, v3, v51 offset:12
	ds_bpermute_b32 v5, v3, v52 offset:12
	v_mul_f64 v[8:9], v[25:26], v[41:42]
	s_waitcnt lgkmcnt(0)
	v_fma_f64 v[1:2], v[6:7], v[4:5], v[1:2]
	ds_bpermute_b32 v4, v3, v51 offset:16
	ds_bpermute_b32 v5, v3, v52 offset:16
	v_mul_f64 v[6:7], v[27:28], v[43:44]
	s_waitcnt lgkmcnt(0)
	v_fma_f64 v[1:2], v[8:9], v[4:5], v[1:2]
	ds_bpermute_b32 v4, v3, v51 offset:20
	ds_bpermute_b32 v5, v3, v52 offset:20
	v_mul_f64 v[8:9], v[29:30], v[45:46]
	s_waitcnt lgkmcnt(0)
	v_fma_f64 v[1:2], v[6:7], v[4:5], v[1:2]
	ds_bpermute_b32 v4, v3, v51 offset:24
	ds_bpermute_b32 v5, v3, v52 offset:24
	;; [unrolled: 1-line block ×4, first 2 shown]
	s_waitcnt lgkmcnt(2)
	v_fma_f64 v[1:2], v[8:9], v[4:5], v[1:2]
	v_mul_f64 v[4:5], v[31:32], v[47:48]
	s_waitcnt lgkmcnt(0)
	s_delay_alu instid0(VALU_DEP_1)
	v_fma_f64 v[51:52], v[4:5], v[6:7], v[1:2]
	s_branch .LBB122_80
.LBB122_74:                             ;   in Loop: Header=BB122_52 Depth=1
                                        ; implicit-def: $vgpr51_vgpr52
	s_cbranch_execz .LBB122_80
; %bb.75:                               ;   in Loop: Header=BB122_52 Depth=1
	s_load_b32 s3, s[10:11], 0x0
	s_waitcnt lgkmcnt(0)
	s_cmp_lt_u32 s14, s3
	s_cselect_b32 s3, 12, 18
	s_delay_alu instid0(SALU_CYCLE_1)
	s_add_u32 s18, s10, s3
	s_addc_u32 s19, s11, 0
	s_mov_b32 s3, exec_lo
	global_load_u16 v1, v3, s[18:19]
	s_waitcnt vmcnt(0)
	v_mad_u32_u24 v1, v85, v1, v86
	s_delay_alu instid0(VALU_DEP_1) | instskip(SKIP_1) | instid1(VALU_DEP_2)
	v_dual_mov_b32 v1, 0 :: v_dual_and_b32 v4, 31, v1
	v_mov_b32_e32 v2, 0
	v_cmpx_gt_u32_e32 8, v4
	s_cbranch_execz .LBB122_79
; %bb.76:                               ;   in Loop: Header=BB122_52 Depth=1
	v_add_co_u32 v4, vcc_lo, v83, v4
	v_mov_b32_e32 v1, 0
	v_add_co_ci_u32_e32 v5, vcc_lo, 0, v84, vcc_lo
	v_mov_b32_e32 v2, 0
	s_mov_b32 s9, exec_lo
	s_delay_alu instid0(VALU_DEP_2)
	v_cmpx_gt_i64_e64 s[36:37], v[4:5]
	s_cbranch_execz .LBB122_78
; %bb.77:                               ;   in Loop: Header=BB122_52 Depth=1
	v_lshlrev_b64 v[1:2], 3, v[4:5]
	s_delay_alu instid0(VALU_DEP_1) | instskip(NEXT) | instid1(VALU_DEP_2)
	v_add_co_u32 v1, vcc_lo, s6, v1
	v_add_co_ci_u32_e32 v2, vcc_lo, s7, v2, vcc_lo
	global_load_b64 v[1:2], v[1:2], off
.LBB122_78:                             ;   in Loop: Header=BB122_52 Depth=1
	s_or_b32 exec_lo, exec_lo, s9
.LBB122_79:                             ;   in Loop: Header=BB122_52 Depth=1
	s_delay_alu instid0(SALU_CYCLE_1)
	s_or_b32 exec_lo, exec_lo, s3
	v_add_co_u32 v4, vcc_lo, v89, v53
	v_add_co_ci_u32_e32 v5, vcc_lo, v90, v54, vcc_lo
	v_add_co_u32 v6, vcc_lo, v91, v53
	v_add_co_ci_u32_e32 v7, vcc_lo, v92, v54, vcc_lo
	v_add_co_u32 v8, vcc_lo, v49, v53
	global_load_b64 v[4:5], v[4:5], off
	global_load_b64 v[6:7], v[6:7], off
	v_add_co_ci_u32_e32 v9, vcc_lo, v50, v54, vcc_lo
	v_add_co_u32 v10, vcc_lo, v67, v53
	v_add_co_ci_u32_e32 v11, vcc_lo, v68, v54, vcc_lo
	global_load_b64 v[8:9], v[8:9], off
	global_load_b64 v[10:11], v[10:11], off
	v_add_co_u32 v12, vcc_lo, v55, v53
	v_add_co_ci_u32_e32 v13, vcc_lo, v56, v54, vcc_lo
	v_add_co_u32 v14, vcc_lo, v69, v53
	v_add_co_ci_u32_e32 v15, vcc_lo, v70, v54, vcc_lo
	global_load_b64 v[12:13], v[12:13], off
	global_load_b64 v[14:15], v[14:15], off
	v_add_co_u32 v16, vcc_lo, v57, v53
	;; [unrolled: 6-line block ×6, first 2 shown]
	v_add_co_ci_u32_e32 v33, vcc_lo, v66, v54, vcc_lo
	v_add_co_u32 v34, vcc_lo, v79, v53
	v_add_co_ci_u32_e32 v35, vcc_lo, v80, v54, vcc_lo
	global_load_b64 v[32:33], v[32:33], off
	global_load_b64 v[34:35], v[34:35], off
	s_waitcnt vmcnt(14)
	v_mul_f64 v[4:5], v[4:5], v[6:7]
	ds_bpermute_b32 v6, v3, v1
	ds_bpermute_b32 v7, v3, v2
	s_waitcnt vmcnt(12)
	v_mul_f64 v[8:9], v[8:9], v[10:11]
	s_waitcnt vmcnt(10)
	v_mul_f64 v[10:11], v[12:13], v[14:15]
	s_waitcnt lgkmcnt(0)
	v_fma_f64 v[4:5], v[4:5], v[6:7], v[81:82]
	ds_bpermute_b32 v6, v3, v1 offset:4
	ds_bpermute_b32 v7, v3, v2 offset:4
	s_waitcnt lgkmcnt(0)
	v_fma_f64 v[4:5], v[8:9], v[6:7], v[4:5]
	ds_bpermute_b32 v6, v3, v1 offset:8
	ds_bpermute_b32 v7, v3, v2 offset:8
	s_waitcnt vmcnt(8)
	v_mul_f64 v[8:9], v[16:17], v[18:19]
	s_waitcnt lgkmcnt(0)
	v_fma_f64 v[4:5], v[10:11], v[6:7], v[4:5]
	ds_bpermute_b32 v6, v3, v1 offset:12
	ds_bpermute_b32 v7, v3, v2 offset:12
	s_waitcnt vmcnt(6)
	v_mul_f64 v[10:11], v[20:21], v[22:23]
	;; [unrolled: 6-line block ×4, first 2 shown]
	s_waitcnt lgkmcnt(0)
	v_fma_f64 v[4:5], v[8:9], v[6:7], v[4:5]
	ds_bpermute_b32 v6, v3, v1 offset:24
	ds_bpermute_b32 v7, v3, v2 offset:24
	;; [unrolled: 1-line block ×4, first 2 shown]
	s_waitcnt lgkmcnt(2)
	v_fma_f64 v[4:5], v[10:11], v[6:7], v[4:5]
	s_waitcnt vmcnt(0)
	v_mul_f64 v[6:7], v[32:33], v[34:35]
	s_waitcnt lgkmcnt(0)
	s_delay_alu instid0(VALU_DEP_1)
	v_fma_f64 v[51:52], v[6:7], v[1:2], v[4:5]
.LBB122_80:                             ;   in Loop: Header=BB122_52 Depth=1
	v_add_co_u32 v87, vcc_lo, v87, s15
	v_add_co_ci_u32_e32 v88, vcc_lo, 0, v88, vcc_lo
	v_add_co_u32 v49, vcc_lo, v49, s12
	v_add_co_ci_u32_e32 v50, vcc_lo, s13, v50, vcc_lo
	;; [unrolled: 2-line block ×28, first 2 shown]
	v_add_co_u32 v115, vcc_lo, v115, s12
	s_add_u32 s40, s40, s15
	v_add_co_ci_u32_e32 v116, vcc_lo, s13, v116, vcc_lo
	s_addc_u32 s41, s41, 0
	v_add_co_u32 v117, vcc_lo, v117, s12
	v_add_co_ci_u32_e32 v118, vcc_lo, s13, v118, vcc_lo
	v_cmp_ge_i64_e64 s3, s[40:41], s[36:37]
	v_add_co_u32 v119, vcc_lo, v119, s12
	v_add_co_ci_u32_e32 v120, vcc_lo, s13, v120, vcc_lo
	s_add_u32 s34, s34, s15
	s_addc_u32 s35, s35, 0
	s_delay_alu instid0(VALU_DEP_3)
	s_and_b32 vcc_lo, exec_lo, s3
	s_cbranch_vccnz .LBB122_82
; %bb.81:                               ;   in Loop: Header=BB122_52 Depth=1
	v_dual_mov_b32 v82, v52 :: v_dual_mov_b32 v81, v51
	s_branch .LBB122_52
.LBB122_82:
	s_mov_b32 s15, 0
	s_delay_alu instid0(SALU_CYCLE_1) | instskip(NEXT) | instid1(SALU_CYCLE_1)
	s_lshl_b64 s[6:7], s[14:15], 6
	v_dual_mov_b32 v2, s7 :: v_dual_and_b32 v1, 0x3ff, v0
	s_waitcnt lgkmcnt(0)
	s_cmp_lg_u64 s[4:5], 0
	s_cselect_b32 s3, -1, 0
	s_delay_alu instid0(VALU_DEP_1) | instskip(NEXT) | instid1(VALU_DEP_1)
	v_or_b32_e32 v1, s6, v1
	v_cmp_gt_i64_e32 vcc_lo, s[38:39], v[1:2]
	s_and_b32 s3, vcc_lo, s3
	s_delay_alu instid0(SALU_CYCLE_1)
	s_and_saveexec_b32 s6, s3
	s_cbranch_execz .LBB122_84
; %bb.83:
	s_load_b32 s0, s[0:1], 0x4c
	v_bfe_u32 v3, v0, 10, 10
	v_mov_b32_e32 v4, 0
	s_waitcnt lgkmcnt(0)
	s_lshr_b32 s0, s0, 16
	s_delay_alu instid0(VALU_DEP_1) | instid1(SALU_CYCLE_1)
	v_mad_u64_u32 v[5:6], null, s0, s2, v[3:4]
	s_delay_alu instid0(VALU_DEP_1) | instskip(NEXT) | instid1(VALU_DEP_2)
	v_mul_lo_u32 v0, v6, s38
	v_mul_lo_u32 v6, v5, s39
	v_mad_u64_u32 v[3:4], null, v5, s38, 0
	s_delay_alu instid0(VALU_DEP_1) | instskip(SKIP_1) | instid1(VALU_DEP_2)
	v_add3_u32 v4, v4, v6, v0
	v_lshlrev_b64 v[0:1], 3, v[1:2]
	v_lshlrev_b64 v[3:4], 3, v[3:4]
	s_delay_alu instid0(VALU_DEP_1) | instskip(NEXT) | instid1(VALU_DEP_2)
	v_add_co_u32 v2, vcc_lo, s4, v3
	v_add_co_ci_u32_e32 v3, vcc_lo, s5, v4, vcc_lo
	s_delay_alu instid0(VALU_DEP_2) | instskip(NEXT) | instid1(VALU_DEP_2)
	v_add_co_u32 v0, vcc_lo, v2, v0
	v_add_co_ci_u32_e32 v1, vcc_lo, v3, v1, vcc_lo
	global_store_b64 v[0:1], v[51:52], off
.LBB122_84:
	s_nop 0
	s_sendmsg sendmsg(MSG_DEALLOC_VGPRS)
	s_endpgm
	.section	.rodata,"a",@progbits
	.p2align	6, 0x0
	.amdhsa_kernel _ZN2at6native12_GLOBAL__N_135GammaBetaBackwardCUDAKernelTemplateIddLj64ELj1ELj8ELb1ELb0ELb1EEEvllPKT_S5_PKT0_S8_PS3_S9_
		.amdhsa_group_segment_fixed_size 0
		.amdhsa_private_segment_fixed_size 0
		.amdhsa_kernarg_size 320
		.amdhsa_user_sgpr_count 14
		.amdhsa_user_sgpr_dispatch_ptr 0
		.amdhsa_user_sgpr_queue_ptr 0
		.amdhsa_user_sgpr_kernarg_segment_ptr 1
		.amdhsa_user_sgpr_dispatch_id 0
		.amdhsa_user_sgpr_private_segment_size 0
		.amdhsa_wavefront_size32 1
		.amdhsa_uses_dynamic_stack 0
		.amdhsa_enable_private_segment 0
		.amdhsa_system_sgpr_workgroup_id_x 1
		.amdhsa_system_sgpr_workgroup_id_y 1
		.amdhsa_system_sgpr_workgroup_id_z 0
		.amdhsa_system_sgpr_workgroup_info 0
		.amdhsa_system_vgpr_workitem_id 1
		.amdhsa_next_free_vgpr 121
		.amdhsa_next_free_sgpr 45
		.amdhsa_reserve_vcc 1
		.amdhsa_float_round_mode_32 0
		.amdhsa_float_round_mode_16_64 0
		.amdhsa_float_denorm_mode_32 3
		.amdhsa_float_denorm_mode_16_64 3
		.amdhsa_dx10_clamp 1
		.amdhsa_ieee_mode 1
		.amdhsa_fp16_overflow 0
		.amdhsa_workgroup_processor_mode 1
		.amdhsa_memory_ordered 1
		.amdhsa_forward_progress 0
		.amdhsa_shared_vgpr_count 0
		.amdhsa_exception_fp_ieee_invalid_op 0
		.amdhsa_exception_fp_denorm_src 0
		.amdhsa_exception_fp_ieee_div_zero 0
		.amdhsa_exception_fp_ieee_overflow 0
		.amdhsa_exception_fp_ieee_underflow 0
		.amdhsa_exception_fp_ieee_inexact 0
		.amdhsa_exception_int_div_zero 0
	.end_amdhsa_kernel
	.section	.text._ZN2at6native12_GLOBAL__N_135GammaBetaBackwardCUDAKernelTemplateIddLj64ELj1ELj8ELb1ELb0ELb1EEEvllPKT_S5_PKT0_S8_PS3_S9_,"axG",@progbits,_ZN2at6native12_GLOBAL__N_135GammaBetaBackwardCUDAKernelTemplateIddLj64ELj1ELj8ELb1ELb0ELb1EEEvllPKT_S5_PKT0_S8_PS3_S9_,comdat
.Lfunc_end122:
	.size	_ZN2at6native12_GLOBAL__N_135GammaBetaBackwardCUDAKernelTemplateIddLj64ELj1ELj8ELb1ELb0ELb1EEEvllPKT_S5_PKT0_S8_PS3_S9_, .Lfunc_end122-_ZN2at6native12_GLOBAL__N_135GammaBetaBackwardCUDAKernelTemplateIddLj64ELj1ELj8ELb1ELb0ELb1EEEvllPKT_S5_PKT0_S8_PS3_S9_
                                        ; -- End function
	.section	.AMDGPU.csdata,"",@progbits
; Kernel info:
; codeLenInByte = 7976
; NumSgprs: 47
; NumVgprs: 121
; ScratchSize: 0
; MemoryBound: 1
; FloatMode: 240
; IeeeMode: 1
; LDSByteSize: 0 bytes/workgroup (compile time only)
; SGPRBlocks: 5
; VGPRBlocks: 15
; NumSGPRsForWavesPerEU: 47
; NumVGPRsForWavesPerEU: 121
; Occupancy: 10
; WaveLimiterHint : 0
; COMPUTE_PGM_RSRC2:SCRATCH_EN: 0
; COMPUTE_PGM_RSRC2:USER_SGPR: 14
; COMPUTE_PGM_RSRC2:TRAP_HANDLER: 0
; COMPUTE_PGM_RSRC2:TGID_X_EN: 1
; COMPUTE_PGM_RSRC2:TGID_Y_EN: 1
; COMPUTE_PGM_RSRC2:TGID_Z_EN: 0
; COMPUTE_PGM_RSRC2:TIDIG_COMP_CNT: 1
	.section	.text._ZN2at6native12_GLOBAL__N_135GammaBetaBackwardCUDAKernelTemplateIddLj64ELj8ELj64ELb0ELb1ELb1EEEvllPKT_S5_PKT0_S8_PS3_S9_,"axG",@progbits,_ZN2at6native12_GLOBAL__N_135GammaBetaBackwardCUDAKernelTemplateIddLj64ELj8ELj64ELb0ELb1ELb1EEEvllPKT_S5_PKT0_S8_PS3_S9_,comdat
	.globl	_ZN2at6native12_GLOBAL__N_135GammaBetaBackwardCUDAKernelTemplateIddLj64ELj8ELj64ELb0ELb1ELb1EEEvllPKT_S5_PKT0_S8_PS3_S9_ ; -- Begin function _ZN2at6native12_GLOBAL__N_135GammaBetaBackwardCUDAKernelTemplateIddLj64ELj8ELj64ELb0ELb1ELb1EEEvllPKT_S5_PKT0_S8_PS3_S9_
	.p2align	8
	.type	_ZN2at6native12_GLOBAL__N_135GammaBetaBackwardCUDAKernelTemplateIddLj64ELj8ELj64ELb0ELb1ELb1EEEvllPKT_S5_PKT0_S8_PS3_S9_,@function
_ZN2at6native12_GLOBAL__N_135GammaBetaBackwardCUDAKernelTemplateIddLj64ELj8ELj64ELb0ELb1ELb1EEEvllPKT_S5_PKT0_S8_PS3_S9_: ; @_ZN2at6native12_GLOBAL__N_135GammaBetaBackwardCUDAKernelTemplateIddLj64ELj8ELj64ELb0ELb1ELb1EEEvllPKT_S5_PKT0_S8_PS3_S9_
; %bb.0:
	s_load_b128 s[4:7], s[0:1], 0x0
	s_mov_b32 s13, 0
	s_lshl_b32 s12, s15, 6
	v_bfe_u32 v13, v0, 10, 10
	s_waitcnt lgkmcnt(0)
	v_cmp_lt_i64_e64 s2, s[12:13], s[4:5]
	s_delay_alu instid0(VALU_DEP_1)
	s_and_b32 vcc_lo, exec_lo, s2
	s_cbranch_vccnz .LBB123_2
; %bb.1:
	v_bfe_u32 v1, v0, 10, 10
	s_mov_b64 s[8:9], 0
	s_mov_b32 s10, s13
	s_branch .LBB123_3
.LBB123_2:
	s_mov_b32 s10, -1
                                        ; implicit-def: $sgpr8_sgpr9
                                        ; implicit-def: $vgpr1
.LBB123_3:
	s_load_b64 s[2:3], s[0:1], 0x30
	v_mov_b32_e32 v8, s8
	v_dual_mov_b32 v9, s9 :: v_dual_and_b32 v12, 0x3ff, v0
	s_and_not1_b32 vcc_lo, exec_lo, s10
	s_cbranch_vccnz .LBB123_11
; %bb.4:
	s_clause 0x3
	s_load_b32 s15, s[0:1], 0x4c
	s_load_b32 s16, s[0:1], 0x44
	s_load_b128 s[8:11], s[0:1], 0x10
	s_load_b64 s[18:19], s[0:1], 0x28
	v_dual_mov_b32 v15, 4 :: v_dual_lshlrev_b32 v2, 3, v13
	v_dual_mov_b32 v14, 8 :: v_dual_mov_b32 v1, 0
	v_lshl_add_u32 v0, s14, 6, v12
	s_delay_alu instid0(VALU_DEP_3) | instskip(NEXT) | instid1(VALU_DEP_1)
	v_add_co_u32 v2, s1, v2, s12
	v_add_co_ci_u32_e64 v3, null, 0, 0, s1
	s_delay_alu instid0(VALU_DEP_3) | instskip(NEXT) | instid1(VALU_DEP_3)
	v_lshlrev_b64 v[8:9], 3, v[0:1]
	v_mul_lo_u32 v10, s7, v2
	v_mad_u64_u32 v[6:7], null, s6, v2, 0
	s_delay_alu instid0(VALU_DEP_4)
	v_mul_lo_u32 v11, s6, v3
	v_dual_mov_b32 v16, 12 :: v_dual_mov_b32 v17, 16
	s_waitcnt lgkmcnt(0)
	s_and_b32 s0, s15, 0xffff
	s_lshl_b32 s16, s16, 6
	v_mad_u32_u24 v4, v13, s0, v12
	s_mul_i32 s1, s7, s16
	s_mul_hi_u32 s15, s6, s16
	v_add3_u32 v7, v7, v11, v10
	v_dual_mov_b32 v18, 20 :: v_dual_mov_b32 v19, 24
	v_dual_mov_b32 v20, 28 :: v_dual_and_b32 v23, 31, v4
	s_delay_alu instid0(VALU_DEP_3) | instskip(SKIP_2) | instid1(VALU_DEP_4)
	v_lshlrev_b64 v[21:22], 3, v[6:7]
	v_mov_b32_e32 v4, 0
	v_mov_b32_e32 v5, 0
	v_add_co_u32 v2, vcc_lo, v2, v23
	v_add_co_ci_u32_e32 v3, vcc_lo, 0, v3, vcc_lo
	v_cmp_gt_u32_e64 s0, 8, v23
	s_mov_b32 s17, 0
	s_add_i32 s21, s15, s1
	s_delay_alu instid0(VALU_DEP_2) | instskip(SKIP_3) | instid1(VALU_DEP_1)
	v_lshlrev_b64 v[10:11], 3, v[2:3]
	s_mul_i32 s20, s6, s16
	s_lshl_b64 s[6:7], s[6:7], 3
	s_lshl_b64 s[20:21], s[20:21], 3
	v_add_co_u32 v6, vcc_lo, s18, v10
	s_delay_alu instid0(VALU_DEP_2)
	v_add_co_ci_u32_e32 v7, vcc_lo, s19, v11, vcc_lo
	v_add_co_u32 v0, vcc_lo, v21, v8
	v_add_co_ci_u32_e32 v21, vcc_lo, v22, v9, vcc_lo
	v_dual_mov_b32 v9, v5 :: v_dual_mov_b32 v8, v4
	s_lshl_b64 s[18:19], s[16:17], 3
	s_branch .LBB123_7
.LBB123_5:                              ;   in Loop: Header=BB123_7 Depth=1
	s_or_b32 exec_lo, exec_lo, s15
.LBB123_6:                              ;   in Loop: Header=BB123_7 Depth=1
	s_delay_alu instid0(SALU_CYCLE_1)
	s_or_b32 exec_lo, exec_lo, s1
	v_add_co_u32 v22, vcc_lo, s8, v0
	v_add_co_ci_u32_e32 v23, vcc_lo, s9, v21, vcc_lo
	v_add_co_u32 v24, vcc_lo, s10, v0
	v_add_co_ci_u32_e32 v25, vcc_lo, s11, v21, vcc_lo
	s_add_u32 s12, s12, s16
	global_load_b64 v[26:27], v[22:23], off
	global_load_b64 v[28:29], v[24:25], off
	v_add_co_u32 v22, vcc_lo, v22, s6
	v_add_co_ci_u32_e32 v23, vcc_lo, s7, v23, vcc_lo
	v_add_co_u32 v24, vcc_lo, v24, s6
	v_add_co_ci_u32_e32 v25, vcc_lo, s7, v25, vcc_lo
	global_load_b64 v[30:31], v[22:23], off
	global_load_b64 v[32:33], v[24:25], off
	v_add_co_u32 v22, vcc_lo, v22, s6
	v_add_co_ci_u32_e32 v23, vcc_lo, s7, v23, vcc_lo
	v_add_co_u32 v24, vcc_lo, v24, s6
	v_add_co_ci_u32_e32 v25, vcc_lo, s7, v25, vcc_lo
	;; [unrolled: 6-line block ×7, first 2 shown]
	global_load_b64 v[22:23], v[22:23], off
	global_load_b64 v[24:25], v[24:25], off
	v_add_co_u32 v6, vcc_lo, v6, s18
	v_add_co_ci_u32_e32 v7, vcc_lo, s19, v7, vcc_lo
	s_addc_u32 s13, s13, 0
	v_add_co_u32 v2, vcc_lo, v2, s16
	v_cmp_lt_i64_e64 s1, s[12:13], s[4:5]
	v_add_co_ci_u32_e32 v3, vcc_lo, 0, v3, vcc_lo
	v_add_co_u32 v0, vcc_lo, v0, s20
	v_add_co_ci_u32_e32 v21, vcc_lo, s21, v21, vcc_lo
	s_delay_alu instid0(VALU_DEP_4)
	s_and_b32 vcc_lo, exec_lo, s1
	s_waitcnt vmcnt(14)
	v_mul_f64 v[26:27], v[26:27], v[28:29]
	ds_bpermute_b32 v28, v1, v10
	ds_bpermute_b32 v29, v1, v11
	s_waitcnt vmcnt(12)
	v_mul_f64 v[30:31], v[30:31], v[32:33]
	s_waitcnt lgkmcnt(0)
	v_fma_f64 v[8:9], v[26:27], v[28:29], v[8:9]
	ds_bpermute_b32 v26, v15, v10
	ds_bpermute_b32 v27, v15, v11
	s_waitcnt vmcnt(10)
	v_mul_f64 v[28:29], v[34:35], v[36:37]
	s_waitcnt lgkmcnt(0)
	v_fma_f64 v[8:9], v[30:31], v[26:27], v[8:9]
	ds_bpermute_b32 v26, v14, v10
	ds_bpermute_b32 v27, v14, v11
	s_waitcnt vmcnt(8)
	v_mul_f64 v[30:31], v[38:39], v[40:41]
	s_waitcnt vmcnt(0)
	v_mul_f64 v[22:23], v[22:23], v[24:25]
	s_waitcnt lgkmcnt(0)
	v_fma_f64 v[8:9], v[28:29], v[26:27], v[8:9]
	ds_bpermute_b32 v26, v16, v10
	ds_bpermute_b32 v27, v16, v11
	v_mul_f64 v[28:29], v[42:43], v[44:45]
	s_waitcnt lgkmcnt(0)
	v_fma_f64 v[8:9], v[30:31], v[26:27], v[8:9]
	ds_bpermute_b32 v26, v17, v10
	ds_bpermute_b32 v27, v17, v11
	;; [unrolled: 5-line block ×4, first 2 shown]
	ds_bpermute_b32 v10, v20, v10
	ds_bpermute_b32 v11, v20, v11
	s_waitcnt lgkmcnt(2)
	v_fma_f64 v[8:9], v[28:29], v[26:27], v[8:9]
	s_waitcnt lgkmcnt(0)
	s_delay_alu instid0(VALU_DEP_1)
	v_fma_f64 v[8:9], v[22:23], v[10:11], v[8:9]
	s_cbranch_vccz .LBB123_10
.LBB123_7:                              ; =>This Inner Loop Header: Depth=1
	v_dual_mov_b32 v11, v5 :: v_dual_mov_b32 v10, v4
	s_and_saveexec_b32 s1, s0
	s_cbranch_execz .LBB123_6
; %bb.8:                                ;   in Loop: Header=BB123_7 Depth=1
	v_mov_b32_e32 v10, 0
	v_mov_b32_e32 v11, 0
	s_mov_b32 s15, exec_lo
	v_cmpx_gt_i64_e64 s[4:5], v[2:3]
	s_cbranch_execz .LBB123_5
; %bb.9:                                ;   in Loop: Header=BB123_7 Depth=1
	global_load_b64 v[10:11], v[6:7], off
	s_branch .LBB123_5
.LBB123_10:
	v_mov_b32_e32 v1, v13
.LBB123_11:
	s_delay_alu instid0(VALU_DEP_1) | instskip(SKIP_3) | instid1(VALU_DEP_2)
	v_mad_u32_u24 v3, 0x41, v1, v12
	v_mov_b32_e32 v2, 0
	s_mov_b32 s15, 0
	s_mov_b32 s0, exec_lo
	v_sub_nc_u32_e32 v0, v3, v1
	v_lshl_add_u32 v1, v3, 3, 0
	v_mov_b32_e32 v3, v2
	ds_store_b64 v1, v[8:9]
	ds_store_b64 v1, v[2:3] offset:4160
	s_waitcnt lgkmcnt(0)
	s_barrier
	buffer_gl0_inv
	v_cmpx_gt_u32_e32 0x800, v0
	s_cbranch_execz .LBB123_18
; %bb.12:
	v_mbcnt_lo_u32_b32 v2, -1, 0
	v_cmp_eq_u32_e64 s0, 0, v12
	s_cmp_lg_u64 s[2:3], 0
	v_lshrrev_b32_e32 v0, 5, v0
	s_cselect_b32 s1, -1, 0
	v_xor_b32_e32 v3, 4, v2
	v_xor_b32_e32 v4, 2, v2
	s_and_b32 s4, s0, s1
	v_xor_b32_e32 v5, 1, v2
	v_and_b32_e32 v1, 31, v12
	v_cmp_gt_i32_e64 s0, 32, v3
	v_lshlrev_b32_e32 v9, 3, v0
	v_add_nc_u32_e32 v8, -16, v0
	s_delay_alu instid0(VALU_DEP_4) | instskip(NEXT) | instid1(VALU_DEP_4)
	v_cmp_gt_u32_e32 vcc_lo, 8, v1
	v_cndmask_b32_e64 v3, v2, v3, s0
	v_cmp_gt_i32_e64 s0, 32, v4
	v_mul_u32_u24_e32 v1, 0x208, v1
	s_delay_alu instid0(VALU_DEP_2) | instskip(SKIP_2) | instid1(VALU_DEP_4)
	v_cndmask_b32_e64 v6, v2, v4, s0
	v_cmp_gt_i32_e64 s0, 32, v5
	v_lshlrev_b32_e32 v4, 2, v3
	v_add3_u32 v7, v1, v9, 0
	s_delay_alu instid0(VALU_DEP_3)
	v_cndmask_b32_e64 v2, v2, v5, s0
	s_lshl_b64 s[0:1], s[14:15], 9
	v_lshlrev_b32_e32 v5, 2, v6
	s_add_u32 s0, s2, s0
	s_addc_u32 s1, s3, s1
	v_add_co_u32 v0, s0, s0, v9
	v_lshlrev_b32_e32 v6, 2, v2
	v_add_co_ci_u32_e64 v1, null, s1, 0, s0
                                        ; implicit-def: $vgpr2_vgpr3
	s_set_inst_prefetch_distance 0x1
	s_branch .LBB123_14
	.p2align	6
.LBB123_13:                             ;   in Loop: Header=BB123_14 Depth=1
	s_or_b32 exec_lo, exec_lo, s0
	v_add_nc_u32_e32 v8, 16, v8
	v_add_co_u32 v0, s1, 0x80, v0
	v_add_nc_u32_e32 v7, 0x80, v7
	v_add_co_ci_u32_e64 v1, s1, 0, v1, s1
	s_delay_alu instid0(VALU_DEP_4) | instskip(NEXT) | instid1(VALU_DEP_1)
	v_cmp_lt_u32_e64 s0, 47, v8
	s_or_b32 s15, s0, s15
	s_delay_alu instid0(SALU_CYCLE_1)
	s_and_not1_b32 exec_lo, exec_lo, s15
	s_cbranch_execz .LBB123_18
.LBB123_14:                             ; =>This Inner Loop Header: Depth=1
	s_and_saveexec_b32 s0, vcc_lo
	s_cbranch_execz .LBB123_16
; %bb.15:                               ;   in Loop: Header=BB123_14 Depth=1
	ds_load_b64 v[2:3], v7
.LBB123_16:                             ;   in Loop: Header=BB123_14 Depth=1
	s_or_b32 exec_lo, exec_lo, s0
	s_waitcnt lgkmcnt(0)
	ds_bpermute_b32 v9, v4, v2
	ds_bpermute_b32 v10, v4, v3
	s_waitcnt lgkmcnt(0)
	v_add_f64 v[2:3], v[2:3], v[9:10]
	ds_bpermute_b32 v9, v5, v2
	ds_bpermute_b32 v10, v5, v3
	s_waitcnt lgkmcnt(0)
	v_add_f64 v[2:3], v[2:3], v[9:10]
	ds_bpermute_b32 v9, v6, v2
	ds_bpermute_b32 v10, v6, v3
	s_waitcnt lgkmcnt(0)
	v_add_f64 v[2:3], v[2:3], v[9:10]
	s_and_saveexec_b32 s0, s4
	s_cbranch_execz .LBB123_13
; %bb.17:                               ;   in Loop: Header=BB123_14 Depth=1
	global_store_b64 v[0:1], v[2:3], off
	s_branch .LBB123_13
.LBB123_18:
	s_set_inst_prefetch_distance 0x2
	s_nop 0
	s_sendmsg sendmsg(MSG_DEALLOC_VGPRS)
	s_endpgm
	.section	.rodata,"a",@progbits
	.p2align	6, 0x0
	.amdhsa_kernel _ZN2at6native12_GLOBAL__N_135GammaBetaBackwardCUDAKernelTemplateIddLj64ELj8ELj64ELb0ELb1ELb1EEEvllPKT_S5_PKT0_S8_PS3_S9_
		.amdhsa_group_segment_fixed_size 0
		.amdhsa_private_segment_fixed_size 0
		.amdhsa_kernarg_size 320
		.amdhsa_user_sgpr_count 14
		.amdhsa_user_sgpr_dispatch_ptr 0
		.amdhsa_user_sgpr_queue_ptr 0
		.amdhsa_user_sgpr_kernarg_segment_ptr 1
		.amdhsa_user_sgpr_dispatch_id 0
		.amdhsa_user_sgpr_private_segment_size 0
		.amdhsa_wavefront_size32 1
		.amdhsa_uses_dynamic_stack 0
		.amdhsa_enable_private_segment 0
		.amdhsa_system_sgpr_workgroup_id_x 1
		.amdhsa_system_sgpr_workgroup_id_y 1
		.amdhsa_system_sgpr_workgroup_id_z 0
		.amdhsa_system_sgpr_workgroup_info 0
		.amdhsa_system_vgpr_workitem_id 1
		.amdhsa_next_free_vgpr 54
		.amdhsa_next_free_sgpr 22
		.amdhsa_reserve_vcc 1
		.amdhsa_float_round_mode_32 0
		.amdhsa_float_round_mode_16_64 0
		.amdhsa_float_denorm_mode_32 3
		.amdhsa_float_denorm_mode_16_64 3
		.amdhsa_dx10_clamp 1
		.amdhsa_ieee_mode 1
		.amdhsa_fp16_overflow 0
		.amdhsa_workgroup_processor_mode 1
		.amdhsa_memory_ordered 1
		.amdhsa_forward_progress 0
		.amdhsa_shared_vgpr_count 0
		.amdhsa_exception_fp_ieee_invalid_op 0
		.amdhsa_exception_fp_denorm_src 0
		.amdhsa_exception_fp_ieee_div_zero 0
		.amdhsa_exception_fp_ieee_overflow 0
		.amdhsa_exception_fp_ieee_underflow 0
		.amdhsa_exception_fp_ieee_inexact 0
		.amdhsa_exception_int_div_zero 0
	.end_amdhsa_kernel
	.section	.text._ZN2at6native12_GLOBAL__N_135GammaBetaBackwardCUDAKernelTemplateIddLj64ELj8ELj64ELb0ELb1ELb1EEEvllPKT_S5_PKT0_S8_PS3_S9_,"axG",@progbits,_ZN2at6native12_GLOBAL__N_135GammaBetaBackwardCUDAKernelTemplateIddLj64ELj8ELj64ELb0ELb1ELb1EEEvllPKT_S5_PKT0_S8_PS3_S9_,comdat
.Lfunc_end123:
	.size	_ZN2at6native12_GLOBAL__N_135GammaBetaBackwardCUDAKernelTemplateIddLj64ELj8ELj64ELb0ELb1ELb1EEEvllPKT_S5_PKT0_S8_PS3_S9_, .Lfunc_end123-_ZN2at6native12_GLOBAL__N_135GammaBetaBackwardCUDAKernelTemplateIddLj64ELj8ELj64ELb0ELb1ELb1EEEvllPKT_S5_PKT0_S8_PS3_S9_
                                        ; -- End function
	.section	.AMDGPU.csdata,"",@progbits
; Kernel info:
; codeLenInByte = 1648
; NumSgprs: 24
; NumVgprs: 54
; ScratchSize: 0
; MemoryBound: 0
; FloatMode: 240
; IeeeMode: 1
; LDSByteSize: 0 bytes/workgroup (compile time only)
; SGPRBlocks: 2
; VGPRBlocks: 6
; NumSGPRsForWavesPerEU: 24
; NumVGPRsForWavesPerEU: 54
; Occupancy: 16
; WaveLimiterHint : 0
; COMPUTE_PGM_RSRC2:SCRATCH_EN: 0
; COMPUTE_PGM_RSRC2:USER_SGPR: 14
; COMPUTE_PGM_RSRC2:TRAP_HANDLER: 0
; COMPUTE_PGM_RSRC2:TGID_X_EN: 1
; COMPUTE_PGM_RSRC2:TGID_Y_EN: 1
; COMPUTE_PGM_RSRC2:TGID_Z_EN: 0
; COMPUTE_PGM_RSRC2:TIDIG_COMP_CNT: 1
	.section	.text._ZN2at6native12_GLOBAL__N_135GammaBetaBackwardCUDAKernelTemplateIddLj64ELj8ELj64ELb0ELb0ELb1EEEvllPKT_S5_PKT0_S8_PS3_S9_,"axG",@progbits,_ZN2at6native12_GLOBAL__N_135GammaBetaBackwardCUDAKernelTemplateIddLj64ELj8ELj64ELb0ELb0ELb1EEEvllPKT_S5_PKT0_S8_PS3_S9_,comdat
	.globl	_ZN2at6native12_GLOBAL__N_135GammaBetaBackwardCUDAKernelTemplateIddLj64ELj8ELj64ELb0ELb0ELb1EEEvllPKT_S5_PKT0_S8_PS3_S9_ ; -- Begin function _ZN2at6native12_GLOBAL__N_135GammaBetaBackwardCUDAKernelTemplateIddLj64ELj8ELj64ELb0ELb0ELb1EEEvllPKT_S5_PKT0_S8_PS3_S9_
	.p2align	8
	.type	_ZN2at6native12_GLOBAL__N_135GammaBetaBackwardCUDAKernelTemplateIddLj64ELj8ELj64ELb0ELb0ELb1EEEvllPKT_S5_PKT0_S8_PS3_S9_,@function
_ZN2at6native12_GLOBAL__N_135GammaBetaBackwardCUDAKernelTemplateIddLj64ELj8ELj64ELb0ELb0ELb1EEEvllPKT_S5_PKT0_S8_PS3_S9_: ; @_ZN2at6native12_GLOBAL__N_135GammaBetaBackwardCUDAKernelTemplateIddLj64ELj8ELj64ELb0ELb0ELb1EEEvllPKT_S5_PKT0_S8_PS3_S9_
; %bb.0:
	s_clause 0x1
	s_load_b256 s[4:11], s[0:1], 0x0
	s_load_b64 s[12:13], s[0:1], 0x28
	s_lshl_b32 s33, s14, 6
	s_mov_b32 s35, 0
	s_or_b32 s34, s33, 63
	s_waitcnt lgkmcnt(0)
	v_cmp_ge_i64_e64 s2, s[34:35], s[6:7]
	s_lshl_b32 s34, s15, 6
	s_delay_alu instid0(SALU_CYCLE_1) | instskip(NEXT) | instid1(VALU_DEP_2)
	v_cmp_lt_i64_e64 s15, s[34:35], s[4:5]
	s_and_b32 vcc_lo, exec_lo, s2
	s_delay_alu instid0(VALU_DEP_1) | instskip(NEXT) | instid1(VALU_DEP_1)
	v_cndmask_b32_e64 v1, 0, 1, s15
	v_cmp_ne_u32_e64 s2, 1, v1
	s_cbranch_vccz .LBB124_48
; %bb.1:
	v_mov_b32_e32 v51, 0
	v_mov_b32_e32 v52, 0
	s_delay_alu instid0(VALU_DEP_3)
	s_and_b32 vcc_lo, exec_lo, s2
	s_cbranch_vccnz .LBB124_49
; %bb.2:
	v_bfe_u32 v55, v0, 10, 10
	s_load_b32 s3, s[0:1], 0x44
	v_and_b32_e32 v57, 0x3ff, v0
	v_mov_b32_e32 v51, 0
	v_mov_b32_e32 v52, 0
	v_dual_mov_b32 v3, 0 :: v_dual_lshlrev_b32 v56, 3, v55
	s_delay_alu instid0(VALU_DEP_4) | instskip(SKIP_2) | instid1(VALU_DEP_2)
	v_add_nc_u32_e32 v2, s33, v57
	s_add_u32 s36, s0, 64
	s_addc_u32 s37, s1, 0
	v_add_co_u32 v8, s2, v56, s34
	s_delay_alu instid0(VALU_DEP_1) | instskip(SKIP_1) | instid1(VALU_DEP_3)
	v_add_co_ci_u32_e64 v9, null, 0, 0, s2
	v_cmp_gt_i64_e64 s2, s[6:7], v[2:3]
	v_add_co_u32 v1, vcc_lo, v8, 7
	s_delay_alu instid0(VALU_DEP_3) | instskip(SKIP_1) | instid1(VALU_DEP_3)
	v_add_co_ci_u32_e32 v4, vcc_lo, 0, v9, vcc_lo
	v_add_co_u32 v10, vcc_lo, v8, 6
	v_mul_lo_u32 v6, s7, v1
	s_delay_alu instid0(VALU_DEP_3)
	v_mul_lo_u32 v7, s6, v4
	v_mad_u64_u32 v[4:5], null, s6, v1, 0
	v_add_co_ci_u32_e32 v1, vcc_lo, 0, v9, vcc_lo
	v_lshlrev_b64 v[49:50], 3, v[2:3]
	s_waitcnt lgkmcnt(0)
	s_lshl_b32 s44, s3, 6
	s_mov_b32 s16, 0
	s_mul_i32 s3, s7, s44
	s_delay_alu instid0(VALU_DEP_3) | instskip(SKIP_3) | instid1(VALU_DEP_4)
	v_add3_u32 v5, v5, v7, v6
	v_mul_lo_u32 v6, s7, v10
	v_mul_lo_u32 v7, s6, v1
	v_mad_u64_u32 v[1:2], null, s6, v10, 0
	v_lshlrev_b64 v[4:5], 3, v[4:5]
	s_mul_hi_u32 s17, s6, s44
	s_mul_i32 s18, s6, s44
	s_add_i32 s19, s17, s3
	s_mov_b64 s[42:43], s[34:35]
	s_lshl_b64 s[38:39], s[18:19], 3
	v_add_co_u32 v58, vcc_lo, s8, v4
	v_add_co_ci_u32_e32 v59, vcc_lo, s9, v5, vcc_lo
	v_add3_u32 v2, v2, v7, v6
	v_add_co_u32 v6, vcc_lo, v8, 5
	v_add_co_u32 v60, s3, s10, v4
	v_add_co_ci_u32_e32 v4, vcc_lo, 0, v9, vcc_lo
	v_add_co_u32 v11, vcc_lo, v8, 4
	v_add_co_ci_u32_e64 v61, s3, s11, v5, s3
	v_mul_lo_u32 v10, s7, v6
	s_delay_alu instid0(VALU_DEP_4)
	v_mul_lo_u32 v12, s6, v4
	v_mad_u64_u32 v[4:5], null, s6, v6, 0
	v_add_co_ci_u32_e32 v7, vcc_lo, 0, v9, vcc_lo
	v_lshlrev_b64 v[1:2], 3, v[1:2]
	v_mul_lo_u32 v13, s7, v11
	s_add_u32 s40, s34, 63
	s_delay_alu instid0(VALU_DEP_3) | instskip(SKIP_1) | instid1(VALU_DEP_4)
	v_mul_lo_u32 v14, s6, v7
	v_mad_u64_u32 v[6:7], null, s6, v11, 0
	v_add_co_u32 v62, vcc_lo, s8, v1
	v_add3_u32 v5, v5, v12, v10
	v_add_co_ci_u32_e32 v63, vcc_lo, s9, v2, vcc_lo
	v_add_co_u32 v64, vcc_lo, s10, v1
	v_add_co_ci_u32_e32 v65, vcc_lo, s11, v2, vcc_lo
	s_delay_alu instid0(VALU_DEP_4) | instskip(SKIP_3) | instid1(VALU_DEP_4)
	v_lshlrev_b64 v[1:2], 3, v[4:5]
	v_add3_u32 v7, v7, v14, v13
	v_add_co_u32 v10, vcc_lo, v8, 3
	v_add_co_ci_u32_e32 v11, vcc_lo, 0, v9, vcc_lo
	v_add_co_u32 v66, vcc_lo, s8, v1
	s_delay_alu instid0(VALU_DEP_4)
	v_lshlrev_b64 v[4:5], 3, v[6:7]
	v_add_co_ci_u32_e32 v67, vcc_lo, s9, v2, vcc_lo
	v_mul_lo_u32 v12, s7, v10
	v_mul_lo_u32 v11, s6, v11
	v_mad_u64_u32 v[6:7], null, s6, v10, 0
	v_add_co_u32 v68, vcc_lo, s10, v1
	v_add_co_ci_u32_e32 v69, vcc_lo, s11, v2, vcc_lo
	v_add_co_u32 v70, vcc_lo, s8, v4
	v_add_co_ci_u32_e32 v71, vcc_lo, s9, v5, vcc_lo
	v_add_co_u32 v10, vcc_lo, v8, 2
	v_add3_u32 v7, v7, v11, v12
	v_add_co_ci_u32_e32 v11, vcc_lo, 0, v9, vcc_lo
	v_add_co_u32 v72, vcc_lo, s10, v4
	v_add_co_ci_u32_e32 v73, vcc_lo, s11, v5, vcc_lo
	v_mul_lo_u32 v12, s7, v10
	s_delay_alu instid0(VALU_DEP_4)
	v_mul_lo_u32 v11, s6, v11
	v_mad_u64_u32 v[4:5], null, s6, v10, 0
	v_lshlrev_b64 v[1:2], 3, v[6:7]
	v_mul_lo_u32 v10, s7, v8
	v_mul_lo_u32 v9, s6, v9
	v_mad_u64_u32 v[6:7], null, s6, v8, 0
	s_addc_u32 s41, 0, 0
	s_delay_alu instid0(VALU_DEP_4)
	v_add_co_u32 v74, vcc_lo, s8, v1
	v_add3_u32 v5, v5, v11, v12
	v_add_co_ci_u32_e32 v75, vcc_lo, s9, v2, vcc_lo
	v_add_co_u32 v76, vcc_lo, s10, v1
	v_add3_u32 v7, v7, v9, v10
	v_add_co_ci_u32_e32 v77, vcc_lo, s11, v2, vcc_lo
	v_lshlrev_b64 v[1:2], 3, v[4:5]
	v_add_co_u32 v4, vcc_lo, v6, s6
	s_delay_alu instid0(VALU_DEP_4) | instskip(NEXT) | instid1(VALU_DEP_3)
	v_add_co_ci_u32_e32 v5, vcc_lo, s7, v7, vcc_lo
	v_add_co_u32 v78, vcc_lo, s8, v1
	s_delay_alu instid0(VALU_DEP_2) | instskip(SKIP_3) | instid1(VALU_DEP_4)
	v_lshlrev_b64 v[4:5], 3, v[4:5]
	v_add_co_ci_u32_e32 v79, vcc_lo, s9, v2, vcc_lo
	v_add_co_u32 v80, vcc_lo, s10, v1
	v_add_co_ci_u32_e32 v81, vcc_lo, s11, v2, vcc_lo
	v_add_co_u32 v82, vcc_lo, s8, v4
	v_lshlrev_b64 v[1:2], 3, v[6:7]
	v_add_co_ci_u32_e32 v83, vcc_lo, s9, v5, vcc_lo
	v_add_co_u32 v84, vcc_lo, s10, v4
	v_add_co_ci_u32_e32 v85, vcc_lo, s11, v5, vcc_lo
	s_delay_alu instid0(VALU_DEP_4)
	v_add_co_u32 v86, vcc_lo, s8, v1
	v_add_co_ci_u32_e32 v87, vcc_lo, s9, v2, vcc_lo
	v_add_co_u32 v88, vcc_lo, s10, v1
	v_add_co_ci_u32_e32 v89, vcc_lo, s11, v2, vcc_lo
	s_branch .LBB124_5
.LBB124_3:                              ;   in Loop: Header=BB124_5 Depth=1
	s_or_b32 exec_lo, exec_lo, s3
	s_waitcnt vmcnt(0)
	v_mul_f64 v[1:2], v[17:18], v[33:34]
	ds_bpermute_b32 v4, v3, v53
	ds_bpermute_b32 v5, v3, v54
	v_mul_f64 v[6:7], v[19:20], v[35:36]
	v_mul_f64 v[8:9], v[21:22], v[37:38]
	s_waitcnt lgkmcnt(0)
	v_fma_f64 v[1:2], v[1:2], v[4:5], v[51:52]
	ds_bpermute_b32 v4, v3, v53 offset:4
	ds_bpermute_b32 v5, v3, v54 offset:4
	s_waitcnt lgkmcnt(0)
	v_fma_f64 v[1:2], v[6:7], v[4:5], v[1:2]
	ds_bpermute_b32 v4, v3, v53 offset:8
	ds_bpermute_b32 v5, v3, v54 offset:8
	v_mul_f64 v[6:7], v[23:24], v[39:40]
	s_waitcnt lgkmcnt(0)
	v_fma_f64 v[1:2], v[8:9], v[4:5], v[1:2]
	ds_bpermute_b32 v4, v3, v53 offset:12
	ds_bpermute_b32 v5, v3, v54 offset:12
	v_mul_f64 v[8:9], v[25:26], v[41:42]
	;; [unrolled: 5-line block ×3, first 2 shown]
	s_waitcnt lgkmcnt(0)
	v_fma_f64 v[1:2], v[8:9], v[4:5], v[1:2]
	ds_bpermute_b32 v4, v3, v53 offset:20
	ds_bpermute_b32 v5, v3, v54 offset:20
	s_waitcnt lgkmcnt(0)
	v_fma_f64 v[1:2], v[6:7], v[4:5], v[1:2]
	v_mul_f64 v[4:5], v[29:30], v[45:46]
	ds_bpermute_b32 v6, v3, v53 offset:24
	ds_bpermute_b32 v7, v3, v54 offset:24
	s_waitcnt lgkmcnt(0)
	v_fma_f64 v[1:2], v[4:5], v[6:7], v[1:2]
	ds_bpermute_b32 v4, v3, v53 offset:28
	ds_bpermute_b32 v5, v3, v54 offset:28
.LBB124_4:                              ;   in Loop: Header=BB124_5 Depth=1
	v_mul_f64 v[6:7], v[47:48], v[31:32]
	v_add_co_u32 v58, vcc_lo, v58, s38
	v_add_co_ci_u32_e32 v59, vcc_lo, s39, v59, vcc_lo
	v_add_co_u32 v60, vcc_lo, v60, s38
	v_add_co_ci_u32_e32 v61, vcc_lo, s39, v61, vcc_lo
	;; [unrolled: 2-line block ×9, first 2 shown]
	v_add_co_u32 v76, vcc_lo, v76, s38
	s_waitcnt lgkmcnt(0)
	v_fma_f64 v[51:52], v[6:7], v[4:5], v[1:2]
	v_add_co_ci_u32_e32 v77, vcc_lo, s39, v77, vcc_lo
	v_add_co_u32 v78, vcc_lo, v78, s38
	v_add_co_ci_u32_e32 v79, vcc_lo, s39, v79, vcc_lo
	v_add_co_u32 v80, vcc_lo, v80, s38
	;; [unrolled: 2-line block ×4, first 2 shown]
	s_add_u32 s42, s42, s44
	v_add_co_ci_u32_e32 v85, vcc_lo, s39, v85, vcc_lo
	s_addc_u32 s43, s43, 0
	v_add_co_u32 v86, vcc_lo, v86, s38
	v_cmp_lt_i64_e64 s3, s[42:43], s[4:5]
	v_add_co_ci_u32_e32 v87, vcc_lo, s39, v87, vcc_lo
	v_add_co_u32 v88, vcc_lo, v88, s38
	v_add_co_ci_u32_e32 v89, vcc_lo, s39, v89, vcc_lo
	s_add_u32 s40, s40, s44
	s_addc_u32 s41, s41, 0
	s_and_b32 vcc_lo, exec_lo, s3
	s_cbranch_vccz .LBB124_49
.LBB124_5:                              ; =>This Inner Loop Header: Depth=1
	v_cmp_ge_i64_e64 s3, s[40:41], s[4:5]
	v_add_co_u32 v90, s17, v56, s40
	s_delay_alu instid0(VALU_DEP_1) | instskip(NEXT) | instid1(VALU_DEP_3)
	v_add_co_ci_u32_e64 v91, null, 0, s41, s17
	s_and_b32 vcc_lo, exec_lo, s3
	s_cbranch_vccz .LBB124_27
; %bb.6:                                ;   in Loop: Header=BB124_5 Depth=1
	s_load_b32 s3, s[36:37], 0xc
	v_mov_b32_e32 v53, 0
	v_mov_b32_e32 v54, 0
	s_waitcnt lgkmcnt(0)
	s_and_b32 s3, s3, 0xffff
	s_delay_alu instid0(SALU_CYCLE_1) | instskip(SKIP_1) | instid1(VALU_DEP_1)
	v_mad_u32_u24 v1, v55, s3, v57
	s_mov_b32 s3, exec_lo
	v_and_b32_e32 v1, 31, v1
	s_delay_alu instid0(VALU_DEP_1)
	v_cmpx_gt_u32_e32 8, v1
	s_cbranch_execz .LBB124_10
; %bb.7:                                ;   in Loop: Header=BB124_5 Depth=1
	v_add_co_u32 v1, vcc_lo, v90, v1
	v_add_co_ci_u32_e32 v2, vcc_lo, 0, v91, vcc_lo
	v_mov_b32_e32 v53, 0
	s_delay_alu instid0(VALU_DEP_3) | instskip(NEXT) | instid1(VALU_DEP_3)
	v_add_co_u32 v1, vcc_lo, 0xffffffc1, v1
	v_add_co_ci_u32_e32 v2, vcc_lo, -1, v2, vcc_lo
	v_mov_b32_e32 v54, 0
	s_mov_b32 s17, exec_lo
	s_delay_alu instid0(VALU_DEP_2)
	v_cmpx_gt_i64_e64 s[4:5], v[1:2]
	s_cbranch_execz .LBB124_9
; %bb.8:                                ;   in Loop: Header=BB124_5 Depth=1
	v_lshlrev_b64 v[1:2], 3, v[1:2]
	s_delay_alu instid0(VALU_DEP_1) | instskip(NEXT) | instid1(VALU_DEP_2)
	v_add_co_u32 v1, vcc_lo, s12, v1
	v_add_co_ci_u32_e32 v2, vcc_lo, s13, v2, vcc_lo
	global_load_b64 v[53:54], v[1:2], off
.LBB124_9:                              ;   in Loop: Header=BB124_5 Depth=1
	s_or_b32 exec_lo, exec_lo, s17
.LBB124_10:                             ;   in Loop: Header=BB124_5 Depth=1
	s_delay_alu instid0(SALU_CYCLE_1)
	s_or_b32 exec_lo, exec_lo, s3
	v_add_co_u32 v1, vcc_lo, 0xffffffc1, v90
	s_mov_b32 s31, s16
	v_add_co_ci_u32_e32 v2, vcc_lo, -1, v91, vcc_lo
	s_mov_b32 s17, s16
	s_mov_b32 s18, s16
	;; [unrolled: 1-line block ×14, first 2 shown]
	s_delay_alu instid0(SALU_CYCLE_1)
	v_dual_mov_b32 v32, s31 :: v_dual_mov_b32 v31, s30
	v_dual_mov_b32 v30, s29 :: v_dual_mov_b32 v29, s28
	;; [unrolled: 1-line block ×8, first 2 shown]
	v_cmp_gt_i64_e32 vcc_lo, s[4:5], v[1:2]
	v_dual_mov_b32 v48, v32 :: v_dual_mov_b32 v47, v31
	v_dual_mov_b32 v46, v30 :: v_dual_mov_b32 v45, v29
	;; [unrolled: 1-line block ×8, first 2 shown]
	s_and_b32 s17, s2, vcc_lo
	s_delay_alu instid0(SALU_CYCLE_1)
	s_and_saveexec_b32 s3, s17
	s_cbranch_execz .LBB124_12
; %bb.11:                               ;   in Loop: Header=BB124_5 Depth=1
	v_add_co_u32 v1, vcc_lo, v86, v49
	v_add_co_ci_u32_e32 v2, vcc_lo, v87, v50, vcc_lo
	v_add_co_u32 v4, vcc_lo, v88, v49
	v_add_co_ci_u32_e32 v5, vcc_lo, v89, v50, vcc_lo
	global_load_b64 v[1:2], v[1:2], off
	v_mov_b32_e32 v16, v3
	v_mov_b32_e32 v6, v3
	global_load_b64 v[17:18], v[4:5], off
	v_mov_b32_e32 v4, v3
	v_mov_b32_e32 v5, v3
	v_mov_b32_e32 v7, v3
	v_mov_b32_e32 v8, v3
	v_mov_b32_e32 v9, v3
	v_mov_b32_e32 v10, v3
	v_mov_b32_e32 v11, v3
	v_mov_b32_e32 v12, v3
	v_mov_b32_e32 v13, v3
	v_mov_b32_e32 v14, v3
	v_mov_b32_e32 v15, v3
	s_waitcnt vmcnt(1)
	v_dual_mov_b32 v19, v3 :: v_dual_mov_b32 v48, v16
	v_dual_mov_b32 v20, v3 :: v_dual_mov_b32 v45, v13
	;; [unrolled: 1-line block ×7, first 2 shown]
	v_mov_b32_e32 v26, v3
	v_dual_mov_b32 v27, v3 :: v_dual_mov_b32 v40, v8
	v_mov_b32_e32 v28, v3
	v_dual_mov_b32 v29, v3 :: v_dual_mov_b32 v38, v6
	;; [unrolled: 2-line block ×3, first 2 shown]
	v_mov_b32_e32 v47, v15
	v_mov_b32_e32 v43, v11
	;; [unrolled: 1-line block ×5, first 2 shown]
	v_dual_mov_b32 v34, v2 :: v_dual_mov_b32 v33, v1
.LBB124_12:                             ;   in Loop: Header=BB124_5 Depth=1
	s_or_b32 exec_lo, exec_lo, s3
	v_add_co_u32 v1, vcc_lo, 0xffffffc2, v90
	v_add_co_ci_u32_e32 v2, vcc_lo, -1, v91, vcc_lo
	s_delay_alu instid0(VALU_DEP_1) | instskip(SKIP_1) | instid1(SALU_CYCLE_1)
	v_cmp_gt_i64_e32 vcc_lo, s[4:5], v[1:2]
	s_and_b32 s17, s2, vcc_lo
	s_and_saveexec_b32 s3, s17
	s_cbranch_execz .LBB124_14
; %bb.13:                               ;   in Loop: Header=BB124_5 Depth=1
	v_add_co_u32 v1, vcc_lo, v82, v49
	v_add_co_ci_u32_e32 v2, vcc_lo, v83, v50, vcc_lo
	v_add_co_u32 v4, vcc_lo, v84, v49
	v_add_co_ci_u32_e32 v5, vcc_lo, v85, v50, vcc_lo
	global_load_b64 v[35:36], v[1:2], off
	global_load_b64 v[19:20], v[4:5], off
.LBB124_14:                             ;   in Loop: Header=BB124_5 Depth=1
	s_or_b32 exec_lo, exec_lo, s3
	v_add_co_u32 v1, vcc_lo, 0xffffffc3, v90
	v_add_co_ci_u32_e32 v2, vcc_lo, -1, v91, vcc_lo
	s_delay_alu instid0(VALU_DEP_1) | instskip(SKIP_1) | instid1(SALU_CYCLE_1)
	v_cmp_gt_i64_e32 vcc_lo, s[4:5], v[1:2]
	s_and_b32 s17, s2, vcc_lo
	s_and_saveexec_b32 s3, s17
	s_cbranch_execz .LBB124_16
; %bb.15:                               ;   in Loop: Header=BB124_5 Depth=1
	v_add_co_u32 v1, vcc_lo, v78, v49
	v_add_co_ci_u32_e32 v2, vcc_lo, v79, v50, vcc_lo
	v_add_co_u32 v4, vcc_lo, v80, v49
	v_add_co_ci_u32_e32 v5, vcc_lo, v81, v50, vcc_lo
	global_load_b64 v[37:38], v[1:2], off
	global_load_b64 v[21:22], v[4:5], off
.LBB124_16:                             ;   in Loop: Header=BB124_5 Depth=1
	;; [unrolled: 16-line block ×7, first 2 shown]
	s_or_b32 exec_lo, exec_lo, s3
	s_waitcnt vmcnt(0)
	v_mul_f64 v[1:2], v[17:18], v[33:34]
	ds_bpermute_b32 v4, v3, v53
	ds_bpermute_b32 v5, v3, v54
	v_mul_f64 v[6:7], v[19:20], v[35:36]
	v_mul_f64 v[8:9], v[21:22], v[37:38]
	s_waitcnt lgkmcnt(0)
	v_fma_f64 v[1:2], v[1:2], v[4:5], v[51:52]
	ds_bpermute_b32 v4, v3, v53 offset:4
	ds_bpermute_b32 v5, v3, v54 offset:4
	s_waitcnt lgkmcnt(0)
	v_fma_f64 v[1:2], v[6:7], v[4:5], v[1:2]
	ds_bpermute_b32 v4, v3, v53 offset:8
	ds_bpermute_b32 v5, v3, v54 offset:8
	v_mul_f64 v[6:7], v[23:24], v[39:40]
	s_waitcnt lgkmcnt(0)
	v_fma_f64 v[1:2], v[8:9], v[4:5], v[1:2]
	ds_bpermute_b32 v4, v3, v53 offset:12
	ds_bpermute_b32 v5, v3, v54 offset:12
	v_mul_f64 v[8:9], v[25:26], v[41:42]
	;; [unrolled: 5-line block ×3, first 2 shown]
	s_waitcnt lgkmcnt(0)
	v_fma_f64 v[1:2], v[8:9], v[4:5], v[1:2]
	ds_bpermute_b32 v4, v3, v53 offset:20
	ds_bpermute_b32 v5, v3, v54 offset:20
	s_waitcnt lgkmcnt(0)
	v_fma_f64 v[1:2], v[6:7], v[4:5], v[1:2]
	v_mul_f64 v[4:5], v[29:30], v[45:46]
	ds_bpermute_b32 v6, v3, v53 offset:24
	ds_bpermute_b32 v7, v3, v54 offset:24
	s_waitcnt lgkmcnt(0)
	v_fma_f64 v[1:2], v[4:5], v[6:7], v[1:2]
	ds_bpermute_b32 v4, v3, v53 offset:28
	ds_bpermute_b32 v5, v3, v54 offset:28
	s_branch .LBB124_4
.LBB124_27:                             ;   in Loop: Header=BB124_5 Depth=1
                                        ; implicit-def: $vgpr1_vgpr2
                                        ; implicit-def: $vgpr17_vgpr18_vgpr19_vgpr20_vgpr21_vgpr22_vgpr23_vgpr24_vgpr25_vgpr26_vgpr27_vgpr28_vgpr29_vgpr30_vgpr31_vgpr32
                                        ; implicit-def: $vgpr33_vgpr34_vgpr35_vgpr36_vgpr37_vgpr38_vgpr39_vgpr40_vgpr41_vgpr42_vgpr43_vgpr44_vgpr45_vgpr46_vgpr47_vgpr48
                                        ; implicit-def: $vgpr4
	s_cbranch_execz .LBB124_4
; %bb.28:                               ;   in Loop: Header=BB124_5 Depth=1
	s_load_b32 s3, s[36:37], 0x0
	v_mov_b32_e32 v53, 0
	v_mov_b32_e32 v54, 0
	s_waitcnt lgkmcnt(0)
	s_cmp_lt_u32 s14, s3
	s_cselect_b32 s3, 12, 18
	s_delay_alu instid0(SALU_CYCLE_1)
	s_add_u32 s18, s36, s3
	s_addc_u32 s19, s37, 0
	s_mov_b32 s3, exec_lo
	global_load_u16 v1, v3, s[18:19]
	s_waitcnt vmcnt(0)
	v_mad_u32_u24 v1, v55, v1, v57
	s_delay_alu instid0(VALU_DEP_1) | instskip(NEXT) | instid1(VALU_DEP_1)
	v_and_b32_e32 v1, 31, v1
	v_cmpx_gt_u32_e32 8, v1
	s_cbranch_execz .LBB124_32
; %bb.29:                               ;   in Loop: Header=BB124_5 Depth=1
	v_add_co_u32 v1, vcc_lo, v90, v1
	v_add_co_ci_u32_e32 v2, vcc_lo, 0, v91, vcc_lo
	v_mov_b32_e32 v53, 0
	s_delay_alu instid0(VALU_DEP_3) | instskip(NEXT) | instid1(VALU_DEP_3)
	v_add_co_u32 v1, vcc_lo, 0xffffffc1, v1
	v_add_co_ci_u32_e32 v2, vcc_lo, -1, v2, vcc_lo
	v_mov_b32_e32 v54, 0
	s_mov_b32 s17, exec_lo
	s_delay_alu instid0(VALU_DEP_2)
	v_cmpx_gt_i64_e64 s[4:5], v[1:2]
	s_cbranch_execz .LBB124_31
; %bb.30:                               ;   in Loop: Header=BB124_5 Depth=1
	v_lshlrev_b64 v[1:2], 3, v[1:2]
	s_delay_alu instid0(VALU_DEP_1) | instskip(NEXT) | instid1(VALU_DEP_2)
	v_add_co_u32 v1, vcc_lo, s12, v1
	v_add_co_ci_u32_e32 v2, vcc_lo, s13, v2, vcc_lo
	global_load_b64 v[53:54], v[1:2], off
.LBB124_31:                             ;   in Loop: Header=BB124_5 Depth=1
	s_or_b32 exec_lo, exec_lo, s17
.LBB124_32:                             ;   in Loop: Header=BB124_5 Depth=1
	s_delay_alu instid0(SALU_CYCLE_1)
	s_or_b32 exec_lo, exec_lo, s3
	s_mov_b32 s31, s16
	s_mov_b32 s17, s16
	;; [unrolled: 1-line block ×15, first 2 shown]
	s_delay_alu instid0(SALU_CYCLE_1)
	v_dual_mov_b32 v32, s31 :: v_dual_mov_b32 v31, s30
	v_dual_mov_b32 v30, s29 :: v_dual_mov_b32 v29, s28
	;; [unrolled: 1-line block ×16, first 2 shown]
	s_and_saveexec_b32 s3, s2
	s_cbranch_execnz .LBB124_40
; %bb.33:                               ;   in Loop: Header=BB124_5 Depth=1
	s_or_b32 exec_lo, exec_lo, s3
	s_and_saveexec_b32 s3, s2
	s_cbranch_execnz .LBB124_41
.LBB124_34:                             ;   in Loop: Header=BB124_5 Depth=1
	s_or_b32 exec_lo, exec_lo, s3
	s_and_saveexec_b32 s3, s2
	s_cbranch_execnz .LBB124_42
.LBB124_35:                             ;   in Loop: Header=BB124_5 Depth=1
	s_or_b32 exec_lo, exec_lo, s3
	s_and_saveexec_b32 s3, s2
	s_cbranch_execnz .LBB124_43
.LBB124_36:                             ;   in Loop: Header=BB124_5 Depth=1
	s_or_b32 exec_lo, exec_lo, s3
	s_and_saveexec_b32 s3, s2
	s_cbranch_execnz .LBB124_44
.LBB124_37:                             ;   in Loop: Header=BB124_5 Depth=1
	s_or_b32 exec_lo, exec_lo, s3
	s_and_saveexec_b32 s3, s2
	s_cbranch_execnz .LBB124_45
.LBB124_38:                             ;   in Loop: Header=BB124_5 Depth=1
	s_or_b32 exec_lo, exec_lo, s3
	s_and_saveexec_b32 s3, s2
	s_cbranch_execnz .LBB124_46
.LBB124_39:                             ;   in Loop: Header=BB124_5 Depth=1
	s_or_b32 exec_lo, exec_lo, s3
	s_and_saveexec_b32 s3, s2
	s_cbranch_execz .LBB124_3
	s_branch .LBB124_47
.LBB124_40:                             ;   in Loop: Header=BB124_5 Depth=1
	v_add_co_u32 v1, vcc_lo, v86, v49
	v_add_co_ci_u32_e32 v2, vcc_lo, v87, v50, vcc_lo
	v_add_co_u32 v4, vcc_lo, v88, v49
	v_add_co_ci_u32_e32 v5, vcc_lo, v89, v50, vcc_lo
	global_load_b64 v[1:2], v[1:2], off
	v_mov_b32_e32 v16, v3
	v_mov_b32_e32 v6, v3
	global_load_b64 v[17:18], v[4:5], off
	v_mov_b32_e32 v4, v3
	v_mov_b32_e32 v5, v3
	;; [unrolled: 1-line block ×11, first 2 shown]
	s_waitcnt vmcnt(1)
	v_dual_mov_b32 v19, v3 :: v_dual_mov_b32 v48, v16
	v_dual_mov_b32 v20, v3 :: v_dual_mov_b32 v45, v13
	;; [unrolled: 1-line block ×7, first 2 shown]
	v_mov_b32_e32 v26, v3
	v_dual_mov_b32 v27, v3 :: v_dual_mov_b32 v40, v8
	v_mov_b32_e32 v28, v3
	v_dual_mov_b32 v29, v3 :: v_dual_mov_b32 v38, v6
	;; [unrolled: 2-line block ×3, first 2 shown]
	v_mov_b32_e32 v47, v15
	v_mov_b32_e32 v43, v11
	v_mov_b32_e32 v39, v7
	v_mov_b32_e32 v35, v3
	v_mov_b32_e32 v32, v3
	v_dual_mov_b32 v34, v2 :: v_dual_mov_b32 v33, v1
	s_or_b32 exec_lo, exec_lo, s3
	s_and_saveexec_b32 s3, s2
	s_cbranch_execz .LBB124_34
.LBB124_41:                             ;   in Loop: Header=BB124_5 Depth=1
	v_add_co_u32 v1, vcc_lo, v82, v49
	v_add_co_ci_u32_e32 v2, vcc_lo, v83, v50, vcc_lo
	v_add_co_u32 v4, vcc_lo, v84, v49
	v_add_co_ci_u32_e32 v5, vcc_lo, v85, v50, vcc_lo
	global_load_b64 v[35:36], v[1:2], off
	global_load_b64 v[19:20], v[4:5], off
	s_or_b32 exec_lo, exec_lo, s3
	s_and_saveexec_b32 s3, s2
	s_cbranch_execz .LBB124_35
.LBB124_42:                             ;   in Loop: Header=BB124_5 Depth=1
	v_add_co_u32 v1, vcc_lo, v78, v49
	v_add_co_ci_u32_e32 v2, vcc_lo, v79, v50, vcc_lo
	v_add_co_u32 v4, vcc_lo, v80, v49
	v_add_co_ci_u32_e32 v5, vcc_lo, v81, v50, vcc_lo
	global_load_b64 v[37:38], v[1:2], off
	global_load_b64 v[21:22], v[4:5], off
	s_or_b32 exec_lo, exec_lo, s3
	s_and_saveexec_b32 s3, s2
	s_cbranch_execz .LBB124_36
.LBB124_43:                             ;   in Loop: Header=BB124_5 Depth=1
	v_add_co_u32 v1, vcc_lo, v74, v49
	v_add_co_ci_u32_e32 v2, vcc_lo, v75, v50, vcc_lo
	v_add_co_u32 v4, vcc_lo, v76, v49
	v_add_co_ci_u32_e32 v5, vcc_lo, v77, v50, vcc_lo
	global_load_b64 v[39:40], v[1:2], off
	global_load_b64 v[23:24], v[4:5], off
	s_or_b32 exec_lo, exec_lo, s3
	s_and_saveexec_b32 s3, s2
	s_cbranch_execz .LBB124_37
.LBB124_44:                             ;   in Loop: Header=BB124_5 Depth=1
	v_add_co_u32 v1, vcc_lo, v70, v49
	v_add_co_ci_u32_e32 v2, vcc_lo, v71, v50, vcc_lo
	v_add_co_u32 v4, vcc_lo, v72, v49
	v_add_co_ci_u32_e32 v5, vcc_lo, v73, v50, vcc_lo
	global_load_b64 v[41:42], v[1:2], off
	global_load_b64 v[25:26], v[4:5], off
	s_or_b32 exec_lo, exec_lo, s3
	s_and_saveexec_b32 s3, s2
	s_cbranch_execz .LBB124_38
.LBB124_45:                             ;   in Loop: Header=BB124_5 Depth=1
	v_add_co_u32 v1, vcc_lo, v66, v49
	v_add_co_ci_u32_e32 v2, vcc_lo, v67, v50, vcc_lo
	v_add_co_u32 v4, vcc_lo, v68, v49
	v_add_co_ci_u32_e32 v5, vcc_lo, v69, v50, vcc_lo
	global_load_b64 v[43:44], v[1:2], off
	global_load_b64 v[27:28], v[4:5], off
	s_or_b32 exec_lo, exec_lo, s3
	s_and_saveexec_b32 s3, s2
	s_cbranch_execz .LBB124_39
.LBB124_46:                             ;   in Loop: Header=BB124_5 Depth=1
	v_add_co_u32 v1, vcc_lo, v62, v49
	v_add_co_ci_u32_e32 v2, vcc_lo, v63, v50, vcc_lo
	v_add_co_u32 v4, vcc_lo, v64, v49
	v_add_co_ci_u32_e32 v5, vcc_lo, v65, v50, vcc_lo
	global_load_b64 v[45:46], v[1:2], off
	global_load_b64 v[29:30], v[4:5], off
	s_or_b32 exec_lo, exec_lo, s3
	s_and_saveexec_b32 s3, s2
	s_cbranch_execz .LBB124_3
.LBB124_47:                             ;   in Loop: Header=BB124_5 Depth=1
	v_add_co_u32 v1, vcc_lo, v58, v49
	v_add_co_ci_u32_e32 v2, vcc_lo, v59, v50, vcc_lo
	v_add_co_u32 v4, vcc_lo, v60, v49
	v_add_co_ci_u32_e32 v5, vcc_lo, v61, v50, vcc_lo
	global_load_b64 v[47:48], v[1:2], off
	global_load_b64 v[31:32], v[4:5], off
	s_branch .LBB124_3
.LBB124_48:
                                        ; implicit-def: $vgpr51_vgpr52
	s_branch .LBB124_50
.LBB124_49:
	s_cbranch_execnz .LBB124_82
.LBB124_50:
	v_mov_b32_e32 v51, 0
	v_mov_b32_e32 v52, 0
	s_and_not1_b32 vcc_lo, exec_lo, s15
	s_cbranch_vccnz .LBB124_82
; %bb.51:
	s_load_b32 s2, s[0:1], 0x44
	v_bfe_u32 v84, v0, 10, 10
	v_and_b32_e32 v83, 0x3ff, v0
	s_add_u32 s36, s0, 64
	s_addc_u32 s37, s1, 0
	v_mov_b32_e32 v81, 0
	v_dual_mov_b32 v82, 0 :: v_dual_lshlrev_b32 v1, 6, v84
	v_dual_mov_b32 v3, 0 :: v_dual_add_nc_u32 v2, s33, v83
	v_lshlrev_b32_e32 v85, 3, v84
	s_delay_alu instid0(VALU_DEP_2)
	v_lshlrev_b64 v[49:50], 3, v[2:3]
	s_waitcnt lgkmcnt(0)
	s_lshl_b32 s15, s2, 6
	s_add_u32 s38, s34, 63
	s_addc_u32 s39, 0, 0
	s_lshl_b64 s[2:3], s[34:35], 3
	s_mul_i32 s16, s7, s15
	v_add_co_u32 v1, s2, v1, s2
	s_delay_alu instid0(VALU_DEP_1) | instskip(SKIP_1) | instid1(VALU_DEP_3)
	v_add_co_ci_u32_e64 v2, null, 0, s3, s2
	v_add_co_u32 v24, s3, v85, s34
	v_add_co_u32 v6, vcc_lo, v1, 8
	s_delay_alu instid0(VALU_DEP_3) | instskip(SKIP_3) | instid1(VALU_DEP_4)
	v_add_co_ci_u32_e32 v4, vcc_lo, 0, v2, vcc_lo
	v_add_co_u32 v7, vcc_lo, v1, 16
	v_add_co_ci_u32_e32 v5, vcc_lo, 0, v2, vcc_lo
	v_add_co_u32 v10, vcc_lo, v1, 24
	v_mul_lo_u32 v8, s6, v4
	v_add_co_ci_u32_e32 v4, vcc_lo, 0, v2, vcc_lo
	v_add_co_u32 v13, vcc_lo, v1, 32
	v_mul_lo_u32 v11, s6, v5
	;; [unrolled: 3-line block ×4, first 2 shown]
	v_add_co_ci_u32_e32 v5, vcc_lo, 0, v2, vcc_lo
	v_add_co_ci_u32_e64 v25, null, 0, 0, s3
	v_add_co_u32 v26, vcc_lo, v1, 56
	v_mul_lo_u32 v20, s6, v4
	s_delay_alu instid0(VALU_DEP_4) | instskip(SKIP_4) | instid1(VALU_DEP_4)
	v_mul_lo_u32 v22, s6, v5
	v_add_co_ci_u32_e32 v4, vcc_lo, 0, v2, vcc_lo
	v_mul_lo_u32 v5, s7, v24
	v_mul_lo_u32 v27, s6, v25
	v_mad_u64_u32 v[1:2], null, s6, v24, 0
	v_mul_lo_u32 v28, s6, v4
	v_mad_u64_u32 v[53:54], null, s6, v6, s[8:9]
	;; [unrolled: 2-line block ×3, first 2 shown]
	v_add3_u32 v2, v2, v27, v5
	v_mad_u64_u32 v[55:56], null, s6, v7, s[8:9]
	v_mul_lo_u32 v12, s7, v7
	v_mad_u64_u32 v[69:70], null, s6, v7, s[10:11]
	s_delay_alu instid0(VALU_DEP_4)
	v_lshlrev_b64 v[4:5], 3, v[1:2]
	v_add3_u32 v54, v9, v54, v8
	v_add3_u32 v68, v9, v68, v8
	v_mad_u64_u32 v[57:58], null, s6, v10, s[8:9]
	v_mul_lo_u32 v15, s7, v10
	v_add_co_u32 v86, vcc_lo, s8, v4
	v_add_co_ci_u32_e32 v87, vcc_lo, s9, v5, vcc_lo
	v_add_co_u32 v8, vcc_lo, v24, 7
	v_add_co_ci_u32_e32 v6, vcc_lo, 0, v25, vcc_lo
	v_mad_u64_u32 v[71:72], null, s6, v10, s[10:11]
	v_add3_u32 v56, v12, v56, v11
	v_add3_u32 v70, v12, v70, v11
	v_add_co_u32 v12, vcc_lo, v24, 6
	v_mul_lo_u32 v10, s7, v8
	v_mul_lo_u32 v11, s6, v6
	v_mad_u64_u32 v[6:7], null, s6, v8, 0
	v_add_co_ci_u32_e32 v9, vcc_lo, 0, v25, vcc_lo
	v_mad_u64_u32 v[59:60], null, s6, v13, s[8:9]
	v_mul_lo_u32 v18, s7, v13
	v_add3_u32 v58, v15, v58, v14
	v_mad_u64_u32 v[73:74], null, s6, v13, s[10:11]
	v_add3_u32 v72, v15, v72, v14
	v_mul_lo_u32 v13, s7, v12
	v_mul_lo_u32 v14, s6, v9
	v_mad_u64_u32 v[8:9], null, s6, v12, 0
	v_add3_u32 v7, v7, v11, v10
	v_add_co_u32 v88, vcc_lo, s10, v4
	v_add_co_ci_u32_e32 v89, vcc_lo, s11, v5, vcc_lo
	s_delay_alu instid0(VALU_DEP_3) | instskip(SKIP_3) | instid1(VALU_DEP_4)
	v_lshlrev_b64 v[4:5], 3, v[6:7]
	v_add3_u32 v9, v9, v14, v13
	v_add_co_u32 v10, vcc_lo, v24, 5
	v_add_co_ci_u32_e32 v11, vcc_lo, 0, v25, vcc_lo
	v_add_co_u32 v90, vcc_lo, s8, v4
	s_delay_alu instid0(VALU_DEP_4)
	v_lshlrev_b64 v[6:7], 3, v[8:9]
	v_add_co_ci_u32_e32 v91, vcc_lo, s9, v5, vcc_lo
	v_mul_lo_u32 v12, s7, v10
	v_mul_lo_u32 v11, s6, v11
	v_mad_u64_u32 v[8:9], null, s6, v10, 0
	v_add_co_u32 v92, vcc_lo, s10, v4
	v_add_co_ci_u32_e32 v93, vcc_lo, s11, v5, vcc_lo
	v_add_co_u32 v94, vcc_lo, s8, v6
	v_add_co_ci_u32_e32 v95, vcc_lo, s9, v7, vcc_lo
	s_mul_hi_u32 s2, s6, s15
	v_add_co_u32 v10, vcc_lo, v24, 4
	v_add3_u32 v9, v9, v11, v12
	s_add_i32 s3, s2, s16
	v_add_co_u32 v96, s2, s10, v6
	v_add_co_ci_u32_e32 v6, vcc_lo, 0, v25, vcc_lo
	v_add_co_u32 v12, vcc_lo, v24, 3
	v_lshlrev_b64 v[4:5], 3, v[8:9]
	v_add_co_ci_u32_e32 v8, vcc_lo, 0, v25, vcc_lo
	v_add_co_ci_u32_e64 v97, s2, s11, v7, s2
	v_mul_lo_u32 v11, s7, v10
	v_mul_lo_u32 v13, s6, v6
	v_mad_u64_u32 v[6:7], null, s6, v10, 0
	v_mul_lo_u32 v10, s7, v12
	v_mul_lo_u32 v14, s6, v8
	v_mad_u64_u32 v[8:9], null, s6, v12, 0
	v_add_co_u32 v98, vcc_lo, s8, v4
	v_add_co_ci_u32_e32 v99, vcc_lo, s9, v5, vcc_lo
	v_add3_u32 v7, v7, v13, v11
	v_add_co_u32 v100, vcc_lo, s10, v4
	v_add_co_ci_u32_e32 v101, vcc_lo, s11, v5, vcc_lo
	v_add3_u32 v9, v9, v14, v10
	v_add_co_u32 v10, vcc_lo, v24, 2
	v_lshlrev_b64 v[4:5], 3, v[6:7]
	v_add_co_ci_u32_e32 v11, vcc_lo, 0, v25, vcc_lo
	s_delay_alu instid0(VALU_DEP_4) | instskip(NEXT) | instid1(VALU_DEP_4)
	v_lshlrev_b64 v[6:7], 3, v[8:9]
	v_mul_lo_u32 v12, s7, v10
	v_mad_u64_u32 v[8:9], null, s6, v10, 0
	v_add_co_u32 v102, vcc_lo, s8, v4
	v_mul_lo_u32 v11, s6, v11
	v_add_co_ci_u32_e32 v103, vcc_lo, s9, v5, vcc_lo
	v_add_co_u32 v104, vcc_lo, s10, v4
	v_add_co_ci_u32_e32 v105, vcc_lo, s11, v5, vcc_lo
	v_add_co_u32 v106, vcc_lo, s8, v6
	v_add_co_ci_u32_e32 v107, vcc_lo, s9, v7, vcc_lo
	v_add3_u32 v9, v9, v11, v12
	v_add_co_u32 v108, vcc_lo, s10, v6
	v_add_co_ci_u32_e32 v109, vcc_lo, s11, v7, vcc_lo
	v_add_co_u32 v1, vcc_lo, v1, s6
	s_delay_alu instid0(VALU_DEP_4) | instskip(SKIP_3) | instid1(VALU_DEP_4)
	v_lshlrev_b64 v[4:5], 3, v[8:9]
	v_add_co_ci_u32_e32 v2, vcc_lo, s7, v2, vcc_lo
	v_mad_u64_u32 v[61:62], null, s6, v17, s[8:9]
	v_mul_lo_u32 v21, s7, v17
	v_add_co_u32 v110, vcc_lo, s8, v4
	s_delay_alu instid0(VALU_DEP_4)
	v_lshlrev_b64 v[1:2], 3, v[1:2]
	v_add_co_ci_u32_e32 v111, vcc_lo, s9, v5, vcc_lo
	v_mad_u64_u32 v[63:64], null, s6, v19, s[8:9]
	v_mul_lo_u32 v23, s7, v19
	v_mad_u64_u32 v[65:66], null, s6, v26, s[8:9]
	v_mul_lo_u32 v29, s7, v26
	v_mad_u64_u32 v[75:76], null, s6, v17, s[10:11]
	v_mad_u64_u32 v[77:78], null, s6, v19, s[10:11]
	;; [unrolled: 1-line block ×3, first 2 shown]
	v_add_co_u32 v112, vcc_lo, s10, v4
	v_add_co_ci_u32_e32 v113, vcc_lo, s11, v5, vcc_lo
	v_add_co_u32 v114, vcc_lo, s8, v1
	v_add_co_ci_u32_e32 v115, vcc_lo, s9, v2, vcc_lo
	v_add_co_u32 v116, vcc_lo, s10, v1
	v_add3_u32 v60, v18, v60, v16
	v_add3_u32 v62, v21, v62, v20
	;; [unrolled: 1-line block ×8, first 2 shown]
	v_add_co_ci_u32_e32 v117, vcc_lo, s11, v2, vcc_lo
	s_mul_i32 s2, s6, s15
	s_mov_b32 s16, 0
	s_lshl_b64 s[2:3], s[2:3], 3
.LBB124_52:                             ; =>This Inner Loop Header: Depth=1
	v_cmp_ge_i64_e64 s8, s[38:39], s[4:5]
	v_add_co_u32 v118, s9, v85, s38
	s_delay_alu instid0(VALU_DEP_1) | instskip(NEXT) | instid1(VALU_DEP_3)
	v_add_co_ci_u32_e64 v119, null, 0, s39, s9
	s_and_b32 vcc_lo, exec_lo, s8
	s_cbranch_vccz .LBB124_74
; %bb.53:                               ;   in Loop: Header=BB124_52 Depth=1
	s_load_b32 s8, s[36:37], 0xc
	v_mov_b32_e32 v51, 0
	v_mov_b32_e32 v52, 0
	s_waitcnt lgkmcnt(0)
	s_and_b32 s8, s8, 0xffff
	s_delay_alu instid0(SALU_CYCLE_1) | instskip(SKIP_1) | instid1(VALU_DEP_1)
	v_mad_u32_u24 v1, v84, s8, v83
	s_mov_b32 s8, exec_lo
	v_and_b32_e32 v1, 31, v1
	s_delay_alu instid0(VALU_DEP_1)
	v_cmpx_gt_u32_e32 8, v1
	s_cbranch_execz .LBB124_57
; %bb.54:                               ;   in Loop: Header=BB124_52 Depth=1
	v_add_co_u32 v1, vcc_lo, v118, v1
	v_add_co_ci_u32_e32 v2, vcc_lo, 0, v119, vcc_lo
	v_mov_b32_e32 v51, 0
	s_delay_alu instid0(VALU_DEP_3) | instskip(NEXT) | instid1(VALU_DEP_3)
	v_add_co_u32 v1, vcc_lo, 0xffffffc1, v1
	v_add_co_ci_u32_e32 v2, vcc_lo, -1, v2, vcc_lo
	v_mov_b32_e32 v52, 0
	s_mov_b32 s9, exec_lo
	s_delay_alu instid0(VALU_DEP_2)
	v_cmpx_gt_i64_e64 s[4:5], v[1:2]
	s_cbranch_execz .LBB124_56
; %bb.55:                               ;   in Loop: Header=BB124_52 Depth=1
	v_lshlrev_b64 v[1:2], 3, v[1:2]
	s_delay_alu instid0(VALU_DEP_1) | instskip(NEXT) | instid1(VALU_DEP_2)
	v_add_co_u32 v1, vcc_lo, s12, v1
	v_add_co_ci_u32_e32 v2, vcc_lo, s13, v2, vcc_lo
	global_load_b64 v[51:52], v[1:2], off
.LBB124_56:                             ;   in Loop: Header=BB124_52 Depth=1
	s_or_b32 exec_lo, exec_lo, s9
.LBB124_57:                             ;   in Loop: Header=BB124_52 Depth=1
	s_delay_alu instid0(SALU_CYCLE_1)
	s_or_b32 exec_lo, exec_lo, s8
	s_mov_b32 s31, s16
	s_mov_b32 s17, s16
	;; [unrolled: 1-line block ×15, first 2 shown]
	s_delay_alu instid0(SALU_CYCLE_1)
	v_dual_mov_b32 v32, s31 :: v_dual_mov_b32 v31, s30
	v_dual_mov_b32 v30, s29 :: v_dual_mov_b32 v29, s28
	;; [unrolled: 1-line block ×8, first 2 shown]
	v_add_co_u32 v1, vcc_lo, 0xffffffc1, v118
	v_dual_mov_b32 v48, v32 :: v_dual_mov_b32 v47, v31
	v_add_co_ci_u32_e32 v2, vcc_lo, -1, v119, vcc_lo
	v_dual_mov_b32 v46, v30 :: v_dual_mov_b32 v45, v29
	v_dual_mov_b32 v44, v28 :: v_dual_mov_b32 v43, v27
	;; [unrolled: 1-line block ×7, first 2 shown]
	s_mov_b32 s8, exec_lo
	v_cmpx_gt_i64_e64 s[4:5], v[1:2]
	s_cbranch_execz .LBB124_59
; %bb.58:                               ;   in Loop: Header=BB124_52 Depth=1
	v_add_co_u32 v1, vcc_lo, v86, v49
	v_add_co_ci_u32_e32 v2, vcc_lo, v87, v50, vcc_lo
	v_add_co_u32 v4, vcc_lo, v88, v49
	v_add_co_ci_u32_e32 v5, vcc_lo, v89, v50, vcc_lo
	global_load_b64 v[1:2], v[1:2], off
	v_mov_b32_e32 v16, v3
	v_mov_b32_e32 v6, v3
	global_load_b64 v[17:18], v[4:5], off
	v_mov_b32_e32 v4, v3
	v_mov_b32_e32 v5, v3
	;; [unrolled: 1-line block ×11, first 2 shown]
	s_waitcnt vmcnt(1)
	v_dual_mov_b32 v19, v3 :: v_dual_mov_b32 v48, v16
	v_dual_mov_b32 v20, v3 :: v_dual_mov_b32 v45, v13
	;; [unrolled: 1-line block ×7, first 2 shown]
	v_mov_b32_e32 v26, v3
	v_dual_mov_b32 v27, v3 :: v_dual_mov_b32 v40, v8
	v_mov_b32_e32 v28, v3
	v_dual_mov_b32 v29, v3 :: v_dual_mov_b32 v38, v6
	;; [unrolled: 2-line block ×3, first 2 shown]
	v_mov_b32_e32 v47, v15
	v_mov_b32_e32 v43, v11
	;; [unrolled: 1-line block ×5, first 2 shown]
	v_dual_mov_b32 v34, v2 :: v_dual_mov_b32 v33, v1
.LBB124_59:                             ;   in Loop: Header=BB124_52 Depth=1
	s_or_b32 exec_lo, exec_lo, s8
	v_add_co_u32 v1, vcc_lo, 0xffffffc2, v118
	v_add_co_ci_u32_e32 v2, vcc_lo, -1, v119, vcc_lo
	s_mov_b32 s8, exec_lo
	s_delay_alu instid0(VALU_DEP_1)
	v_cmpx_gt_i64_e64 s[4:5], v[1:2]
	s_cbranch_execz .LBB124_61
; %bb.60:                               ;   in Loop: Header=BB124_52 Depth=1
	v_add_co_u32 v1, vcc_lo, v114, v49
	v_add_co_ci_u32_e32 v2, vcc_lo, v115, v50, vcc_lo
	v_add_co_u32 v4, vcc_lo, v116, v49
	v_add_co_ci_u32_e32 v5, vcc_lo, v117, v50, vcc_lo
	global_load_b64 v[35:36], v[1:2], off
	global_load_b64 v[19:20], v[4:5], off
.LBB124_61:                             ;   in Loop: Header=BB124_52 Depth=1
	s_or_b32 exec_lo, exec_lo, s8
	v_add_co_u32 v1, vcc_lo, 0xffffffc3, v118
	v_add_co_ci_u32_e32 v2, vcc_lo, -1, v119, vcc_lo
	s_mov_b32 s8, exec_lo
	s_delay_alu instid0(VALU_DEP_1)
	v_cmpx_gt_i64_e64 s[4:5], v[1:2]
	s_cbranch_execz .LBB124_63
; %bb.62:                               ;   in Loop: Header=BB124_52 Depth=1
	v_add_co_u32 v1, vcc_lo, v110, v49
	v_add_co_ci_u32_e32 v2, vcc_lo, v111, v50, vcc_lo
	v_add_co_u32 v4, vcc_lo, v112, v49
	v_add_co_ci_u32_e32 v5, vcc_lo, v113, v50, vcc_lo
	global_load_b64 v[37:38], v[1:2], off
	global_load_b64 v[21:22], v[4:5], off
.LBB124_63:                             ;   in Loop: Header=BB124_52 Depth=1
	;; [unrolled: 15-line block ×7, first 2 shown]
	s_or_b32 exec_lo, exec_lo, s8
	s_waitcnt vmcnt(0)
	v_mul_f64 v[1:2], v[17:18], v[33:34]
	ds_bpermute_b32 v4, v3, v51
	ds_bpermute_b32 v5, v3, v52
	v_mul_f64 v[6:7], v[19:20], v[35:36]
	v_mul_f64 v[8:9], v[21:22], v[37:38]
	s_waitcnt lgkmcnt(0)
	v_fma_f64 v[1:2], v[1:2], v[4:5], v[81:82]
	ds_bpermute_b32 v4, v3, v51 offset:4
	ds_bpermute_b32 v5, v3, v52 offset:4
	s_waitcnt lgkmcnt(0)
	v_fma_f64 v[1:2], v[6:7], v[4:5], v[1:2]
	ds_bpermute_b32 v4, v3, v51 offset:8
	ds_bpermute_b32 v5, v3, v52 offset:8
	v_mul_f64 v[6:7], v[23:24], v[39:40]
	s_waitcnt lgkmcnt(0)
	v_fma_f64 v[1:2], v[8:9], v[4:5], v[1:2]
	ds_bpermute_b32 v4, v3, v51 offset:12
	ds_bpermute_b32 v5, v3, v52 offset:12
	v_mul_f64 v[8:9], v[25:26], v[41:42]
	;; [unrolled: 5-line block ×4, first 2 shown]
	s_waitcnt lgkmcnt(0)
	v_fma_f64 v[1:2], v[6:7], v[4:5], v[1:2]
	ds_bpermute_b32 v4, v3, v51 offset:24
	ds_bpermute_b32 v5, v3, v52 offset:24
	;; [unrolled: 1-line block ×4, first 2 shown]
	s_waitcnt lgkmcnt(2)
	v_fma_f64 v[1:2], v[8:9], v[4:5], v[1:2]
	v_mul_f64 v[4:5], v[31:32], v[47:48]
	s_waitcnt lgkmcnt(0)
	s_delay_alu instid0(VALU_DEP_1)
	v_fma_f64 v[51:52], v[4:5], v[6:7], v[1:2]
	s_branch .LBB124_80
.LBB124_74:                             ;   in Loop: Header=BB124_52 Depth=1
                                        ; implicit-def: $vgpr51_vgpr52
	s_cbranch_execz .LBB124_80
; %bb.75:                               ;   in Loop: Header=BB124_52 Depth=1
	s_load_b32 s8, s[36:37], 0x0
	s_waitcnt lgkmcnt(0)
	s_cmp_lt_u32 s14, s8
	s_cselect_b32 s8, 12, 18
	s_delay_alu instid0(SALU_CYCLE_1)
	s_add_u32 s8, s36, s8
	s_addc_u32 s9, s37, 0
	global_load_u16 v1, v3, s[8:9]
	s_mov_b32 s8, exec_lo
	s_waitcnt vmcnt(0)
	v_mad_u32_u24 v1, v84, v1, v83
	s_delay_alu instid0(VALU_DEP_1) | instskip(SKIP_1) | instid1(VALU_DEP_2)
	v_dual_mov_b32 v1, 0 :: v_dual_and_b32 v4, 31, v1
	v_mov_b32_e32 v2, 0
	v_cmpx_gt_u32_e32 8, v4
	s_cbranch_execz .LBB124_79
; %bb.76:                               ;   in Loop: Header=BB124_52 Depth=1
	v_add_co_u32 v1, vcc_lo, v118, v4
	v_add_co_ci_u32_e32 v2, vcc_lo, 0, v119, vcc_lo
	s_mov_b32 s9, exec_lo
	s_delay_alu instid0(VALU_DEP_2) | instskip(NEXT) | instid1(VALU_DEP_2)
	v_add_co_u32 v4, vcc_lo, 0xffffffc1, v1
	v_add_co_ci_u32_e32 v5, vcc_lo, -1, v2, vcc_lo
	v_mov_b32_e32 v1, 0
	v_mov_b32_e32 v2, 0
	s_delay_alu instid0(VALU_DEP_3)
	v_cmpx_gt_i64_e64 s[4:5], v[4:5]
	s_cbranch_execz .LBB124_78
; %bb.77:                               ;   in Loop: Header=BB124_52 Depth=1
	v_lshlrev_b64 v[1:2], 3, v[4:5]
	s_delay_alu instid0(VALU_DEP_1) | instskip(NEXT) | instid1(VALU_DEP_2)
	v_add_co_u32 v1, vcc_lo, s12, v1
	v_add_co_ci_u32_e32 v2, vcc_lo, s13, v2, vcc_lo
	global_load_b64 v[1:2], v[1:2], off
.LBB124_78:                             ;   in Loop: Header=BB124_52 Depth=1
	s_or_b32 exec_lo, exec_lo, s9
.LBB124_79:                             ;   in Loop: Header=BB124_52 Depth=1
	s_delay_alu instid0(SALU_CYCLE_1)
	s_or_b32 exec_lo, exec_lo, s8
	v_add_co_u32 v4, vcc_lo, v86, v49
	v_add_co_ci_u32_e32 v5, vcc_lo, v87, v50, vcc_lo
	v_add_co_u32 v6, vcc_lo, v88, v49
	v_add_co_ci_u32_e32 v7, vcc_lo, v89, v50, vcc_lo
	v_add_co_u32 v8, vcc_lo, v53, v49
	global_load_b64 v[4:5], v[4:5], off
	global_load_b64 v[6:7], v[6:7], off
	v_add_co_ci_u32_e32 v9, vcc_lo, v54, v50, vcc_lo
	v_add_co_u32 v10, vcc_lo, v67, v49
	v_add_co_ci_u32_e32 v11, vcc_lo, v68, v50, vcc_lo
	global_load_b64 v[8:9], v[8:9], off
	global_load_b64 v[10:11], v[10:11], off
	v_add_co_u32 v12, vcc_lo, v55, v49
	v_add_co_ci_u32_e32 v13, vcc_lo, v56, v50, vcc_lo
	v_add_co_u32 v14, vcc_lo, v69, v49
	v_add_co_ci_u32_e32 v15, vcc_lo, v70, v50, vcc_lo
	global_load_b64 v[12:13], v[12:13], off
	global_load_b64 v[14:15], v[14:15], off
	v_add_co_u32 v16, vcc_lo, v57, v49
	;; [unrolled: 6-line block ×6, first 2 shown]
	v_add_co_ci_u32_e32 v33, vcc_lo, v66, v50, vcc_lo
	v_add_co_u32 v34, vcc_lo, v79, v49
	v_add_co_ci_u32_e32 v35, vcc_lo, v80, v50, vcc_lo
	global_load_b64 v[32:33], v[32:33], off
	global_load_b64 v[34:35], v[34:35], off
	s_waitcnt vmcnt(14)
	v_mul_f64 v[4:5], v[4:5], v[6:7]
	ds_bpermute_b32 v6, v3, v1
	ds_bpermute_b32 v7, v3, v2
	s_waitcnt vmcnt(12)
	v_mul_f64 v[8:9], v[8:9], v[10:11]
	s_waitcnt vmcnt(10)
	v_mul_f64 v[10:11], v[12:13], v[14:15]
	s_waitcnt lgkmcnt(0)
	v_fma_f64 v[4:5], v[4:5], v[6:7], v[81:82]
	ds_bpermute_b32 v6, v3, v1 offset:4
	ds_bpermute_b32 v7, v3, v2 offset:4
	s_waitcnt lgkmcnt(0)
	v_fma_f64 v[4:5], v[8:9], v[6:7], v[4:5]
	ds_bpermute_b32 v6, v3, v1 offset:8
	ds_bpermute_b32 v7, v3, v2 offset:8
	s_waitcnt vmcnt(8)
	v_mul_f64 v[8:9], v[16:17], v[18:19]
	s_waitcnt lgkmcnt(0)
	v_fma_f64 v[4:5], v[10:11], v[6:7], v[4:5]
	ds_bpermute_b32 v6, v3, v1 offset:12
	ds_bpermute_b32 v7, v3, v2 offset:12
	s_waitcnt vmcnt(6)
	v_mul_f64 v[10:11], v[20:21], v[22:23]
	;; [unrolled: 6-line block ×4, first 2 shown]
	s_waitcnt lgkmcnt(0)
	v_fma_f64 v[4:5], v[8:9], v[6:7], v[4:5]
	ds_bpermute_b32 v6, v3, v1 offset:24
	ds_bpermute_b32 v7, v3, v2 offset:24
	;; [unrolled: 1-line block ×4, first 2 shown]
	s_waitcnt lgkmcnt(2)
	v_fma_f64 v[4:5], v[10:11], v[6:7], v[4:5]
	s_waitcnt vmcnt(0)
	v_mul_f64 v[6:7], v[32:33], v[34:35]
	s_waitcnt lgkmcnt(0)
	s_delay_alu instid0(VALU_DEP_1)
	v_fma_f64 v[51:52], v[6:7], v[1:2], v[4:5]
.LBB124_80:                             ;   in Loop: Header=BB124_52 Depth=1
	v_add_co_u32 v53, vcc_lo, v53, s2
	v_add_co_ci_u32_e32 v54, vcc_lo, s3, v54, vcc_lo
	v_add_co_u32 v55, vcc_lo, v55, s2
	v_add_co_ci_u32_e32 v56, vcc_lo, s3, v56, vcc_lo
	;; [unrolled: 2-line block ×27, first 2 shown]
	v_add_co_u32 v112, vcc_lo, v112, s2
	s_add_u32 s34, s34, s15
	v_add_co_ci_u32_e32 v113, vcc_lo, s3, v113, vcc_lo
	s_addc_u32 s35, s35, 0
	v_add_co_u32 v114, vcc_lo, v114, s2
	v_cmp_ge_i64_e64 s8, s[34:35], s[4:5]
	v_add_co_ci_u32_e32 v115, vcc_lo, s3, v115, vcc_lo
	v_add_co_u32 v116, vcc_lo, v116, s2
	v_add_co_ci_u32_e32 v117, vcc_lo, s3, v117, vcc_lo
	s_add_u32 s38, s38, s15
	s_addc_u32 s39, s39, 0
	s_and_b32 vcc_lo, exec_lo, s8
	s_cbranch_vccnz .LBB124_82
; %bb.81:                               ;   in Loop: Header=BB124_52 Depth=1
	v_dual_mov_b32 v82, v52 :: v_dual_mov_b32 v81, v51
	s_branch .LBB124_52
.LBB124_82:
	v_and_b32_e32 v2, 0x3ff, v0
	v_bfe_u32 v1, v0, 10, 10
	v_mov_b32_e32 v0, 0
	s_mov_b32 s15, 0
	s_mov_b32 s2, exec_lo
	s_delay_alu instid0(VALU_DEP_2) | instskip(NEXT) | instid1(VALU_DEP_1)
	v_mad_u32_u24 v4, 0x41, v1, v2
	v_sub_nc_u32_e32 v3, v4, v1
	v_mov_b32_e32 v1, v0
	v_lshl_add_u32 v4, v4, 3, 0
	ds_store_b64 v4, v[51:52]
	ds_store_b64 v4, v[0:1] offset:4160
	s_waitcnt lgkmcnt(0)
	s_barrier
	buffer_gl0_inv
	v_cmpx_gt_u32_e32 0x800, v3
	s_cbranch_execz .LBB124_89
; %bb.83:
	v_mbcnt_lo_u32_b32 v1, -1, 0
	s_load_b64 s[8:9], s[0:1], 0x30
	v_and_b32_e32 v5, 31, v2
	v_cmp_ne_u32_e32 vcc_lo, 0, v2
	v_lshrrev_b32_e32 v4, 5, v3
	v_xor_b32_e32 v2, 4, v1
	v_xor_b32_e32 v3, 2, v1
	v_cmp_gt_u32_e64 s0, 8, v5
	v_mul_u32_u24_e32 v8, 0x208, v5
	v_xor_b32_e32 v5, 1, v1
	v_cmp_gt_i32_e64 s1, 32, v2
	s_lshl_b64 s[4:5], s[14:15], 6
	v_dual_mov_b32 v9, v0 :: v_dual_lshlrev_b32 v10, 3, v4
	s_delay_alu instid0(VALU_DEP_2) | instskip(SKIP_1) | instid1(VALU_DEP_3)
	v_cndmask_b32_e64 v2, v1, v2, s1
	v_cmp_gt_i32_e64 s1, 32, v3
	v_add3_u32 v8, v8, v10, 0
	s_delay_alu instid0(VALU_DEP_2)
	v_cndmask_b32_e64 v3, v1, v3, s1
	v_cmp_gt_i32_e64 s1, 32, v5
	s_waitcnt lgkmcnt(0)
	s_cmp_eq_u64 s[8:9], 0
	s_cselect_b32 s3, -1, 0
	s_lshl_b64 s[10:11], s[14:15], 9
	v_cndmask_b32_e64 v1, v1, v5, s1
	s_add_u32 s1, s8, s10
	s_addc_u32 s2, s9, s11
	v_add_co_u32 v0, s1, s1, v10
	v_lshlrev_b32_e32 v5, 2, v2
	v_lshlrev_b32_e32 v6, 2, v3
	;; [unrolled: 1-line block ×3, first 2 shown]
	v_add_co_ci_u32_e64 v1, null, s2, 0, s1
                                        ; implicit-def: $vgpr2_vgpr3
	s_branch .LBB124_85
.LBB124_84:                             ;   in Loop: Header=BB124_85 Depth=1
	s_or_b32 exec_lo, exec_lo, s1
	v_add_co_u32 v4, s1, v4, 16
	s_delay_alu instid0(VALU_DEP_1) | instskip(SKIP_1) | instid1(VALU_DEP_3)
	v_add_co_ci_u32_e64 v9, s1, 0, v9, s1
	v_add_co_u32 v0, s2, 0x80, v0
	v_add_nc_u32_e32 v10, -16, v4
	v_add_nc_u32_e32 v8, 0x80, v8
	v_add_co_ci_u32_e64 v1, s2, 0, v1, s2
	s_delay_alu instid0(VALU_DEP_3) | instskip(NEXT) | instid1(VALU_DEP_1)
	v_cmp_lt_u32_e64 s1, 47, v10
	s_or_b32 s15, s1, s15
	s_delay_alu instid0(SALU_CYCLE_1)
	s_and_not1_b32 exec_lo, exec_lo, s15
	s_cbranch_execz .LBB124_89
.LBB124_85:                             ; =>This Inner Loop Header: Depth=1
	s_and_saveexec_b32 s1, s0
	s_cbranch_execz .LBB124_87
; %bb.86:                               ;   in Loop: Header=BB124_85 Depth=1
	ds_load_b64 v[2:3], v8
.LBB124_87:                             ;   in Loop: Header=BB124_85 Depth=1
	s_or_b32 exec_lo, exec_lo, s1
	s_waitcnt lgkmcnt(0)
	ds_bpermute_b32 v10, v5, v2
	ds_bpermute_b32 v11, v5, v3
	s_waitcnt lgkmcnt(0)
	v_add_f64 v[2:3], v[2:3], v[10:11]
	ds_bpermute_b32 v10, v6, v2
	ds_bpermute_b32 v11, v6, v3
	s_waitcnt lgkmcnt(0)
	v_add_f64 v[2:3], v[2:3], v[10:11]
	;; [unrolled: 4-line block ×3, first 2 shown]
	v_add_co_u32 v10, s1, s4, v4
	s_delay_alu instid0(VALU_DEP_1) | instskip(NEXT) | instid1(VALU_DEP_1)
	v_add_co_ci_u32_e64 v11, s1, s5, v9, s1
	v_cmp_le_i64_e64 s1, s[6:7], v[10:11]
	s_delay_alu instid0(VALU_DEP_1) | instskip(NEXT) | instid1(SALU_CYCLE_1)
	s_or_b32 s1, vcc_lo, s1
	s_or_b32 s1, s3, s1
	s_delay_alu instid0(SALU_CYCLE_1) | instskip(NEXT) | instid1(SALU_CYCLE_1)
	s_xor_b32 s2, s1, -1
	s_and_saveexec_b32 s1, s2
	s_cbranch_execz .LBB124_84
; %bb.88:                               ;   in Loop: Header=BB124_85 Depth=1
	global_store_b64 v[0:1], v[2:3], off
	s_branch .LBB124_84
.LBB124_89:
	s_nop 0
	s_sendmsg sendmsg(MSG_DEALLOC_VGPRS)
	s_endpgm
	.section	.rodata,"a",@progbits
	.p2align	6, 0x0
	.amdhsa_kernel _ZN2at6native12_GLOBAL__N_135GammaBetaBackwardCUDAKernelTemplateIddLj64ELj8ELj64ELb0ELb0ELb1EEEvllPKT_S5_PKT0_S8_PS3_S9_
		.amdhsa_group_segment_fixed_size 0
		.amdhsa_private_segment_fixed_size 0
		.amdhsa_kernarg_size 320
		.amdhsa_user_sgpr_count 14
		.amdhsa_user_sgpr_dispatch_ptr 0
		.amdhsa_user_sgpr_queue_ptr 0
		.amdhsa_user_sgpr_kernarg_segment_ptr 1
		.amdhsa_user_sgpr_dispatch_id 0
		.amdhsa_user_sgpr_private_segment_size 0
		.amdhsa_wavefront_size32 1
		.amdhsa_uses_dynamic_stack 0
		.amdhsa_enable_private_segment 0
		.amdhsa_system_sgpr_workgroup_id_x 1
		.amdhsa_system_sgpr_workgroup_id_y 1
		.amdhsa_system_sgpr_workgroup_id_z 0
		.amdhsa_system_sgpr_workgroup_info 0
		.amdhsa_system_vgpr_workitem_id 1
		.amdhsa_next_free_vgpr 120
		.amdhsa_next_free_sgpr 45
		.amdhsa_reserve_vcc 1
		.amdhsa_float_round_mode_32 0
		.amdhsa_float_round_mode_16_64 0
		.amdhsa_float_denorm_mode_32 3
		.amdhsa_float_denorm_mode_16_64 3
		.amdhsa_dx10_clamp 1
		.amdhsa_ieee_mode 1
		.amdhsa_fp16_overflow 0
		.amdhsa_workgroup_processor_mode 1
		.amdhsa_memory_ordered 1
		.amdhsa_forward_progress 0
		.amdhsa_shared_vgpr_count 0
		.amdhsa_exception_fp_ieee_invalid_op 0
		.amdhsa_exception_fp_denorm_src 0
		.amdhsa_exception_fp_ieee_div_zero 0
		.amdhsa_exception_fp_ieee_overflow 0
		.amdhsa_exception_fp_ieee_underflow 0
		.amdhsa_exception_fp_ieee_inexact 0
		.amdhsa_exception_int_div_zero 0
	.end_amdhsa_kernel
	.section	.text._ZN2at6native12_GLOBAL__N_135GammaBetaBackwardCUDAKernelTemplateIddLj64ELj8ELj64ELb0ELb0ELb1EEEvllPKT_S5_PKT0_S8_PS3_S9_,"axG",@progbits,_ZN2at6native12_GLOBAL__N_135GammaBetaBackwardCUDAKernelTemplateIddLj64ELj8ELj64ELb0ELb0ELb1EEEvllPKT_S5_PKT0_S8_PS3_S9_,comdat
.Lfunc_end124:
	.size	_ZN2at6native12_GLOBAL__N_135GammaBetaBackwardCUDAKernelTemplateIddLj64ELj8ELj64ELb0ELb0ELb1EEEvllPKT_S5_PKT0_S8_PS3_S9_, .Lfunc_end124-_ZN2at6native12_GLOBAL__N_135GammaBetaBackwardCUDAKernelTemplateIddLj64ELj8ELj64ELb0ELb0ELb1EEEvllPKT_S5_PKT0_S8_PS3_S9_
                                        ; -- End function
	.section	.AMDGPU.csdata,"",@progbits
; Kernel info:
; codeLenInByte = 8424
; NumSgprs: 47
; NumVgprs: 120
; ScratchSize: 0
; MemoryBound: 1
; FloatMode: 240
; IeeeMode: 1
; LDSByteSize: 0 bytes/workgroup (compile time only)
; SGPRBlocks: 5
; VGPRBlocks: 14
; NumSGPRsForWavesPerEU: 47
; NumVGPRsForWavesPerEU: 120
; Occupancy: 12
; WaveLimiterHint : 0
; COMPUTE_PGM_RSRC2:SCRATCH_EN: 0
; COMPUTE_PGM_RSRC2:USER_SGPR: 14
; COMPUTE_PGM_RSRC2:TRAP_HANDLER: 0
; COMPUTE_PGM_RSRC2:TGID_X_EN: 1
; COMPUTE_PGM_RSRC2:TGID_Y_EN: 1
; COMPUTE_PGM_RSRC2:TGID_Z_EN: 0
; COMPUTE_PGM_RSRC2:TIDIG_COMP_CNT: 1
	.section	.text._ZN2at6native12_GLOBAL__N_135GammaBetaBackwardCUDAKernelTemplateIddLj64ELj16ELj128ELb0ELb1ELb1EEEvllPKT_S5_PKT0_S8_PS3_S9_,"axG",@progbits,_ZN2at6native12_GLOBAL__N_135GammaBetaBackwardCUDAKernelTemplateIddLj64ELj16ELj128ELb0ELb1ELb1EEEvllPKT_S5_PKT0_S8_PS3_S9_,comdat
	.globl	_ZN2at6native12_GLOBAL__N_135GammaBetaBackwardCUDAKernelTemplateIddLj64ELj16ELj128ELb0ELb1ELb1EEEvllPKT_S5_PKT0_S8_PS3_S9_ ; -- Begin function _ZN2at6native12_GLOBAL__N_135GammaBetaBackwardCUDAKernelTemplateIddLj64ELj16ELj128ELb0ELb1ELb1EEEvllPKT_S5_PKT0_S8_PS3_S9_
	.p2align	8
	.type	_ZN2at6native12_GLOBAL__N_135GammaBetaBackwardCUDAKernelTemplateIddLj64ELj16ELj128ELb0ELb1ELb1EEEvllPKT_S5_PKT0_S8_PS3_S9_,@function
_ZN2at6native12_GLOBAL__N_135GammaBetaBackwardCUDAKernelTemplateIddLj64ELj16ELj128ELb0ELb1ELb1EEEvllPKT_S5_PKT0_S8_PS3_S9_: ; @_ZN2at6native12_GLOBAL__N_135GammaBetaBackwardCUDAKernelTemplateIddLj64ELj16ELj128ELb0ELb1ELb1EEEvllPKT_S5_PKT0_S8_PS3_S9_
; %bb.0:
	s_load_b128 s[4:7], s[0:1], 0x0
	s_mov_b32 s13, 0
	s_lshl_b32 s12, s15, 7
	v_bfe_u32 v13, v0, 10, 10
	s_waitcnt lgkmcnt(0)
	v_cmp_lt_i64_e64 s2, s[12:13], s[4:5]
	s_delay_alu instid0(VALU_DEP_1)
	s_and_b32 vcc_lo, exec_lo, s2
	s_cbranch_vccnz .LBB125_2
; %bb.1:
	v_bfe_u32 v1, v0, 10, 10
	s_mov_b64 s[8:9], 0
	s_mov_b32 s10, s13
	s_branch .LBB125_3
.LBB125_2:
	s_mov_b32 s10, -1
                                        ; implicit-def: $sgpr8_sgpr9
                                        ; implicit-def: $vgpr1
.LBB125_3:
	s_load_b64 s[2:3], s[0:1], 0x30
	v_mov_b32_e32 v8, s8
	v_dual_mov_b32 v9, s9 :: v_dual_and_b32 v12, 0x3ff, v0
	s_and_not1_b32 vcc_lo, exec_lo, s10
	s_cbranch_vccnz .LBB125_11
; %bb.4:
	s_clause 0x3
	s_load_b32 s15, s[0:1], 0x4c
	s_load_b32 s16, s[0:1], 0x44
	s_load_b128 s[8:11], s[0:1], 0x10
	s_load_b64 s[18:19], s[0:1], 0x28
	v_dual_mov_b32 v15, 4 :: v_dual_lshlrev_b32 v2, 3, v13
	v_dual_mov_b32 v14, 8 :: v_dual_mov_b32 v1, 0
	v_lshl_add_u32 v0, s14, 6, v12
	s_delay_alu instid0(VALU_DEP_3) | instskip(NEXT) | instid1(VALU_DEP_1)
	v_add_co_u32 v2, s1, v2, s12
	v_add_co_ci_u32_e64 v3, null, 0, 0, s1
	s_delay_alu instid0(VALU_DEP_3) | instskip(NEXT) | instid1(VALU_DEP_3)
	v_lshlrev_b64 v[8:9], 3, v[0:1]
	v_mul_lo_u32 v10, s7, v2
	v_mad_u64_u32 v[6:7], null, s6, v2, 0
	s_delay_alu instid0(VALU_DEP_4)
	v_mul_lo_u32 v11, s6, v3
	v_dual_mov_b32 v16, 12 :: v_dual_mov_b32 v17, 16
	s_waitcnt lgkmcnt(0)
	s_and_b32 s0, s15, 0xffff
	s_lshl_b32 s16, s16, 7
	v_mad_u32_u24 v4, v13, s0, v12
	s_mul_i32 s1, s7, s16
	s_mul_hi_u32 s15, s6, s16
	v_add3_u32 v7, v7, v11, v10
	v_dual_mov_b32 v18, 20 :: v_dual_mov_b32 v19, 24
	v_dual_mov_b32 v20, 28 :: v_dual_and_b32 v23, 31, v4
	s_delay_alu instid0(VALU_DEP_3) | instskip(SKIP_2) | instid1(VALU_DEP_4)
	v_lshlrev_b64 v[21:22], 3, v[6:7]
	v_mov_b32_e32 v4, 0
	v_mov_b32_e32 v5, 0
	v_add_co_u32 v2, vcc_lo, v2, v23
	v_add_co_ci_u32_e32 v3, vcc_lo, 0, v3, vcc_lo
	v_cmp_gt_u32_e64 s0, 8, v23
	s_mov_b32 s17, 0
	s_add_i32 s21, s15, s1
	s_delay_alu instid0(VALU_DEP_2) | instskip(SKIP_3) | instid1(VALU_DEP_1)
	v_lshlrev_b64 v[10:11], 3, v[2:3]
	s_mul_i32 s20, s6, s16
	s_lshl_b64 s[6:7], s[6:7], 3
	s_lshl_b64 s[20:21], s[20:21], 3
	v_add_co_u32 v6, vcc_lo, s18, v10
	s_delay_alu instid0(VALU_DEP_2)
	v_add_co_ci_u32_e32 v7, vcc_lo, s19, v11, vcc_lo
	v_add_co_u32 v0, vcc_lo, v21, v8
	v_add_co_ci_u32_e32 v21, vcc_lo, v22, v9, vcc_lo
	v_dual_mov_b32 v9, v5 :: v_dual_mov_b32 v8, v4
	s_lshl_b64 s[18:19], s[16:17], 3
	s_branch .LBB125_7
.LBB125_5:                              ;   in Loop: Header=BB125_7 Depth=1
	s_or_b32 exec_lo, exec_lo, s15
.LBB125_6:                              ;   in Loop: Header=BB125_7 Depth=1
	s_delay_alu instid0(SALU_CYCLE_1)
	s_or_b32 exec_lo, exec_lo, s1
	v_add_co_u32 v22, vcc_lo, s8, v0
	v_add_co_ci_u32_e32 v23, vcc_lo, s9, v21, vcc_lo
	v_add_co_u32 v24, vcc_lo, s10, v0
	v_add_co_ci_u32_e32 v25, vcc_lo, s11, v21, vcc_lo
	s_add_u32 s12, s12, s16
	global_load_b64 v[26:27], v[22:23], off
	global_load_b64 v[28:29], v[24:25], off
	v_add_co_u32 v22, vcc_lo, v22, s6
	v_add_co_ci_u32_e32 v23, vcc_lo, s7, v23, vcc_lo
	v_add_co_u32 v24, vcc_lo, v24, s6
	v_add_co_ci_u32_e32 v25, vcc_lo, s7, v25, vcc_lo
	global_load_b64 v[30:31], v[22:23], off
	global_load_b64 v[32:33], v[24:25], off
	v_add_co_u32 v22, vcc_lo, v22, s6
	v_add_co_ci_u32_e32 v23, vcc_lo, s7, v23, vcc_lo
	v_add_co_u32 v24, vcc_lo, v24, s6
	v_add_co_ci_u32_e32 v25, vcc_lo, s7, v25, vcc_lo
	;; [unrolled: 6-line block ×7, first 2 shown]
	global_load_b64 v[22:23], v[22:23], off
	global_load_b64 v[24:25], v[24:25], off
	v_add_co_u32 v6, vcc_lo, v6, s18
	v_add_co_ci_u32_e32 v7, vcc_lo, s19, v7, vcc_lo
	s_addc_u32 s13, s13, 0
	v_add_co_u32 v2, vcc_lo, v2, s16
	v_cmp_lt_i64_e64 s1, s[12:13], s[4:5]
	v_add_co_ci_u32_e32 v3, vcc_lo, 0, v3, vcc_lo
	v_add_co_u32 v0, vcc_lo, v0, s20
	v_add_co_ci_u32_e32 v21, vcc_lo, s21, v21, vcc_lo
	s_delay_alu instid0(VALU_DEP_4)
	s_and_b32 vcc_lo, exec_lo, s1
	s_waitcnt vmcnt(14)
	v_mul_f64 v[26:27], v[26:27], v[28:29]
	ds_bpermute_b32 v28, v1, v10
	ds_bpermute_b32 v29, v1, v11
	s_waitcnt vmcnt(12)
	v_mul_f64 v[30:31], v[30:31], v[32:33]
	s_waitcnt lgkmcnt(0)
	v_fma_f64 v[8:9], v[26:27], v[28:29], v[8:9]
	ds_bpermute_b32 v26, v15, v10
	ds_bpermute_b32 v27, v15, v11
	s_waitcnt vmcnt(10)
	v_mul_f64 v[28:29], v[34:35], v[36:37]
	s_waitcnt lgkmcnt(0)
	v_fma_f64 v[8:9], v[30:31], v[26:27], v[8:9]
	ds_bpermute_b32 v26, v14, v10
	ds_bpermute_b32 v27, v14, v11
	s_waitcnt vmcnt(8)
	v_mul_f64 v[30:31], v[38:39], v[40:41]
	s_waitcnt vmcnt(0)
	v_mul_f64 v[22:23], v[22:23], v[24:25]
	s_waitcnt lgkmcnt(0)
	v_fma_f64 v[8:9], v[28:29], v[26:27], v[8:9]
	ds_bpermute_b32 v26, v16, v10
	ds_bpermute_b32 v27, v16, v11
	v_mul_f64 v[28:29], v[42:43], v[44:45]
	s_waitcnt lgkmcnt(0)
	v_fma_f64 v[8:9], v[30:31], v[26:27], v[8:9]
	ds_bpermute_b32 v26, v17, v10
	ds_bpermute_b32 v27, v17, v11
	;; [unrolled: 5-line block ×4, first 2 shown]
	ds_bpermute_b32 v10, v20, v10
	ds_bpermute_b32 v11, v20, v11
	s_waitcnt lgkmcnt(2)
	v_fma_f64 v[8:9], v[28:29], v[26:27], v[8:9]
	s_waitcnt lgkmcnt(0)
	s_delay_alu instid0(VALU_DEP_1)
	v_fma_f64 v[8:9], v[22:23], v[10:11], v[8:9]
	s_cbranch_vccz .LBB125_10
.LBB125_7:                              ; =>This Inner Loop Header: Depth=1
	v_dual_mov_b32 v11, v5 :: v_dual_mov_b32 v10, v4
	s_and_saveexec_b32 s1, s0
	s_cbranch_execz .LBB125_6
; %bb.8:                                ;   in Loop: Header=BB125_7 Depth=1
	v_mov_b32_e32 v10, 0
	v_mov_b32_e32 v11, 0
	s_mov_b32 s15, exec_lo
	v_cmpx_gt_i64_e64 s[4:5], v[2:3]
	s_cbranch_execz .LBB125_5
; %bb.9:                                ;   in Loop: Header=BB125_7 Depth=1
	global_load_b64 v[10:11], v[6:7], off
	s_branch .LBB125_5
.LBB125_10:
	v_mov_b32_e32 v1, v13
.LBB125_11:
	s_delay_alu instid0(VALU_DEP_1) | instskip(SKIP_3) | instid1(VALU_DEP_2)
	v_mad_u32_u24 v3, 0x41, v1, v12
	v_mov_b32_e32 v2, 0
	s_mov_b32 s15, 0
	s_mov_b32 s0, exec_lo
	v_sub_nc_u32_e32 v0, v3, v1
	v_lshl_add_u32 v1, v3, 3, 0
	v_mov_b32_e32 v3, v2
	ds_store_b64 v1, v[8:9]
	ds_store_b64 v1, v[2:3] offset:8320
	s_waitcnt lgkmcnt(0)
	s_barrier
	buffer_gl0_inv
	v_cmpx_gt_u32_e32 0x800, v0
	s_cbranch_execz .LBB125_18
; %bb.12:
	v_mbcnt_lo_u32_b32 v2, -1, 0
	v_cmp_eq_u32_e64 s0, 0, v12
	s_cmp_lg_u64 s[2:3], 0
	v_lshrrev_b32_e32 v0, 5, v0
	s_cselect_b32 s1, -1, 0
	v_xor_b32_e32 v3, 8, v2
	s_and_b32 s1, s0, s1
	v_xor_b32_e32 v4, 4, v2
	v_xor_b32_e32 v5, 2, v2
	;; [unrolled: 1-line block ×3, first 2 shown]
	v_cmp_gt_i32_e64 s0, 32, v3
	v_and_b32_e32 v1, 31, v12
	s_lshl_b64 s[4:5], s[14:15], 9
	v_subrev_nc_u32_e32 v9, 32, v0
	s_delay_alu instid0(VALU_DEP_3) | instskip(SKIP_3) | instid1(VALU_DEP_3)
	v_cndmask_b32_e64 v3, v2, v3, s0
	v_cmp_gt_i32_e64 s0, 32, v4
	v_cmp_gt_u32_e32 vcc_lo, 16, v1
	v_mul_u32_u24_e32 v1, 0x208, v1
	v_cndmask_b32_e64 v7, v2, v4, s0
	v_cmp_gt_i32_e64 s0, 32, v5
	v_lshlrev_b32_e32 v4, 2, v3
	v_lshlrev_b32_e32 v3, 3, v0
	s_delay_alu instid0(VALU_DEP_3) | instskip(SKIP_2) | instid1(VALU_DEP_2)
	v_cndmask_b32_e64 v8, v2, v5, s0
	v_cmp_gt_i32_e64 s0, 32, v6
	v_lshlrev_b32_e32 v5, 2, v7
	v_cndmask_b32_e64 v2, v2, v6, s0
	s_add_u32 s0, s2, s4
	s_addc_u32 s2, s3, s5
	v_add_co_u32 v0, s0, s0, v3
	v_lshlrev_b32_e32 v6, 2, v8
	v_lshlrev_b32_e32 v7, 2, v2
	v_add3_u32 v8, v1, v3, 0
	v_add_co_ci_u32_e64 v1, null, s2, 0, s0
                                        ; implicit-def: $vgpr2_vgpr3
	s_branch .LBB125_14
.LBB125_13:                             ;   in Loop: Header=BB125_14 Depth=1
	s_or_b32 exec_lo, exec_lo, s0
	v_add_co_u32 v9, s0, v9, 32
	s_delay_alu instid0(VALU_DEP_1) | instskip(SKIP_4) | instid1(SALU_CYCLE_1)
	s_xor_b32 s2, s0, -1
	v_add_co_u32 v0, s0, 0x100, v0
	v_add_nc_u32_e32 v8, 0x100, v8
	v_add_co_ci_u32_e64 v1, s0, 0, v1, s0
	s_and_b32 s0, exec_lo, s2
	s_or_b32 s15, s0, s15
	s_delay_alu instid0(SALU_CYCLE_1)
	s_and_not1_b32 exec_lo, exec_lo, s15
	s_cbranch_execz .LBB125_18
.LBB125_14:                             ; =>This Inner Loop Header: Depth=1
	s_and_saveexec_b32 s0, vcc_lo
	s_cbranch_execz .LBB125_16
; %bb.15:                               ;   in Loop: Header=BB125_14 Depth=1
	ds_load_b64 v[2:3], v8
.LBB125_16:                             ;   in Loop: Header=BB125_14 Depth=1
	s_or_b32 exec_lo, exec_lo, s0
	s_waitcnt lgkmcnt(0)
	ds_bpermute_b32 v10, v4, v2
	ds_bpermute_b32 v11, v4, v3
	s_waitcnt lgkmcnt(0)
	v_add_f64 v[2:3], v[2:3], v[10:11]
	ds_bpermute_b32 v10, v5, v2
	ds_bpermute_b32 v11, v5, v3
	s_waitcnt lgkmcnt(0)
	v_add_f64 v[2:3], v[2:3], v[10:11]
	;; [unrolled: 4-line block ×4, first 2 shown]
	s_and_saveexec_b32 s0, s1
	s_cbranch_execz .LBB125_13
; %bb.17:                               ;   in Loop: Header=BB125_14 Depth=1
	global_store_b64 v[0:1], v[2:3], off
	s_branch .LBB125_13
.LBB125_18:
	s_nop 0
	s_sendmsg sendmsg(MSG_DEALLOC_VGPRS)
	s_endpgm
	.section	.rodata,"a",@progbits
	.p2align	6, 0x0
	.amdhsa_kernel _ZN2at6native12_GLOBAL__N_135GammaBetaBackwardCUDAKernelTemplateIddLj64ELj16ELj128ELb0ELb1ELb1EEEvllPKT_S5_PKT0_S8_PS3_S9_
		.amdhsa_group_segment_fixed_size 0
		.amdhsa_private_segment_fixed_size 0
		.amdhsa_kernarg_size 320
		.amdhsa_user_sgpr_count 14
		.amdhsa_user_sgpr_dispatch_ptr 0
		.amdhsa_user_sgpr_queue_ptr 0
		.amdhsa_user_sgpr_kernarg_segment_ptr 1
		.amdhsa_user_sgpr_dispatch_id 0
		.amdhsa_user_sgpr_private_segment_size 0
		.amdhsa_wavefront_size32 1
		.amdhsa_uses_dynamic_stack 0
		.amdhsa_enable_private_segment 0
		.amdhsa_system_sgpr_workgroup_id_x 1
		.amdhsa_system_sgpr_workgroup_id_y 1
		.amdhsa_system_sgpr_workgroup_id_z 0
		.amdhsa_system_sgpr_workgroup_info 0
		.amdhsa_system_vgpr_workitem_id 1
		.amdhsa_next_free_vgpr 54
		.amdhsa_next_free_sgpr 22
		.amdhsa_reserve_vcc 1
		.amdhsa_float_round_mode_32 0
		.amdhsa_float_round_mode_16_64 0
		.amdhsa_float_denorm_mode_32 3
		.amdhsa_float_denorm_mode_16_64 3
		.amdhsa_dx10_clamp 1
		.amdhsa_ieee_mode 1
		.amdhsa_fp16_overflow 0
		.amdhsa_workgroup_processor_mode 1
		.amdhsa_memory_ordered 1
		.amdhsa_forward_progress 0
		.amdhsa_shared_vgpr_count 0
		.amdhsa_exception_fp_ieee_invalid_op 0
		.amdhsa_exception_fp_denorm_src 0
		.amdhsa_exception_fp_ieee_div_zero 0
		.amdhsa_exception_fp_ieee_overflow 0
		.amdhsa_exception_fp_ieee_underflow 0
		.amdhsa_exception_fp_ieee_inexact 0
		.amdhsa_exception_int_div_zero 0
	.end_amdhsa_kernel
	.section	.text._ZN2at6native12_GLOBAL__N_135GammaBetaBackwardCUDAKernelTemplateIddLj64ELj16ELj128ELb0ELb1ELb1EEEvllPKT_S5_PKT0_S8_PS3_S9_,"axG",@progbits,_ZN2at6native12_GLOBAL__N_135GammaBetaBackwardCUDAKernelTemplateIddLj64ELj16ELj128ELb0ELb1ELb1EEEvllPKT_S5_PKT0_S8_PS3_S9_,comdat
.Lfunc_end125:
	.size	_ZN2at6native12_GLOBAL__N_135GammaBetaBackwardCUDAKernelTemplateIddLj64ELj16ELj128ELb0ELb1ELb1EEEvllPKT_S5_PKT0_S8_PS3_S9_, .Lfunc_end125-_ZN2at6native12_GLOBAL__N_135GammaBetaBackwardCUDAKernelTemplateIddLj64ELj16ELj128ELb0ELb1ELb1EEEvllPKT_S5_PKT0_S8_PS3_S9_
                                        ; -- End function
	.section	.AMDGPU.csdata,"",@progbits
; Kernel info:
; codeLenInByte = 1692
; NumSgprs: 24
; NumVgprs: 54
; ScratchSize: 0
; MemoryBound: 0
; FloatMode: 240
; IeeeMode: 1
; LDSByteSize: 0 bytes/workgroup (compile time only)
; SGPRBlocks: 2
; VGPRBlocks: 6
; NumSGPRsForWavesPerEU: 24
; NumVGPRsForWavesPerEU: 54
; Occupancy: 16
; WaveLimiterHint : 0
; COMPUTE_PGM_RSRC2:SCRATCH_EN: 0
; COMPUTE_PGM_RSRC2:USER_SGPR: 14
; COMPUTE_PGM_RSRC2:TRAP_HANDLER: 0
; COMPUTE_PGM_RSRC2:TGID_X_EN: 1
; COMPUTE_PGM_RSRC2:TGID_Y_EN: 1
; COMPUTE_PGM_RSRC2:TGID_Z_EN: 0
; COMPUTE_PGM_RSRC2:TIDIG_COMP_CNT: 1
	.section	.text._ZN2at6native12_GLOBAL__N_135GammaBetaBackwardCUDAKernelTemplateIddLj64ELj16ELj128ELb0ELb0ELb1EEEvllPKT_S5_PKT0_S8_PS3_S9_,"axG",@progbits,_ZN2at6native12_GLOBAL__N_135GammaBetaBackwardCUDAKernelTemplateIddLj64ELj16ELj128ELb0ELb0ELb1EEEvllPKT_S5_PKT0_S8_PS3_S9_,comdat
	.globl	_ZN2at6native12_GLOBAL__N_135GammaBetaBackwardCUDAKernelTemplateIddLj64ELj16ELj128ELb0ELb0ELb1EEEvllPKT_S5_PKT0_S8_PS3_S9_ ; -- Begin function _ZN2at6native12_GLOBAL__N_135GammaBetaBackwardCUDAKernelTemplateIddLj64ELj16ELj128ELb0ELb0ELb1EEEvllPKT_S5_PKT0_S8_PS3_S9_
	.p2align	8
	.type	_ZN2at6native12_GLOBAL__N_135GammaBetaBackwardCUDAKernelTemplateIddLj64ELj16ELj128ELb0ELb0ELb1EEEvllPKT_S5_PKT0_S8_PS3_S9_,@function
_ZN2at6native12_GLOBAL__N_135GammaBetaBackwardCUDAKernelTemplateIddLj64ELj16ELj128ELb0ELb0ELb1EEEvllPKT_S5_PKT0_S8_PS3_S9_: ; @_ZN2at6native12_GLOBAL__N_135GammaBetaBackwardCUDAKernelTemplateIddLj64ELj16ELj128ELb0ELb0ELb1EEEvllPKT_S5_PKT0_S8_PS3_S9_
; %bb.0:
	s_clause 0x1
	s_load_b256 s[4:11], s[0:1], 0x0
	s_load_b64 s[12:13], s[0:1], 0x28
	s_lshl_b32 s33, s14, 6
	s_mov_b32 s35, 0
	s_or_b32 s34, s33, 63
	s_waitcnt lgkmcnt(0)
	v_cmp_ge_i64_e64 s2, s[34:35], s[6:7]
	s_lshl_b32 s34, s15, 7
	s_delay_alu instid0(SALU_CYCLE_1) | instskip(NEXT) | instid1(VALU_DEP_2)
	v_cmp_lt_i64_e64 s15, s[34:35], s[4:5]
	s_and_b32 vcc_lo, exec_lo, s2
	s_delay_alu instid0(VALU_DEP_1) | instskip(NEXT) | instid1(VALU_DEP_1)
	v_cndmask_b32_e64 v1, 0, 1, s15
	v_cmp_ne_u32_e64 s2, 1, v1
	s_cbranch_vccz .LBB126_48
; %bb.1:
	v_mov_b32_e32 v51, 0
	v_mov_b32_e32 v52, 0
	s_delay_alu instid0(VALU_DEP_3)
	s_and_b32 vcc_lo, exec_lo, s2
	s_cbranch_vccnz .LBB126_49
; %bb.2:
	v_bfe_u32 v55, v0, 10, 10
	s_load_b32 s3, s[0:1], 0x44
	v_and_b32_e32 v57, 0x3ff, v0
	v_mov_b32_e32 v51, 0
	v_mov_b32_e32 v52, 0
	v_dual_mov_b32 v3, 0 :: v_dual_lshlrev_b32 v56, 3, v55
	s_delay_alu instid0(VALU_DEP_4) | instskip(SKIP_2) | instid1(VALU_DEP_2)
	v_add_nc_u32_e32 v2, s33, v57
	s_add_u32 s36, s0, 64
	s_addc_u32 s37, s1, 0
	v_add_co_u32 v8, s2, v56, s34
	s_delay_alu instid0(VALU_DEP_1) | instskip(SKIP_1) | instid1(VALU_DEP_3)
	v_add_co_ci_u32_e64 v9, null, 0, 0, s2
	v_cmp_gt_i64_e64 s2, s[6:7], v[2:3]
	v_add_co_u32 v1, vcc_lo, v8, 7
	s_delay_alu instid0(VALU_DEP_3) | instskip(SKIP_1) | instid1(VALU_DEP_3)
	v_add_co_ci_u32_e32 v4, vcc_lo, 0, v9, vcc_lo
	v_add_co_u32 v10, vcc_lo, v8, 6
	v_mul_lo_u32 v6, s7, v1
	s_delay_alu instid0(VALU_DEP_3)
	v_mul_lo_u32 v7, s6, v4
	v_mad_u64_u32 v[4:5], null, s6, v1, 0
	v_add_co_ci_u32_e32 v1, vcc_lo, 0, v9, vcc_lo
	v_lshlrev_b64 v[49:50], 3, v[2:3]
	s_waitcnt lgkmcnt(0)
	s_lshl_b32 s44, s3, 7
	s_mov_b32 s16, 0
	s_mul_i32 s3, s7, s44
	s_delay_alu instid0(VALU_DEP_3) | instskip(SKIP_3) | instid1(VALU_DEP_4)
	v_add3_u32 v5, v5, v7, v6
	v_mul_lo_u32 v6, s7, v10
	v_mul_lo_u32 v7, s6, v1
	v_mad_u64_u32 v[1:2], null, s6, v10, 0
	v_lshlrev_b64 v[4:5], 3, v[4:5]
	s_mul_hi_u32 s17, s6, s44
	s_mul_i32 s18, s6, s44
	s_add_i32 s19, s17, s3
	s_mov_b64 s[42:43], s[34:35]
	s_lshl_b64 s[38:39], s[18:19], 3
	v_add_co_u32 v58, vcc_lo, s8, v4
	v_add_co_ci_u32_e32 v59, vcc_lo, s9, v5, vcc_lo
	v_add3_u32 v2, v2, v7, v6
	v_add_co_u32 v6, vcc_lo, v8, 5
	v_add_co_u32 v60, s3, s10, v4
	v_add_co_ci_u32_e32 v4, vcc_lo, 0, v9, vcc_lo
	v_add_co_u32 v11, vcc_lo, v8, 4
	v_add_co_ci_u32_e64 v61, s3, s11, v5, s3
	v_mul_lo_u32 v10, s7, v6
	s_delay_alu instid0(VALU_DEP_4)
	v_mul_lo_u32 v12, s6, v4
	v_mad_u64_u32 v[4:5], null, s6, v6, 0
	v_add_co_ci_u32_e32 v7, vcc_lo, 0, v9, vcc_lo
	v_lshlrev_b64 v[1:2], 3, v[1:2]
	v_mul_lo_u32 v13, s7, v11
	s_add_u32 s40, s34, 0x7f
	s_delay_alu instid0(VALU_DEP_3) | instskip(SKIP_1) | instid1(VALU_DEP_4)
	v_mul_lo_u32 v14, s6, v7
	v_mad_u64_u32 v[6:7], null, s6, v11, 0
	v_add_co_u32 v62, vcc_lo, s8, v1
	v_add3_u32 v5, v5, v12, v10
	v_add_co_ci_u32_e32 v63, vcc_lo, s9, v2, vcc_lo
	v_add_co_u32 v64, vcc_lo, s10, v1
	v_add_co_ci_u32_e32 v65, vcc_lo, s11, v2, vcc_lo
	s_delay_alu instid0(VALU_DEP_4) | instskip(SKIP_3) | instid1(VALU_DEP_4)
	v_lshlrev_b64 v[1:2], 3, v[4:5]
	v_add3_u32 v7, v7, v14, v13
	v_add_co_u32 v10, vcc_lo, v8, 3
	v_add_co_ci_u32_e32 v11, vcc_lo, 0, v9, vcc_lo
	v_add_co_u32 v66, vcc_lo, s8, v1
	s_delay_alu instid0(VALU_DEP_4)
	v_lshlrev_b64 v[4:5], 3, v[6:7]
	v_add_co_ci_u32_e32 v67, vcc_lo, s9, v2, vcc_lo
	v_mul_lo_u32 v12, s7, v10
	v_mul_lo_u32 v11, s6, v11
	v_mad_u64_u32 v[6:7], null, s6, v10, 0
	v_add_co_u32 v68, vcc_lo, s10, v1
	v_add_co_ci_u32_e32 v69, vcc_lo, s11, v2, vcc_lo
	v_add_co_u32 v70, vcc_lo, s8, v4
	v_add_co_ci_u32_e32 v71, vcc_lo, s9, v5, vcc_lo
	v_add_co_u32 v10, vcc_lo, v8, 2
	v_add3_u32 v7, v7, v11, v12
	v_add_co_ci_u32_e32 v11, vcc_lo, 0, v9, vcc_lo
	v_add_co_u32 v72, vcc_lo, s10, v4
	v_add_co_ci_u32_e32 v73, vcc_lo, s11, v5, vcc_lo
	v_mul_lo_u32 v12, s7, v10
	s_delay_alu instid0(VALU_DEP_4)
	v_mul_lo_u32 v11, s6, v11
	v_mad_u64_u32 v[4:5], null, s6, v10, 0
	v_lshlrev_b64 v[1:2], 3, v[6:7]
	v_mul_lo_u32 v10, s7, v8
	v_mul_lo_u32 v9, s6, v9
	v_mad_u64_u32 v[6:7], null, s6, v8, 0
	s_addc_u32 s41, 0, 0
	s_delay_alu instid0(VALU_DEP_4)
	v_add_co_u32 v74, vcc_lo, s8, v1
	v_add3_u32 v5, v5, v11, v12
	v_add_co_ci_u32_e32 v75, vcc_lo, s9, v2, vcc_lo
	v_add_co_u32 v76, vcc_lo, s10, v1
	v_add3_u32 v7, v7, v9, v10
	v_add_co_ci_u32_e32 v77, vcc_lo, s11, v2, vcc_lo
	v_lshlrev_b64 v[1:2], 3, v[4:5]
	v_add_co_u32 v4, vcc_lo, v6, s6
	s_delay_alu instid0(VALU_DEP_4) | instskip(NEXT) | instid1(VALU_DEP_3)
	v_add_co_ci_u32_e32 v5, vcc_lo, s7, v7, vcc_lo
	v_add_co_u32 v78, vcc_lo, s8, v1
	s_delay_alu instid0(VALU_DEP_2) | instskip(SKIP_3) | instid1(VALU_DEP_4)
	v_lshlrev_b64 v[4:5], 3, v[4:5]
	v_add_co_ci_u32_e32 v79, vcc_lo, s9, v2, vcc_lo
	v_add_co_u32 v80, vcc_lo, s10, v1
	v_add_co_ci_u32_e32 v81, vcc_lo, s11, v2, vcc_lo
	v_add_co_u32 v82, vcc_lo, s8, v4
	v_lshlrev_b64 v[1:2], 3, v[6:7]
	v_add_co_ci_u32_e32 v83, vcc_lo, s9, v5, vcc_lo
	v_add_co_u32 v84, vcc_lo, s10, v4
	v_add_co_ci_u32_e32 v85, vcc_lo, s11, v5, vcc_lo
	s_delay_alu instid0(VALU_DEP_4)
	v_add_co_u32 v86, vcc_lo, s8, v1
	v_add_co_ci_u32_e32 v87, vcc_lo, s9, v2, vcc_lo
	v_add_co_u32 v88, vcc_lo, s10, v1
	v_add_co_ci_u32_e32 v89, vcc_lo, s11, v2, vcc_lo
	s_branch .LBB126_5
.LBB126_3:                              ;   in Loop: Header=BB126_5 Depth=1
	s_or_b32 exec_lo, exec_lo, s3
	s_waitcnt vmcnt(0)
	v_mul_f64 v[1:2], v[17:18], v[33:34]
	ds_bpermute_b32 v4, v3, v53
	ds_bpermute_b32 v5, v3, v54
	v_mul_f64 v[6:7], v[19:20], v[35:36]
	v_mul_f64 v[8:9], v[21:22], v[37:38]
	s_waitcnt lgkmcnt(0)
	v_fma_f64 v[1:2], v[1:2], v[4:5], v[51:52]
	ds_bpermute_b32 v4, v3, v53 offset:4
	ds_bpermute_b32 v5, v3, v54 offset:4
	s_waitcnt lgkmcnt(0)
	v_fma_f64 v[1:2], v[6:7], v[4:5], v[1:2]
	ds_bpermute_b32 v4, v3, v53 offset:8
	ds_bpermute_b32 v5, v3, v54 offset:8
	v_mul_f64 v[6:7], v[23:24], v[39:40]
	s_waitcnt lgkmcnt(0)
	v_fma_f64 v[1:2], v[8:9], v[4:5], v[1:2]
	ds_bpermute_b32 v4, v3, v53 offset:12
	ds_bpermute_b32 v5, v3, v54 offset:12
	v_mul_f64 v[8:9], v[25:26], v[41:42]
	;; [unrolled: 5-line block ×3, first 2 shown]
	s_waitcnt lgkmcnt(0)
	v_fma_f64 v[1:2], v[8:9], v[4:5], v[1:2]
	ds_bpermute_b32 v4, v3, v53 offset:20
	ds_bpermute_b32 v5, v3, v54 offset:20
	s_waitcnt lgkmcnt(0)
	v_fma_f64 v[1:2], v[6:7], v[4:5], v[1:2]
	v_mul_f64 v[4:5], v[29:30], v[45:46]
	ds_bpermute_b32 v6, v3, v53 offset:24
	ds_bpermute_b32 v7, v3, v54 offset:24
	s_waitcnt lgkmcnt(0)
	v_fma_f64 v[1:2], v[4:5], v[6:7], v[1:2]
	ds_bpermute_b32 v4, v3, v53 offset:28
	ds_bpermute_b32 v5, v3, v54 offset:28
.LBB126_4:                              ;   in Loop: Header=BB126_5 Depth=1
	v_mul_f64 v[6:7], v[47:48], v[31:32]
	v_add_co_u32 v58, vcc_lo, v58, s38
	v_add_co_ci_u32_e32 v59, vcc_lo, s39, v59, vcc_lo
	v_add_co_u32 v60, vcc_lo, v60, s38
	v_add_co_ci_u32_e32 v61, vcc_lo, s39, v61, vcc_lo
	;; [unrolled: 2-line block ×9, first 2 shown]
	v_add_co_u32 v76, vcc_lo, v76, s38
	s_waitcnt lgkmcnt(0)
	v_fma_f64 v[51:52], v[6:7], v[4:5], v[1:2]
	v_add_co_ci_u32_e32 v77, vcc_lo, s39, v77, vcc_lo
	v_add_co_u32 v78, vcc_lo, v78, s38
	v_add_co_ci_u32_e32 v79, vcc_lo, s39, v79, vcc_lo
	v_add_co_u32 v80, vcc_lo, v80, s38
	;; [unrolled: 2-line block ×4, first 2 shown]
	s_add_u32 s42, s42, s44
	v_add_co_ci_u32_e32 v85, vcc_lo, s39, v85, vcc_lo
	s_addc_u32 s43, s43, 0
	v_add_co_u32 v86, vcc_lo, v86, s38
	v_cmp_lt_i64_e64 s3, s[42:43], s[4:5]
	v_add_co_ci_u32_e32 v87, vcc_lo, s39, v87, vcc_lo
	v_add_co_u32 v88, vcc_lo, v88, s38
	v_add_co_ci_u32_e32 v89, vcc_lo, s39, v89, vcc_lo
	s_add_u32 s40, s40, s44
	s_addc_u32 s41, s41, 0
	s_and_b32 vcc_lo, exec_lo, s3
	s_cbranch_vccz .LBB126_49
.LBB126_5:                              ; =>This Inner Loop Header: Depth=1
	v_cmp_ge_i64_e64 s3, s[40:41], s[4:5]
	v_add_co_u32 v90, s17, v56, s40
	s_delay_alu instid0(VALU_DEP_1) | instskip(NEXT) | instid1(VALU_DEP_3)
	v_add_co_ci_u32_e64 v91, null, 0, s41, s17
	s_and_b32 vcc_lo, exec_lo, s3
	s_cbranch_vccz .LBB126_27
; %bb.6:                                ;   in Loop: Header=BB126_5 Depth=1
	s_load_b32 s3, s[36:37], 0xc
	v_mov_b32_e32 v53, 0
	v_mov_b32_e32 v54, 0
	s_waitcnt lgkmcnt(0)
	s_and_b32 s3, s3, 0xffff
	s_delay_alu instid0(SALU_CYCLE_1) | instskip(SKIP_1) | instid1(VALU_DEP_1)
	v_mad_u32_u24 v1, v55, s3, v57
	s_mov_b32 s3, exec_lo
	v_and_b32_e32 v1, 31, v1
	s_delay_alu instid0(VALU_DEP_1)
	v_cmpx_gt_u32_e32 8, v1
	s_cbranch_execz .LBB126_10
; %bb.7:                                ;   in Loop: Header=BB126_5 Depth=1
	v_add_co_u32 v1, vcc_lo, v90, v1
	v_add_co_ci_u32_e32 v2, vcc_lo, 0, v91, vcc_lo
	v_mov_b32_e32 v53, 0
	s_delay_alu instid0(VALU_DEP_3) | instskip(NEXT) | instid1(VALU_DEP_3)
	v_add_co_u32 v1, vcc_lo, 0xffffff81, v1
	v_add_co_ci_u32_e32 v2, vcc_lo, -1, v2, vcc_lo
	v_mov_b32_e32 v54, 0
	s_mov_b32 s17, exec_lo
	s_delay_alu instid0(VALU_DEP_2)
	v_cmpx_gt_i64_e64 s[4:5], v[1:2]
	s_cbranch_execz .LBB126_9
; %bb.8:                                ;   in Loop: Header=BB126_5 Depth=1
	v_lshlrev_b64 v[1:2], 3, v[1:2]
	s_delay_alu instid0(VALU_DEP_1) | instskip(NEXT) | instid1(VALU_DEP_2)
	v_add_co_u32 v1, vcc_lo, s12, v1
	v_add_co_ci_u32_e32 v2, vcc_lo, s13, v2, vcc_lo
	global_load_b64 v[53:54], v[1:2], off
.LBB126_9:                              ;   in Loop: Header=BB126_5 Depth=1
	s_or_b32 exec_lo, exec_lo, s17
.LBB126_10:                             ;   in Loop: Header=BB126_5 Depth=1
	s_delay_alu instid0(SALU_CYCLE_1)
	s_or_b32 exec_lo, exec_lo, s3
	v_add_co_u32 v1, vcc_lo, 0xffffff81, v90
	s_mov_b32 s31, s16
	v_add_co_ci_u32_e32 v2, vcc_lo, -1, v91, vcc_lo
	s_mov_b32 s17, s16
	s_mov_b32 s18, s16
	s_mov_b32 s19, s16
	s_mov_b32 s20, s16
	s_mov_b32 s21, s16
	s_mov_b32 s22, s16
	s_mov_b32 s23, s16
	s_mov_b32 s24, s16
	s_mov_b32 s25, s16
	s_mov_b32 s26, s16
	s_mov_b32 s27, s16
	s_mov_b32 s28, s16
	s_mov_b32 s29, s16
	s_mov_b32 s30, s16
	s_delay_alu instid0(SALU_CYCLE_1)
	v_dual_mov_b32 v32, s31 :: v_dual_mov_b32 v31, s30
	v_dual_mov_b32 v30, s29 :: v_dual_mov_b32 v29, s28
	;; [unrolled: 1-line block ×8, first 2 shown]
	v_cmp_gt_i64_e32 vcc_lo, s[4:5], v[1:2]
	v_dual_mov_b32 v48, v32 :: v_dual_mov_b32 v47, v31
	v_dual_mov_b32 v46, v30 :: v_dual_mov_b32 v45, v29
	;; [unrolled: 1-line block ×8, first 2 shown]
	s_and_b32 s17, s2, vcc_lo
	s_delay_alu instid0(SALU_CYCLE_1)
	s_and_saveexec_b32 s3, s17
	s_cbranch_execz .LBB126_12
; %bb.11:                               ;   in Loop: Header=BB126_5 Depth=1
	v_add_co_u32 v1, vcc_lo, v86, v49
	v_add_co_ci_u32_e32 v2, vcc_lo, v87, v50, vcc_lo
	v_add_co_u32 v4, vcc_lo, v88, v49
	v_add_co_ci_u32_e32 v5, vcc_lo, v89, v50, vcc_lo
	global_load_b64 v[1:2], v[1:2], off
	v_mov_b32_e32 v16, v3
	v_mov_b32_e32 v6, v3
	global_load_b64 v[17:18], v[4:5], off
	v_mov_b32_e32 v4, v3
	v_mov_b32_e32 v5, v3
	;; [unrolled: 1-line block ×11, first 2 shown]
	s_waitcnt vmcnt(1)
	v_dual_mov_b32 v19, v3 :: v_dual_mov_b32 v48, v16
	v_dual_mov_b32 v20, v3 :: v_dual_mov_b32 v45, v13
	;; [unrolled: 1-line block ×7, first 2 shown]
	v_mov_b32_e32 v26, v3
	v_dual_mov_b32 v27, v3 :: v_dual_mov_b32 v40, v8
	v_mov_b32_e32 v28, v3
	v_dual_mov_b32 v29, v3 :: v_dual_mov_b32 v38, v6
	;; [unrolled: 2-line block ×3, first 2 shown]
	v_mov_b32_e32 v47, v15
	v_mov_b32_e32 v43, v11
	;; [unrolled: 1-line block ×5, first 2 shown]
	v_dual_mov_b32 v34, v2 :: v_dual_mov_b32 v33, v1
.LBB126_12:                             ;   in Loop: Header=BB126_5 Depth=1
	s_or_b32 exec_lo, exec_lo, s3
	v_add_co_u32 v1, vcc_lo, 0xffffff82, v90
	v_add_co_ci_u32_e32 v2, vcc_lo, -1, v91, vcc_lo
	s_delay_alu instid0(VALU_DEP_1) | instskip(SKIP_1) | instid1(SALU_CYCLE_1)
	v_cmp_gt_i64_e32 vcc_lo, s[4:5], v[1:2]
	s_and_b32 s17, s2, vcc_lo
	s_and_saveexec_b32 s3, s17
	s_cbranch_execz .LBB126_14
; %bb.13:                               ;   in Loop: Header=BB126_5 Depth=1
	v_add_co_u32 v1, vcc_lo, v82, v49
	v_add_co_ci_u32_e32 v2, vcc_lo, v83, v50, vcc_lo
	v_add_co_u32 v4, vcc_lo, v84, v49
	v_add_co_ci_u32_e32 v5, vcc_lo, v85, v50, vcc_lo
	global_load_b64 v[35:36], v[1:2], off
	global_load_b64 v[19:20], v[4:5], off
.LBB126_14:                             ;   in Loop: Header=BB126_5 Depth=1
	s_or_b32 exec_lo, exec_lo, s3
	v_add_co_u32 v1, vcc_lo, 0xffffff83, v90
	v_add_co_ci_u32_e32 v2, vcc_lo, -1, v91, vcc_lo
	s_delay_alu instid0(VALU_DEP_1) | instskip(SKIP_1) | instid1(SALU_CYCLE_1)
	v_cmp_gt_i64_e32 vcc_lo, s[4:5], v[1:2]
	s_and_b32 s17, s2, vcc_lo
	s_and_saveexec_b32 s3, s17
	s_cbranch_execz .LBB126_16
; %bb.15:                               ;   in Loop: Header=BB126_5 Depth=1
	v_add_co_u32 v1, vcc_lo, v78, v49
	v_add_co_ci_u32_e32 v2, vcc_lo, v79, v50, vcc_lo
	v_add_co_u32 v4, vcc_lo, v80, v49
	v_add_co_ci_u32_e32 v5, vcc_lo, v81, v50, vcc_lo
	global_load_b64 v[37:38], v[1:2], off
	global_load_b64 v[21:22], v[4:5], off
.LBB126_16:                             ;   in Loop: Header=BB126_5 Depth=1
	;; [unrolled: 16-line block ×7, first 2 shown]
	s_or_b32 exec_lo, exec_lo, s3
	s_waitcnt vmcnt(0)
	v_mul_f64 v[1:2], v[17:18], v[33:34]
	ds_bpermute_b32 v4, v3, v53
	ds_bpermute_b32 v5, v3, v54
	v_mul_f64 v[6:7], v[19:20], v[35:36]
	v_mul_f64 v[8:9], v[21:22], v[37:38]
	s_waitcnt lgkmcnt(0)
	v_fma_f64 v[1:2], v[1:2], v[4:5], v[51:52]
	ds_bpermute_b32 v4, v3, v53 offset:4
	ds_bpermute_b32 v5, v3, v54 offset:4
	s_waitcnt lgkmcnt(0)
	v_fma_f64 v[1:2], v[6:7], v[4:5], v[1:2]
	ds_bpermute_b32 v4, v3, v53 offset:8
	ds_bpermute_b32 v5, v3, v54 offset:8
	v_mul_f64 v[6:7], v[23:24], v[39:40]
	s_waitcnt lgkmcnt(0)
	v_fma_f64 v[1:2], v[8:9], v[4:5], v[1:2]
	ds_bpermute_b32 v4, v3, v53 offset:12
	ds_bpermute_b32 v5, v3, v54 offset:12
	v_mul_f64 v[8:9], v[25:26], v[41:42]
	;; [unrolled: 5-line block ×3, first 2 shown]
	s_waitcnt lgkmcnt(0)
	v_fma_f64 v[1:2], v[8:9], v[4:5], v[1:2]
	ds_bpermute_b32 v4, v3, v53 offset:20
	ds_bpermute_b32 v5, v3, v54 offset:20
	s_waitcnt lgkmcnt(0)
	v_fma_f64 v[1:2], v[6:7], v[4:5], v[1:2]
	v_mul_f64 v[4:5], v[29:30], v[45:46]
	ds_bpermute_b32 v6, v3, v53 offset:24
	ds_bpermute_b32 v7, v3, v54 offset:24
	s_waitcnt lgkmcnt(0)
	v_fma_f64 v[1:2], v[4:5], v[6:7], v[1:2]
	ds_bpermute_b32 v4, v3, v53 offset:28
	ds_bpermute_b32 v5, v3, v54 offset:28
	s_branch .LBB126_4
.LBB126_27:                             ;   in Loop: Header=BB126_5 Depth=1
                                        ; implicit-def: $vgpr1_vgpr2
                                        ; implicit-def: $vgpr17_vgpr18_vgpr19_vgpr20_vgpr21_vgpr22_vgpr23_vgpr24_vgpr25_vgpr26_vgpr27_vgpr28_vgpr29_vgpr30_vgpr31_vgpr32
                                        ; implicit-def: $vgpr33_vgpr34_vgpr35_vgpr36_vgpr37_vgpr38_vgpr39_vgpr40_vgpr41_vgpr42_vgpr43_vgpr44_vgpr45_vgpr46_vgpr47_vgpr48
                                        ; implicit-def: $vgpr4
	s_cbranch_execz .LBB126_4
; %bb.28:                               ;   in Loop: Header=BB126_5 Depth=1
	s_load_b32 s3, s[36:37], 0x0
	v_mov_b32_e32 v53, 0
	v_mov_b32_e32 v54, 0
	s_waitcnt lgkmcnt(0)
	s_cmp_lt_u32 s14, s3
	s_cselect_b32 s3, 12, 18
	s_delay_alu instid0(SALU_CYCLE_1)
	s_add_u32 s18, s36, s3
	s_addc_u32 s19, s37, 0
	s_mov_b32 s3, exec_lo
	global_load_u16 v1, v3, s[18:19]
	s_waitcnt vmcnt(0)
	v_mad_u32_u24 v1, v55, v1, v57
	s_delay_alu instid0(VALU_DEP_1) | instskip(NEXT) | instid1(VALU_DEP_1)
	v_and_b32_e32 v1, 31, v1
	v_cmpx_gt_u32_e32 8, v1
	s_cbranch_execz .LBB126_32
; %bb.29:                               ;   in Loop: Header=BB126_5 Depth=1
	v_add_co_u32 v1, vcc_lo, v90, v1
	v_add_co_ci_u32_e32 v2, vcc_lo, 0, v91, vcc_lo
	v_mov_b32_e32 v53, 0
	s_delay_alu instid0(VALU_DEP_3) | instskip(NEXT) | instid1(VALU_DEP_3)
	v_add_co_u32 v1, vcc_lo, 0xffffff81, v1
	v_add_co_ci_u32_e32 v2, vcc_lo, -1, v2, vcc_lo
	v_mov_b32_e32 v54, 0
	s_mov_b32 s17, exec_lo
	s_delay_alu instid0(VALU_DEP_2)
	v_cmpx_gt_i64_e64 s[4:5], v[1:2]
	s_cbranch_execz .LBB126_31
; %bb.30:                               ;   in Loop: Header=BB126_5 Depth=1
	v_lshlrev_b64 v[1:2], 3, v[1:2]
	s_delay_alu instid0(VALU_DEP_1) | instskip(NEXT) | instid1(VALU_DEP_2)
	v_add_co_u32 v1, vcc_lo, s12, v1
	v_add_co_ci_u32_e32 v2, vcc_lo, s13, v2, vcc_lo
	global_load_b64 v[53:54], v[1:2], off
.LBB126_31:                             ;   in Loop: Header=BB126_5 Depth=1
	s_or_b32 exec_lo, exec_lo, s17
.LBB126_32:                             ;   in Loop: Header=BB126_5 Depth=1
	s_delay_alu instid0(SALU_CYCLE_1)
	s_or_b32 exec_lo, exec_lo, s3
	s_mov_b32 s31, s16
	s_mov_b32 s17, s16
	;; [unrolled: 1-line block ×15, first 2 shown]
	s_delay_alu instid0(SALU_CYCLE_1)
	v_dual_mov_b32 v32, s31 :: v_dual_mov_b32 v31, s30
	v_dual_mov_b32 v30, s29 :: v_dual_mov_b32 v29, s28
	;; [unrolled: 1-line block ×16, first 2 shown]
	s_and_saveexec_b32 s3, s2
	s_cbranch_execnz .LBB126_40
; %bb.33:                               ;   in Loop: Header=BB126_5 Depth=1
	s_or_b32 exec_lo, exec_lo, s3
	s_and_saveexec_b32 s3, s2
	s_cbranch_execnz .LBB126_41
.LBB126_34:                             ;   in Loop: Header=BB126_5 Depth=1
	s_or_b32 exec_lo, exec_lo, s3
	s_and_saveexec_b32 s3, s2
	s_cbranch_execnz .LBB126_42
.LBB126_35:                             ;   in Loop: Header=BB126_5 Depth=1
	s_or_b32 exec_lo, exec_lo, s3
	s_and_saveexec_b32 s3, s2
	s_cbranch_execnz .LBB126_43
.LBB126_36:                             ;   in Loop: Header=BB126_5 Depth=1
	s_or_b32 exec_lo, exec_lo, s3
	s_and_saveexec_b32 s3, s2
	s_cbranch_execnz .LBB126_44
.LBB126_37:                             ;   in Loop: Header=BB126_5 Depth=1
	s_or_b32 exec_lo, exec_lo, s3
	s_and_saveexec_b32 s3, s2
	s_cbranch_execnz .LBB126_45
.LBB126_38:                             ;   in Loop: Header=BB126_5 Depth=1
	s_or_b32 exec_lo, exec_lo, s3
	s_and_saveexec_b32 s3, s2
	s_cbranch_execnz .LBB126_46
.LBB126_39:                             ;   in Loop: Header=BB126_5 Depth=1
	s_or_b32 exec_lo, exec_lo, s3
	s_and_saveexec_b32 s3, s2
	s_cbranch_execz .LBB126_3
	s_branch .LBB126_47
.LBB126_40:                             ;   in Loop: Header=BB126_5 Depth=1
	v_add_co_u32 v1, vcc_lo, v86, v49
	v_add_co_ci_u32_e32 v2, vcc_lo, v87, v50, vcc_lo
	v_add_co_u32 v4, vcc_lo, v88, v49
	v_add_co_ci_u32_e32 v5, vcc_lo, v89, v50, vcc_lo
	global_load_b64 v[1:2], v[1:2], off
	v_mov_b32_e32 v16, v3
	v_mov_b32_e32 v6, v3
	global_load_b64 v[17:18], v[4:5], off
	v_mov_b32_e32 v4, v3
	v_mov_b32_e32 v5, v3
	;; [unrolled: 1-line block ×11, first 2 shown]
	s_waitcnt vmcnt(1)
	v_dual_mov_b32 v19, v3 :: v_dual_mov_b32 v48, v16
	v_dual_mov_b32 v20, v3 :: v_dual_mov_b32 v45, v13
	;; [unrolled: 1-line block ×7, first 2 shown]
	v_mov_b32_e32 v26, v3
	v_dual_mov_b32 v27, v3 :: v_dual_mov_b32 v40, v8
	v_mov_b32_e32 v28, v3
	v_dual_mov_b32 v29, v3 :: v_dual_mov_b32 v38, v6
	;; [unrolled: 2-line block ×3, first 2 shown]
	v_mov_b32_e32 v47, v15
	v_mov_b32_e32 v43, v11
	;; [unrolled: 1-line block ×5, first 2 shown]
	v_dual_mov_b32 v34, v2 :: v_dual_mov_b32 v33, v1
	s_or_b32 exec_lo, exec_lo, s3
	s_and_saveexec_b32 s3, s2
	s_cbranch_execz .LBB126_34
.LBB126_41:                             ;   in Loop: Header=BB126_5 Depth=1
	v_add_co_u32 v1, vcc_lo, v82, v49
	v_add_co_ci_u32_e32 v2, vcc_lo, v83, v50, vcc_lo
	v_add_co_u32 v4, vcc_lo, v84, v49
	v_add_co_ci_u32_e32 v5, vcc_lo, v85, v50, vcc_lo
	global_load_b64 v[35:36], v[1:2], off
	global_load_b64 v[19:20], v[4:5], off
	s_or_b32 exec_lo, exec_lo, s3
	s_and_saveexec_b32 s3, s2
	s_cbranch_execz .LBB126_35
.LBB126_42:                             ;   in Loop: Header=BB126_5 Depth=1
	v_add_co_u32 v1, vcc_lo, v78, v49
	v_add_co_ci_u32_e32 v2, vcc_lo, v79, v50, vcc_lo
	v_add_co_u32 v4, vcc_lo, v80, v49
	v_add_co_ci_u32_e32 v5, vcc_lo, v81, v50, vcc_lo
	global_load_b64 v[37:38], v[1:2], off
	global_load_b64 v[21:22], v[4:5], off
	s_or_b32 exec_lo, exec_lo, s3
	s_and_saveexec_b32 s3, s2
	s_cbranch_execz .LBB126_36
.LBB126_43:                             ;   in Loop: Header=BB126_5 Depth=1
	v_add_co_u32 v1, vcc_lo, v74, v49
	v_add_co_ci_u32_e32 v2, vcc_lo, v75, v50, vcc_lo
	v_add_co_u32 v4, vcc_lo, v76, v49
	v_add_co_ci_u32_e32 v5, vcc_lo, v77, v50, vcc_lo
	global_load_b64 v[39:40], v[1:2], off
	global_load_b64 v[23:24], v[4:5], off
	s_or_b32 exec_lo, exec_lo, s3
	s_and_saveexec_b32 s3, s2
	s_cbranch_execz .LBB126_37
.LBB126_44:                             ;   in Loop: Header=BB126_5 Depth=1
	v_add_co_u32 v1, vcc_lo, v70, v49
	v_add_co_ci_u32_e32 v2, vcc_lo, v71, v50, vcc_lo
	v_add_co_u32 v4, vcc_lo, v72, v49
	v_add_co_ci_u32_e32 v5, vcc_lo, v73, v50, vcc_lo
	global_load_b64 v[41:42], v[1:2], off
	global_load_b64 v[25:26], v[4:5], off
	s_or_b32 exec_lo, exec_lo, s3
	s_and_saveexec_b32 s3, s2
	s_cbranch_execz .LBB126_38
.LBB126_45:                             ;   in Loop: Header=BB126_5 Depth=1
	v_add_co_u32 v1, vcc_lo, v66, v49
	v_add_co_ci_u32_e32 v2, vcc_lo, v67, v50, vcc_lo
	v_add_co_u32 v4, vcc_lo, v68, v49
	v_add_co_ci_u32_e32 v5, vcc_lo, v69, v50, vcc_lo
	global_load_b64 v[43:44], v[1:2], off
	global_load_b64 v[27:28], v[4:5], off
	s_or_b32 exec_lo, exec_lo, s3
	s_and_saveexec_b32 s3, s2
	s_cbranch_execz .LBB126_39
.LBB126_46:                             ;   in Loop: Header=BB126_5 Depth=1
	v_add_co_u32 v1, vcc_lo, v62, v49
	v_add_co_ci_u32_e32 v2, vcc_lo, v63, v50, vcc_lo
	v_add_co_u32 v4, vcc_lo, v64, v49
	v_add_co_ci_u32_e32 v5, vcc_lo, v65, v50, vcc_lo
	global_load_b64 v[45:46], v[1:2], off
	global_load_b64 v[29:30], v[4:5], off
	s_or_b32 exec_lo, exec_lo, s3
	s_and_saveexec_b32 s3, s2
	s_cbranch_execz .LBB126_3
.LBB126_47:                             ;   in Loop: Header=BB126_5 Depth=1
	v_add_co_u32 v1, vcc_lo, v58, v49
	v_add_co_ci_u32_e32 v2, vcc_lo, v59, v50, vcc_lo
	v_add_co_u32 v4, vcc_lo, v60, v49
	v_add_co_ci_u32_e32 v5, vcc_lo, v61, v50, vcc_lo
	global_load_b64 v[47:48], v[1:2], off
	global_load_b64 v[31:32], v[4:5], off
	s_branch .LBB126_3
.LBB126_48:
                                        ; implicit-def: $vgpr51_vgpr52
	s_branch .LBB126_50
.LBB126_49:
	s_cbranch_execnz .LBB126_82
.LBB126_50:
	v_mov_b32_e32 v51, 0
	v_mov_b32_e32 v52, 0
	s_and_not1_b32 vcc_lo, exec_lo, s15
	s_cbranch_vccnz .LBB126_82
; %bb.51:
	s_load_b32 s2, s[0:1], 0x44
	v_bfe_u32 v84, v0, 10, 10
	v_and_b32_e32 v83, 0x3ff, v0
	s_add_u32 s36, s0, 64
	s_addc_u32 s37, s1, 0
	v_mov_b32_e32 v81, 0
	v_dual_mov_b32 v82, 0 :: v_dual_lshlrev_b32 v1, 6, v84
	v_dual_mov_b32 v3, 0 :: v_dual_add_nc_u32 v2, s33, v83
	v_lshlrev_b32_e32 v85, 3, v84
	s_delay_alu instid0(VALU_DEP_2)
	v_lshlrev_b64 v[49:50], 3, v[2:3]
	s_waitcnt lgkmcnt(0)
	s_lshl_b32 s15, s2, 7
	s_add_u32 s38, s34, 0x7f
	s_addc_u32 s39, 0, 0
	s_lshl_b64 s[2:3], s[34:35], 3
	s_mul_i32 s16, s7, s15
	v_add_co_u32 v1, s2, v1, s2
	s_delay_alu instid0(VALU_DEP_1) | instskip(SKIP_1) | instid1(VALU_DEP_3)
	v_add_co_ci_u32_e64 v2, null, 0, s3, s2
	v_add_co_u32 v24, s3, v85, s34
	v_add_co_u32 v6, vcc_lo, v1, 8
	s_delay_alu instid0(VALU_DEP_3) | instskip(SKIP_3) | instid1(VALU_DEP_4)
	v_add_co_ci_u32_e32 v4, vcc_lo, 0, v2, vcc_lo
	v_add_co_u32 v7, vcc_lo, v1, 16
	v_add_co_ci_u32_e32 v5, vcc_lo, 0, v2, vcc_lo
	v_add_co_u32 v10, vcc_lo, v1, 24
	v_mul_lo_u32 v8, s6, v4
	v_add_co_ci_u32_e32 v4, vcc_lo, 0, v2, vcc_lo
	v_add_co_u32 v13, vcc_lo, v1, 32
	v_mul_lo_u32 v11, s6, v5
	;; [unrolled: 3-line block ×4, first 2 shown]
	v_add_co_ci_u32_e32 v5, vcc_lo, 0, v2, vcc_lo
	v_add_co_ci_u32_e64 v25, null, 0, 0, s3
	v_add_co_u32 v26, vcc_lo, v1, 56
	v_mul_lo_u32 v20, s6, v4
	s_delay_alu instid0(VALU_DEP_4) | instskip(SKIP_4) | instid1(VALU_DEP_4)
	v_mul_lo_u32 v22, s6, v5
	v_add_co_ci_u32_e32 v4, vcc_lo, 0, v2, vcc_lo
	v_mul_lo_u32 v5, s7, v24
	v_mul_lo_u32 v27, s6, v25
	v_mad_u64_u32 v[1:2], null, s6, v24, 0
	v_mul_lo_u32 v28, s6, v4
	v_mad_u64_u32 v[53:54], null, s6, v6, s[8:9]
	;; [unrolled: 2-line block ×3, first 2 shown]
	v_add3_u32 v2, v2, v27, v5
	v_mad_u64_u32 v[55:56], null, s6, v7, s[8:9]
	v_mul_lo_u32 v12, s7, v7
	v_mad_u64_u32 v[69:70], null, s6, v7, s[10:11]
	s_delay_alu instid0(VALU_DEP_4)
	v_lshlrev_b64 v[4:5], 3, v[1:2]
	v_add3_u32 v54, v9, v54, v8
	v_add3_u32 v68, v9, v68, v8
	v_mad_u64_u32 v[57:58], null, s6, v10, s[8:9]
	v_mul_lo_u32 v15, s7, v10
	v_add_co_u32 v86, vcc_lo, s8, v4
	v_add_co_ci_u32_e32 v87, vcc_lo, s9, v5, vcc_lo
	v_add_co_u32 v8, vcc_lo, v24, 7
	v_add_co_ci_u32_e32 v6, vcc_lo, 0, v25, vcc_lo
	v_mad_u64_u32 v[71:72], null, s6, v10, s[10:11]
	v_add3_u32 v56, v12, v56, v11
	v_add3_u32 v70, v12, v70, v11
	v_add_co_u32 v12, vcc_lo, v24, 6
	v_mul_lo_u32 v10, s7, v8
	v_mul_lo_u32 v11, s6, v6
	v_mad_u64_u32 v[6:7], null, s6, v8, 0
	v_add_co_ci_u32_e32 v9, vcc_lo, 0, v25, vcc_lo
	v_mad_u64_u32 v[59:60], null, s6, v13, s[8:9]
	v_mul_lo_u32 v18, s7, v13
	v_add3_u32 v58, v15, v58, v14
	v_mad_u64_u32 v[73:74], null, s6, v13, s[10:11]
	v_add3_u32 v72, v15, v72, v14
	v_mul_lo_u32 v13, s7, v12
	v_mul_lo_u32 v14, s6, v9
	v_mad_u64_u32 v[8:9], null, s6, v12, 0
	v_add3_u32 v7, v7, v11, v10
	v_add_co_u32 v88, vcc_lo, s10, v4
	v_add_co_ci_u32_e32 v89, vcc_lo, s11, v5, vcc_lo
	s_delay_alu instid0(VALU_DEP_3) | instskip(SKIP_3) | instid1(VALU_DEP_4)
	v_lshlrev_b64 v[4:5], 3, v[6:7]
	v_add3_u32 v9, v9, v14, v13
	v_add_co_u32 v10, vcc_lo, v24, 5
	v_add_co_ci_u32_e32 v11, vcc_lo, 0, v25, vcc_lo
	v_add_co_u32 v90, vcc_lo, s8, v4
	s_delay_alu instid0(VALU_DEP_4)
	v_lshlrev_b64 v[6:7], 3, v[8:9]
	v_add_co_ci_u32_e32 v91, vcc_lo, s9, v5, vcc_lo
	v_mul_lo_u32 v12, s7, v10
	v_mul_lo_u32 v11, s6, v11
	v_mad_u64_u32 v[8:9], null, s6, v10, 0
	v_add_co_u32 v92, vcc_lo, s10, v4
	v_add_co_ci_u32_e32 v93, vcc_lo, s11, v5, vcc_lo
	v_add_co_u32 v94, vcc_lo, s8, v6
	v_add_co_ci_u32_e32 v95, vcc_lo, s9, v7, vcc_lo
	s_mul_hi_u32 s2, s6, s15
	v_add_co_u32 v10, vcc_lo, v24, 4
	v_add3_u32 v9, v9, v11, v12
	s_add_i32 s3, s2, s16
	v_add_co_u32 v96, s2, s10, v6
	v_add_co_ci_u32_e32 v6, vcc_lo, 0, v25, vcc_lo
	v_add_co_u32 v12, vcc_lo, v24, 3
	v_lshlrev_b64 v[4:5], 3, v[8:9]
	v_add_co_ci_u32_e32 v8, vcc_lo, 0, v25, vcc_lo
	v_add_co_ci_u32_e64 v97, s2, s11, v7, s2
	v_mul_lo_u32 v11, s7, v10
	v_mul_lo_u32 v13, s6, v6
	v_mad_u64_u32 v[6:7], null, s6, v10, 0
	v_mul_lo_u32 v10, s7, v12
	v_mul_lo_u32 v14, s6, v8
	v_mad_u64_u32 v[8:9], null, s6, v12, 0
	v_add_co_u32 v98, vcc_lo, s8, v4
	v_add_co_ci_u32_e32 v99, vcc_lo, s9, v5, vcc_lo
	v_add3_u32 v7, v7, v13, v11
	v_add_co_u32 v100, vcc_lo, s10, v4
	v_add_co_ci_u32_e32 v101, vcc_lo, s11, v5, vcc_lo
	v_add3_u32 v9, v9, v14, v10
	v_add_co_u32 v10, vcc_lo, v24, 2
	v_lshlrev_b64 v[4:5], 3, v[6:7]
	v_add_co_ci_u32_e32 v11, vcc_lo, 0, v25, vcc_lo
	s_delay_alu instid0(VALU_DEP_4) | instskip(NEXT) | instid1(VALU_DEP_4)
	v_lshlrev_b64 v[6:7], 3, v[8:9]
	v_mul_lo_u32 v12, s7, v10
	v_mad_u64_u32 v[8:9], null, s6, v10, 0
	v_add_co_u32 v102, vcc_lo, s8, v4
	v_mul_lo_u32 v11, s6, v11
	v_add_co_ci_u32_e32 v103, vcc_lo, s9, v5, vcc_lo
	v_add_co_u32 v104, vcc_lo, s10, v4
	v_add_co_ci_u32_e32 v105, vcc_lo, s11, v5, vcc_lo
	v_add_co_u32 v106, vcc_lo, s8, v6
	v_add_co_ci_u32_e32 v107, vcc_lo, s9, v7, vcc_lo
	v_add3_u32 v9, v9, v11, v12
	v_add_co_u32 v108, vcc_lo, s10, v6
	v_add_co_ci_u32_e32 v109, vcc_lo, s11, v7, vcc_lo
	v_add_co_u32 v1, vcc_lo, v1, s6
	s_delay_alu instid0(VALU_DEP_4) | instskip(SKIP_3) | instid1(VALU_DEP_4)
	v_lshlrev_b64 v[4:5], 3, v[8:9]
	v_add_co_ci_u32_e32 v2, vcc_lo, s7, v2, vcc_lo
	v_mad_u64_u32 v[61:62], null, s6, v17, s[8:9]
	v_mul_lo_u32 v21, s7, v17
	v_add_co_u32 v110, vcc_lo, s8, v4
	s_delay_alu instid0(VALU_DEP_4)
	v_lshlrev_b64 v[1:2], 3, v[1:2]
	v_add_co_ci_u32_e32 v111, vcc_lo, s9, v5, vcc_lo
	v_mad_u64_u32 v[63:64], null, s6, v19, s[8:9]
	v_mul_lo_u32 v23, s7, v19
	v_mad_u64_u32 v[65:66], null, s6, v26, s[8:9]
	v_mul_lo_u32 v29, s7, v26
	v_mad_u64_u32 v[75:76], null, s6, v17, s[10:11]
	v_mad_u64_u32 v[77:78], null, s6, v19, s[10:11]
	;; [unrolled: 1-line block ×3, first 2 shown]
	v_add_co_u32 v112, vcc_lo, s10, v4
	v_add_co_ci_u32_e32 v113, vcc_lo, s11, v5, vcc_lo
	v_add_co_u32 v114, vcc_lo, s8, v1
	v_add_co_ci_u32_e32 v115, vcc_lo, s9, v2, vcc_lo
	v_add_co_u32 v116, vcc_lo, s10, v1
	v_add3_u32 v60, v18, v60, v16
	v_add3_u32 v62, v21, v62, v20
	;; [unrolled: 1-line block ×8, first 2 shown]
	v_add_co_ci_u32_e32 v117, vcc_lo, s11, v2, vcc_lo
	s_mul_i32 s2, s6, s15
	s_mov_b32 s16, 0
	s_lshl_b64 s[2:3], s[2:3], 3
.LBB126_52:                             ; =>This Inner Loop Header: Depth=1
	v_cmp_ge_i64_e64 s8, s[38:39], s[4:5]
	v_add_co_u32 v118, s9, v85, s38
	s_delay_alu instid0(VALU_DEP_1) | instskip(NEXT) | instid1(VALU_DEP_3)
	v_add_co_ci_u32_e64 v119, null, 0, s39, s9
	s_and_b32 vcc_lo, exec_lo, s8
	s_cbranch_vccz .LBB126_74
; %bb.53:                               ;   in Loop: Header=BB126_52 Depth=1
	s_load_b32 s8, s[36:37], 0xc
	v_mov_b32_e32 v51, 0
	v_mov_b32_e32 v52, 0
	s_waitcnt lgkmcnt(0)
	s_and_b32 s8, s8, 0xffff
	s_delay_alu instid0(SALU_CYCLE_1) | instskip(SKIP_1) | instid1(VALU_DEP_1)
	v_mad_u32_u24 v1, v84, s8, v83
	s_mov_b32 s8, exec_lo
	v_and_b32_e32 v1, 31, v1
	s_delay_alu instid0(VALU_DEP_1)
	v_cmpx_gt_u32_e32 8, v1
	s_cbranch_execz .LBB126_57
; %bb.54:                               ;   in Loop: Header=BB126_52 Depth=1
	v_add_co_u32 v1, vcc_lo, v118, v1
	v_add_co_ci_u32_e32 v2, vcc_lo, 0, v119, vcc_lo
	v_mov_b32_e32 v51, 0
	s_delay_alu instid0(VALU_DEP_3) | instskip(NEXT) | instid1(VALU_DEP_3)
	v_add_co_u32 v1, vcc_lo, 0xffffff81, v1
	v_add_co_ci_u32_e32 v2, vcc_lo, -1, v2, vcc_lo
	v_mov_b32_e32 v52, 0
	s_mov_b32 s9, exec_lo
	s_delay_alu instid0(VALU_DEP_2)
	v_cmpx_gt_i64_e64 s[4:5], v[1:2]
	s_cbranch_execz .LBB126_56
; %bb.55:                               ;   in Loop: Header=BB126_52 Depth=1
	v_lshlrev_b64 v[1:2], 3, v[1:2]
	s_delay_alu instid0(VALU_DEP_1) | instskip(NEXT) | instid1(VALU_DEP_2)
	v_add_co_u32 v1, vcc_lo, s12, v1
	v_add_co_ci_u32_e32 v2, vcc_lo, s13, v2, vcc_lo
	global_load_b64 v[51:52], v[1:2], off
.LBB126_56:                             ;   in Loop: Header=BB126_52 Depth=1
	s_or_b32 exec_lo, exec_lo, s9
.LBB126_57:                             ;   in Loop: Header=BB126_52 Depth=1
	s_delay_alu instid0(SALU_CYCLE_1)
	s_or_b32 exec_lo, exec_lo, s8
	s_mov_b32 s31, s16
	s_mov_b32 s17, s16
	;; [unrolled: 1-line block ×15, first 2 shown]
	s_delay_alu instid0(SALU_CYCLE_1)
	v_dual_mov_b32 v32, s31 :: v_dual_mov_b32 v31, s30
	v_dual_mov_b32 v30, s29 :: v_dual_mov_b32 v29, s28
	;; [unrolled: 1-line block ×8, first 2 shown]
	v_add_co_u32 v1, vcc_lo, 0xffffff81, v118
	v_dual_mov_b32 v48, v32 :: v_dual_mov_b32 v47, v31
	v_add_co_ci_u32_e32 v2, vcc_lo, -1, v119, vcc_lo
	v_dual_mov_b32 v46, v30 :: v_dual_mov_b32 v45, v29
	v_dual_mov_b32 v44, v28 :: v_dual_mov_b32 v43, v27
	;; [unrolled: 1-line block ×7, first 2 shown]
	s_mov_b32 s8, exec_lo
	v_cmpx_gt_i64_e64 s[4:5], v[1:2]
	s_cbranch_execz .LBB126_59
; %bb.58:                               ;   in Loop: Header=BB126_52 Depth=1
	v_add_co_u32 v1, vcc_lo, v86, v49
	v_add_co_ci_u32_e32 v2, vcc_lo, v87, v50, vcc_lo
	v_add_co_u32 v4, vcc_lo, v88, v49
	v_add_co_ci_u32_e32 v5, vcc_lo, v89, v50, vcc_lo
	global_load_b64 v[1:2], v[1:2], off
	v_mov_b32_e32 v16, v3
	v_mov_b32_e32 v6, v3
	global_load_b64 v[17:18], v[4:5], off
	v_mov_b32_e32 v4, v3
	v_mov_b32_e32 v5, v3
	;; [unrolled: 1-line block ×11, first 2 shown]
	s_waitcnt vmcnt(1)
	v_dual_mov_b32 v19, v3 :: v_dual_mov_b32 v48, v16
	v_dual_mov_b32 v20, v3 :: v_dual_mov_b32 v45, v13
	;; [unrolled: 1-line block ×7, first 2 shown]
	v_mov_b32_e32 v26, v3
	v_dual_mov_b32 v27, v3 :: v_dual_mov_b32 v40, v8
	v_mov_b32_e32 v28, v3
	v_dual_mov_b32 v29, v3 :: v_dual_mov_b32 v38, v6
	;; [unrolled: 2-line block ×3, first 2 shown]
	v_mov_b32_e32 v47, v15
	v_mov_b32_e32 v43, v11
	v_mov_b32_e32 v39, v7
	v_mov_b32_e32 v35, v3
	v_mov_b32_e32 v32, v3
	v_dual_mov_b32 v34, v2 :: v_dual_mov_b32 v33, v1
.LBB126_59:                             ;   in Loop: Header=BB126_52 Depth=1
	s_or_b32 exec_lo, exec_lo, s8
	v_add_co_u32 v1, vcc_lo, 0xffffff82, v118
	v_add_co_ci_u32_e32 v2, vcc_lo, -1, v119, vcc_lo
	s_mov_b32 s8, exec_lo
	s_delay_alu instid0(VALU_DEP_1)
	v_cmpx_gt_i64_e64 s[4:5], v[1:2]
	s_cbranch_execz .LBB126_61
; %bb.60:                               ;   in Loop: Header=BB126_52 Depth=1
	v_add_co_u32 v1, vcc_lo, v114, v49
	v_add_co_ci_u32_e32 v2, vcc_lo, v115, v50, vcc_lo
	v_add_co_u32 v4, vcc_lo, v116, v49
	v_add_co_ci_u32_e32 v5, vcc_lo, v117, v50, vcc_lo
	global_load_b64 v[35:36], v[1:2], off
	global_load_b64 v[19:20], v[4:5], off
.LBB126_61:                             ;   in Loop: Header=BB126_52 Depth=1
	s_or_b32 exec_lo, exec_lo, s8
	v_add_co_u32 v1, vcc_lo, 0xffffff83, v118
	v_add_co_ci_u32_e32 v2, vcc_lo, -1, v119, vcc_lo
	s_mov_b32 s8, exec_lo
	s_delay_alu instid0(VALU_DEP_1)
	v_cmpx_gt_i64_e64 s[4:5], v[1:2]
	s_cbranch_execz .LBB126_63
; %bb.62:                               ;   in Loop: Header=BB126_52 Depth=1
	v_add_co_u32 v1, vcc_lo, v110, v49
	v_add_co_ci_u32_e32 v2, vcc_lo, v111, v50, vcc_lo
	v_add_co_u32 v4, vcc_lo, v112, v49
	v_add_co_ci_u32_e32 v5, vcc_lo, v113, v50, vcc_lo
	global_load_b64 v[37:38], v[1:2], off
	global_load_b64 v[21:22], v[4:5], off
.LBB126_63:                             ;   in Loop: Header=BB126_52 Depth=1
	;; [unrolled: 15-line block ×7, first 2 shown]
	s_or_b32 exec_lo, exec_lo, s8
	s_waitcnt vmcnt(0)
	v_mul_f64 v[1:2], v[17:18], v[33:34]
	ds_bpermute_b32 v4, v3, v51
	ds_bpermute_b32 v5, v3, v52
	v_mul_f64 v[6:7], v[19:20], v[35:36]
	v_mul_f64 v[8:9], v[21:22], v[37:38]
	s_waitcnt lgkmcnt(0)
	v_fma_f64 v[1:2], v[1:2], v[4:5], v[81:82]
	ds_bpermute_b32 v4, v3, v51 offset:4
	ds_bpermute_b32 v5, v3, v52 offset:4
	s_waitcnt lgkmcnt(0)
	v_fma_f64 v[1:2], v[6:7], v[4:5], v[1:2]
	ds_bpermute_b32 v4, v3, v51 offset:8
	ds_bpermute_b32 v5, v3, v52 offset:8
	v_mul_f64 v[6:7], v[23:24], v[39:40]
	s_waitcnt lgkmcnt(0)
	v_fma_f64 v[1:2], v[8:9], v[4:5], v[1:2]
	ds_bpermute_b32 v4, v3, v51 offset:12
	ds_bpermute_b32 v5, v3, v52 offset:12
	v_mul_f64 v[8:9], v[25:26], v[41:42]
	;; [unrolled: 5-line block ×4, first 2 shown]
	s_waitcnt lgkmcnt(0)
	v_fma_f64 v[1:2], v[6:7], v[4:5], v[1:2]
	ds_bpermute_b32 v4, v3, v51 offset:24
	ds_bpermute_b32 v5, v3, v52 offset:24
	;; [unrolled: 1-line block ×4, first 2 shown]
	s_waitcnt lgkmcnt(2)
	v_fma_f64 v[1:2], v[8:9], v[4:5], v[1:2]
	v_mul_f64 v[4:5], v[31:32], v[47:48]
	s_waitcnt lgkmcnt(0)
	s_delay_alu instid0(VALU_DEP_1)
	v_fma_f64 v[51:52], v[4:5], v[6:7], v[1:2]
	s_branch .LBB126_80
.LBB126_74:                             ;   in Loop: Header=BB126_52 Depth=1
                                        ; implicit-def: $vgpr51_vgpr52
	s_cbranch_execz .LBB126_80
; %bb.75:                               ;   in Loop: Header=BB126_52 Depth=1
	s_load_b32 s8, s[36:37], 0x0
	s_waitcnt lgkmcnt(0)
	s_cmp_lt_u32 s14, s8
	s_cselect_b32 s8, 12, 18
	s_delay_alu instid0(SALU_CYCLE_1)
	s_add_u32 s8, s36, s8
	s_addc_u32 s9, s37, 0
	global_load_u16 v1, v3, s[8:9]
	s_mov_b32 s8, exec_lo
	s_waitcnt vmcnt(0)
	v_mad_u32_u24 v1, v84, v1, v83
	s_delay_alu instid0(VALU_DEP_1) | instskip(SKIP_1) | instid1(VALU_DEP_2)
	v_dual_mov_b32 v1, 0 :: v_dual_and_b32 v4, 31, v1
	v_mov_b32_e32 v2, 0
	v_cmpx_gt_u32_e32 8, v4
	s_cbranch_execz .LBB126_79
; %bb.76:                               ;   in Loop: Header=BB126_52 Depth=1
	v_add_co_u32 v1, vcc_lo, v118, v4
	v_add_co_ci_u32_e32 v2, vcc_lo, 0, v119, vcc_lo
	s_mov_b32 s9, exec_lo
	s_delay_alu instid0(VALU_DEP_2) | instskip(NEXT) | instid1(VALU_DEP_2)
	v_add_co_u32 v4, vcc_lo, 0xffffff81, v1
	v_add_co_ci_u32_e32 v5, vcc_lo, -1, v2, vcc_lo
	v_mov_b32_e32 v1, 0
	v_mov_b32_e32 v2, 0
	s_delay_alu instid0(VALU_DEP_3)
	v_cmpx_gt_i64_e64 s[4:5], v[4:5]
	s_cbranch_execz .LBB126_78
; %bb.77:                               ;   in Loop: Header=BB126_52 Depth=1
	v_lshlrev_b64 v[1:2], 3, v[4:5]
	s_delay_alu instid0(VALU_DEP_1) | instskip(NEXT) | instid1(VALU_DEP_2)
	v_add_co_u32 v1, vcc_lo, s12, v1
	v_add_co_ci_u32_e32 v2, vcc_lo, s13, v2, vcc_lo
	global_load_b64 v[1:2], v[1:2], off
.LBB126_78:                             ;   in Loop: Header=BB126_52 Depth=1
	s_or_b32 exec_lo, exec_lo, s9
.LBB126_79:                             ;   in Loop: Header=BB126_52 Depth=1
	s_delay_alu instid0(SALU_CYCLE_1)
	s_or_b32 exec_lo, exec_lo, s8
	v_add_co_u32 v4, vcc_lo, v86, v49
	v_add_co_ci_u32_e32 v5, vcc_lo, v87, v50, vcc_lo
	v_add_co_u32 v6, vcc_lo, v88, v49
	v_add_co_ci_u32_e32 v7, vcc_lo, v89, v50, vcc_lo
	v_add_co_u32 v8, vcc_lo, v53, v49
	global_load_b64 v[4:5], v[4:5], off
	global_load_b64 v[6:7], v[6:7], off
	v_add_co_ci_u32_e32 v9, vcc_lo, v54, v50, vcc_lo
	v_add_co_u32 v10, vcc_lo, v67, v49
	v_add_co_ci_u32_e32 v11, vcc_lo, v68, v50, vcc_lo
	global_load_b64 v[8:9], v[8:9], off
	global_load_b64 v[10:11], v[10:11], off
	v_add_co_u32 v12, vcc_lo, v55, v49
	v_add_co_ci_u32_e32 v13, vcc_lo, v56, v50, vcc_lo
	v_add_co_u32 v14, vcc_lo, v69, v49
	v_add_co_ci_u32_e32 v15, vcc_lo, v70, v50, vcc_lo
	global_load_b64 v[12:13], v[12:13], off
	global_load_b64 v[14:15], v[14:15], off
	v_add_co_u32 v16, vcc_lo, v57, v49
	;; [unrolled: 6-line block ×6, first 2 shown]
	v_add_co_ci_u32_e32 v33, vcc_lo, v66, v50, vcc_lo
	v_add_co_u32 v34, vcc_lo, v79, v49
	v_add_co_ci_u32_e32 v35, vcc_lo, v80, v50, vcc_lo
	global_load_b64 v[32:33], v[32:33], off
	global_load_b64 v[34:35], v[34:35], off
	s_waitcnt vmcnt(14)
	v_mul_f64 v[4:5], v[4:5], v[6:7]
	ds_bpermute_b32 v6, v3, v1
	ds_bpermute_b32 v7, v3, v2
	s_waitcnt vmcnt(12)
	v_mul_f64 v[8:9], v[8:9], v[10:11]
	s_waitcnt vmcnt(10)
	v_mul_f64 v[10:11], v[12:13], v[14:15]
	s_waitcnt lgkmcnt(0)
	v_fma_f64 v[4:5], v[4:5], v[6:7], v[81:82]
	ds_bpermute_b32 v6, v3, v1 offset:4
	ds_bpermute_b32 v7, v3, v2 offset:4
	s_waitcnt lgkmcnt(0)
	v_fma_f64 v[4:5], v[8:9], v[6:7], v[4:5]
	ds_bpermute_b32 v6, v3, v1 offset:8
	ds_bpermute_b32 v7, v3, v2 offset:8
	s_waitcnt vmcnt(8)
	v_mul_f64 v[8:9], v[16:17], v[18:19]
	s_waitcnt lgkmcnt(0)
	v_fma_f64 v[4:5], v[10:11], v[6:7], v[4:5]
	ds_bpermute_b32 v6, v3, v1 offset:12
	ds_bpermute_b32 v7, v3, v2 offset:12
	s_waitcnt vmcnt(6)
	v_mul_f64 v[10:11], v[20:21], v[22:23]
	;; [unrolled: 6-line block ×4, first 2 shown]
	s_waitcnt lgkmcnt(0)
	v_fma_f64 v[4:5], v[8:9], v[6:7], v[4:5]
	ds_bpermute_b32 v6, v3, v1 offset:24
	ds_bpermute_b32 v7, v3, v2 offset:24
	;; [unrolled: 1-line block ×4, first 2 shown]
	s_waitcnt lgkmcnt(2)
	v_fma_f64 v[4:5], v[10:11], v[6:7], v[4:5]
	s_waitcnt vmcnt(0)
	v_mul_f64 v[6:7], v[32:33], v[34:35]
	s_waitcnt lgkmcnt(0)
	s_delay_alu instid0(VALU_DEP_1)
	v_fma_f64 v[51:52], v[6:7], v[1:2], v[4:5]
.LBB126_80:                             ;   in Loop: Header=BB126_52 Depth=1
	v_add_co_u32 v53, vcc_lo, v53, s2
	v_add_co_ci_u32_e32 v54, vcc_lo, s3, v54, vcc_lo
	v_add_co_u32 v55, vcc_lo, v55, s2
	v_add_co_ci_u32_e32 v56, vcc_lo, s3, v56, vcc_lo
	;; [unrolled: 2-line block ×27, first 2 shown]
	v_add_co_u32 v112, vcc_lo, v112, s2
	s_add_u32 s34, s34, s15
	v_add_co_ci_u32_e32 v113, vcc_lo, s3, v113, vcc_lo
	s_addc_u32 s35, s35, 0
	v_add_co_u32 v114, vcc_lo, v114, s2
	v_cmp_ge_i64_e64 s8, s[34:35], s[4:5]
	v_add_co_ci_u32_e32 v115, vcc_lo, s3, v115, vcc_lo
	v_add_co_u32 v116, vcc_lo, v116, s2
	v_add_co_ci_u32_e32 v117, vcc_lo, s3, v117, vcc_lo
	s_add_u32 s38, s38, s15
	s_addc_u32 s39, s39, 0
	s_and_b32 vcc_lo, exec_lo, s8
	s_cbranch_vccnz .LBB126_82
; %bb.81:                               ;   in Loop: Header=BB126_52 Depth=1
	v_dual_mov_b32 v82, v52 :: v_dual_mov_b32 v81, v51
	s_branch .LBB126_52
.LBB126_82:
	v_and_b32_e32 v2, 0x3ff, v0
	v_bfe_u32 v1, v0, 10, 10
	v_mov_b32_e32 v0, 0
	s_mov_b32 s15, 0
	s_mov_b32 s2, exec_lo
	s_delay_alu instid0(VALU_DEP_2) | instskip(NEXT) | instid1(VALU_DEP_1)
	v_mad_u32_u24 v4, 0x41, v1, v2
	v_sub_nc_u32_e32 v3, v4, v1
	v_mov_b32_e32 v1, v0
	v_lshl_add_u32 v4, v4, 3, 0
	ds_store_b64 v4, v[51:52]
	ds_store_b64 v4, v[0:1] offset:8320
	s_waitcnt lgkmcnt(0)
	s_barrier
	buffer_gl0_inv
	v_cmpx_gt_u32_e32 0x800, v3
	s_cbranch_execz .LBB126_89
; %bb.83:
	v_lshrrev_b32_e32 v4, 5, v3
	v_mbcnt_lo_u32_b32 v3, -1, 0
	v_dual_mov_b32 v10, v0 :: v_dual_and_b32 v1, 31, v2
	v_cmp_ne_u32_e32 vcc_lo, 0, v2
	s_load_b64 s[8:9], s[0:1], 0x30
	s_delay_alu instid0(VALU_DEP_3)
	v_xor_b32_e32 v2, 8, v3
	v_xor_b32_e32 v5, 4, v3
	;; [unrolled: 1-line block ×4, first 2 shown]
	s_lshl_b64 s[4:5], s[14:15], 6
	v_cmp_gt_i32_e64 s1, 32, v2
	v_lshlrev_b32_e32 v11, 3, v4
	v_cmp_gt_u32_e64 s0, 16, v1
	v_mul_u32_u24_e32 v1, 0x208, v1
	s_delay_alu instid0(VALU_DEP_4) | instskip(SKIP_1) | instid1(VALU_DEP_1)
	v_cndmask_b32_e64 v2, v3, v2, s1
	v_cmp_gt_i32_e64 s1, 32, v5
	v_cndmask_b32_e64 v8, v3, v5, s1
	v_cmp_gt_i32_e64 s1, 32, v6
	s_delay_alu instid0(VALU_DEP_4)
	v_lshlrev_b32_e32 v5, 2, v2
	s_waitcnt lgkmcnt(0)
	s_cmp_eq_u64 s[8:9], 0
	s_cselect_b32 s3, -1, 0
	v_cndmask_b32_e64 v9, v3, v6, s1
	v_cmp_gt_i32_e64 s1, 32, v7
	s_lshl_b64 s[10:11], s[14:15], 9
	v_lshlrev_b32_e32 v6, 2, v8
	s_delay_alu instid0(VALU_DEP_2)
	v_cndmask_b32_e64 v3, v3, v7, s1
	s_add_u32 s1, s8, s10
	s_addc_u32 s2, s9, s11
	v_add_co_u32 v0, s1, s1, v11
	v_lshlrev_b32_e32 v7, 2, v9
	v_lshlrev_b32_e32 v8, 2, v3
	v_add3_u32 v9, v1, v11, 0
	v_add_co_ci_u32_e64 v1, null, s2, 0, s1
                                        ; implicit-def: $vgpr2_vgpr3
	s_branch .LBB126_85
.LBB126_84:                             ;   in Loop: Header=BB126_85 Depth=1
	s_or_b32 exec_lo, exec_lo, s1
	v_add_co_u32 v4, s1, v4, 32
	s_delay_alu instid0(VALU_DEP_1) | instskip(SKIP_1) | instid1(VALU_DEP_3)
	v_add_co_ci_u32_e64 v10, s1, 0, v10, s1
	v_add_co_u32 v0, s2, 0x100, v0
	v_subrev_nc_u32_e32 v11, 32, v4
	v_add_nc_u32_e32 v9, 0x100, v9
	v_add_co_ci_u32_e64 v1, s2, 0, v1, s2
	s_delay_alu instid0(VALU_DEP_3) | instskip(NEXT) | instid1(VALU_DEP_1)
	v_cmp_lt_u32_e64 s1, 31, v11
	s_or_b32 s15, s1, s15
	s_delay_alu instid0(SALU_CYCLE_1)
	s_and_not1_b32 exec_lo, exec_lo, s15
	s_cbranch_execz .LBB126_89
.LBB126_85:                             ; =>This Inner Loop Header: Depth=1
	s_and_saveexec_b32 s1, s0
	s_cbranch_execz .LBB126_87
; %bb.86:                               ;   in Loop: Header=BB126_85 Depth=1
	ds_load_b64 v[2:3], v9
.LBB126_87:                             ;   in Loop: Header=BB126_85 Depth=1
	s_or_b32 exec_lo, exec_lo, s1
	s_waitcnt lgkmcnt(0)
	ds_bpermute_b32 v11, v5, v2
	ds_bpermute_b32 v12, v5, v3
	s_waitcnt lgkmcnt(0)
	v_add_f64 v[2:3], v[2:3], v[11:12]
	ds_bpermute_b32 v11, v6, v2
	ds_bpermute_b32 v12, v6, v3
	s_waitcnt lgkmcnt(0)
	v_add_f64 v[2:3], v[2:3], v[11:12]
	;; [unrolled: 4-line block ×4, first 2 shown]
	v_add_co_u32 v11, s1, s4, v4
	s_delay_alu instid0(VALU_DEP_1) | instskip(NEXT) | instid1(VALU_DEP_1)
	v_add_co_ci_u32_e64 v12, s1, s5, v10, s1
	v_cmp_le_i64_e64 s1, s[6:7], v[11:12]
	s_delay_alu instid0(VALU_DEP_1) | instskip(NEXT) | instid1(SALU_CYCLE_1)
	s_or_b32 s1, vcc_lo, s1
	s_or_b32 s1, s3, s1
	s_delay_alu instid0(SALU_CYCLE_1) | instskip(NEXT) | instid1(SALU_CYCLE_1)
	s_xor_b32 s2, s1, -1
	s_and_saveexec_b32 s1, s2
	s_cbranch_execz .LBB126_84
; %bb.88:                               ;   in Loop: Header=BB126_85 Depth=1
	global_store_b64 v[0:1], v[2:3], off
	s_branch .LBB126_84
.LBB126_89:
	s_nop 0
	s_sendmsg sendmsg(MSG_DEALLOC_VGPRS)
	s_endpgm
	.section	.rodata,"a",@progbits
	.p2align	6, 0x0
	.amdhsa_kernel _ZN2at6native12_GLOBAL__N_135GammaBetaBackwardCUDAKernelTemplateIddLj64ELj16ELj128ELb0ELb0ELb1EEEvllPKT_S5_PKT0_S8_PS3_S9_
		.amdhsa_group_segment_fixed_size 0
		.amdhsa_private_segment_fixed_size 0
		.amdhsa_kernarg_size 320
		.amdhsa_user_sgpr_count 14
		.amdhsa_user_sgpr_dispatch_ptr 0
		.amdhsa_user_sgpr_queue_ptr 0
		.amdhsa_user_sgpr_kernarg_segment_ptr 1
		.amdhsa_user_sgpr_dispatch_id 0
		.amdhsa_user_sgpr_private_segment_size 0
		.amdhsa_wavefront_size32 1
		.amdhsa_uses_dynamic_stack 0
		.amdhsa_enable_private_segment 0
		.amdhsa_system_sgpr_workgroup_id_x 1
		.amdhsa_system_sgpr_workgroup_id_y 1
		.amdhsa_system_sgpr_workgroup_id_z 0
		.amdhsa_system_sgpr_workgroup_info 0
		.amdhsa_system_vgpr_workitem_id 1
		.amdhsa_next_free_vgpr 120
		.amdhsa_next_free_sgpr 45
		.amdhsa_reserve_vcc 1
		.amdhsa_float_round_mode_32 0
		.amdhsa_float_round_mode_16_64 0
		.amdhsa_float_denorm_mode_32 3
		.amdhsa_float_denorm_mode_16_64 3
		.amdhsa_dx10_clamp 1
		.amdhsa_ieee_mode 1
		.amdhsa_fp16_overflow 0
		.amdhsa_workgroup_processor_mode 1
		.amdhsa_memory_ordered 1
		.amdhsa_forward_progress 0
		.amdhsa_shared_vgpr_count 0
		.amdhsa_exception_fp_ieee_invalid_op 0
		.amdhsa_exception_fp_denorm_src 0
		.amdhsa_exception_fp_ieee_div_zero 0
		.amdhsa_exception_fp_ieee_overflow 0
		.amdhsa_exception_fp_ieee_underflow 0
		.amdhsa_exception_fp_ieee_inexact 0
		.amdhsa_exception_int_div_zero 0
	.end_amdhsa_kernel
	.section	.text._ZN2at6native12_GLOBAL__N_135GammaBetaBackwardCUDAKernelTemplateIddLj64ELj16ELj128ELb0ELb0ELb1EEEvllPKT_S5_PKT0_S8_PS3_S9_,"axG",@progbits,_ZN2at6native12_GLOBAL__N_135GammaBetaBackwardCUDAKernelTemplateIddLj64ELj16ELj128ELb0ELb0ELb1EEEvllPKT_S5_PKT0_S8_PS3_S9_,comdat
.Lfunc_end126:
	.size	_ZN2at6native12_GLOBAL__N_135GammaBetaBackwardCUDAKernelTemplateIddLj64ELj16ELj128ELb0ELb0ELb1EEEvllPKT_S5_PKT0_S8_PS3_S9_, .Lfunc_end126-_ZN2at6native12_GLOBAL__N_135GammaBetaBackwardCUDAKernelTemplateIddLj64ELj16ELj128ELb0ELb0ELb1EEEvllPKT_S5_PKT0_S8_PS3_S9_
                                        ; -- End function
	.section	.AMDGPU.csdata,"",@progbits
; Kernel info:
; codeLenInByte = 8492
; NumSgprs: 47
; NumVgprs: 120
; ScratchSize: 0
; MemoryBound: 1
; FloatMode: 240
; IeeeMode: 1
; LDSByteSize: 0 bytes/workgroup (compile time only)
; SGPRBlocks: 5
; VGPRBlocks: 14
; NumSGPRsForWavesPerEU: 47
; NumVGPRsForWavesPerEU: 120
; Occupancy: 12
; WaveLimiterHint : 0
; COMPUTE_PGM_RSRC2:SCRATCH_EN: 0
; COMPUTE_PGM_RSRC2:USER_SGPR: 14
; COMPUTE_PGM_RSRC2:TRAP_HANDLER: 0
; COMPUTE_PGM_RSRC2:TGID_X_EN: 1
; COMPUTE_PGM_RSRC2:TGID_Y_EN: 1
; COMPUTE_PGM_RSRC2:TGID_Z_EN: 0
; COMPUTE_PGM_RSRC2:TIDIG_COMP_CNT: 1
	.section	.text._ZN2at6native12_GLOBAL__N_135GammaBetaBackwardCUDAKernelTemplateIddLj64ELj16ELj256ELb0ELb1ELb1EEEvllPKT_S5_PKT0_S8_PS3_S9_,"axG",@progbits,_ZN2at6native12_GLOBAL__N_135GammaBetaBackwardCUDAKernelTemplateIddLj64ELj16ELj256ELb0ELb1ELb1EEEvllPKT_S5_PKT0_S8_PS3_S9_,comdat
	.globl	_ZN2at6native12_GLOBAL__N_135GammaBetaBackwardCUDAKernelTemplateIddLj64ELj16ELj256ELb0ELb1ELb1EEEvllPKT_S5_PKT0_S8_PS3_S9_ ; -- Begin function _ZN2at6native12_GLOBAL__N_135GammaBetaBackwardCUDAKernelTemplateIddLj64ELj16ELj256ELb0ELb1ELb1EEEvllPKT_S5_PKT0_S8_PS3_S9_
	.p2align	8
	.type	_ZN2at6native12_GLOBAL__N_135GammaBetaBackwardCUDAKernelTemplateIddLj64ELj16ELj256ELb0ELb1ELb1EEEvllPKT_S5_PKT0_S8_PS3_S9_,@function
_ZN2at6native12_GLOBAL__N_135GammaBetaBackwardCUDAKernelTemplateIddLj64ELj16ELj256ELb0ELb1ELb1EEEvllPKT_S5_PKT0_S8_PS3_S9_: ; @_ZN2at6native12_GLOBAL__N_135GammaBetaBackwardCUDAKernelTemplateIddLj64ELj16ELj256ELb0ELb1ELb1EEEvllPKT_S5_PKT0_S8_PS3_S9_
; %bb.0:
	s_load_b128 s[4:7], s[0:1], 0x0
	s_mov_b32 s13, 0
	s_lshl_b32 s12, s15, 8
	v_bfe_u32 v13, v0, 10, 10
	s_waitcnt lgkmcnt(0)
	v_cmp_lt_i64_e64 s2, s[12:13], s[4:5]
	s_delay_alu instid0(VALU_DEP_1)
	s_and_b32 vcc_lo, exec_lo, s2
	s_cbranch_vccnz .LBB127_2
; %bb.1:
	v_bfe_u32 v1, v0, 10, 10
	s_mov_b64 s[8:9], 0
	s_mov_b32 s10, s13
	s_branch .LBB127_3
.LBB127_2:
	s_mov_b32 s10, -1
                                        ; implicit-def: $sgpr8_sgpr9
                                        ; implicit-def: $vgpr1
.LBB127_3:
	s_load_b64 s[2:3], s[0:1], 0x30
	v_dual_mov_b32 v11, s9 :: v_dual_and_b32 v12, 0x3ff, v0
	v_mov_b32_e32 v10, s8
	s_and_not1_b32 vcc_lo, exec_lo, s10
	s_cbranch_vccnz .LBB127_11
; %bb.4:
	s_clause 0x3
	s_load_b32 s15, s[0:1], 0x4c
	s_load_b32 s16, s[0:1], 0x44
	s_load_b128 s[8:11], s[0:1], 0x10
	s_load_b64 s[18:19], s[0:1], 0x28
	v_dual_mov_b32 v1, 0 :: v_dual_lshlrev_b32 v2, 4, v13
	v_lshl_add_u32 v0, s14, 6, v12
	v_dual_mov_b32 v14, 16 :: v_dual_mov_b32 v15, 4
	v_dual_mov_b32 v16, 8 :: v_dual_mov_b32 v17, 12
	s_delay_alu instid0(VALU_DEP_3)
	v_lshlrev_b64 v[10:11], 3, v[0:1]
	v_dual_mov_b32 v18, 20 :: v_dual_mov_b32 v19, 24
	v_dual_mov_b32 v20, 28 :: v_dual_mov_b32 v21, 32
	;; [unrolled: 1-line block ×4, first 2 shown]
	s_waitcnt lgkmcnt(0)
	s_and_b32 s0, s15, 0xffff
	s_lshl_b32 s16, s16, 8
	v_mad_u32_u24 v3, v13, s0, v12
	v_add_co_u32 v2, s0, v2, s12
	s_delay_alu instid0(VALU_DEP_1) | instskip(NEXT) | instid1(VALU_DEP_3)
	v_add_co_ci_u32_e64 v6, null, 0, 0, s0
	v_dual_mov_b32 v24, 44 :: v_dual_and_b32 v3, 31, v3
	s_delay_alu instid0(VALU_DEP_3) | instskip(NEXT) | instid1(VALU_DEP_3)
	v_mul_lo_u32 v7, s7, v2
	v_mul_lo_u32 v8, s6, v6
	v_mad_u64_u32 v[4:5], null, s6, v2, 0
	s_delay_alu instid0(VALU_DEP_4) | instskip(SKIP_3) | instid1(VALU_DEP_4)
	v_add_co_u32 v2, vcc_lo, v2, v3
	v_cmp_gt_u32_e64 s0, 16, v3
	v_add_co_ci_u32_e32 v3, vcc_lo, 0, v6, vcc_lo
	s_mul_i32 s1, s7, s16
	v_add3_u32 v5, v5, v8, v7
	s_mul_hi_u32 s15, s6, s16
	s_delay_alu instid0(VALU_DEP_2) | instskip(SKIP_1) | instid1(VALU_DEP_3)
	v_lshlrev_b64 v[6:7], 3, v[2:3]
	v_dual_mov_b32 v27, 56 :: v_dual_mov_b32 v28, 60
	v_lshlrev_b64 v[8:9], 3, v[4:5]
	s_mov_b32 s17, 0
	s_add_i32 s21, s15, s1
	s_delay_alu instid0(VALU_DEP_3)
	v_add_co_u32 v4, vcc_lo, s18, v6
	v_add_co_ci_u32_e32 v5, vcc_lo, s19, v7, vcc_lo
	v_mov_b32_e32 v6, 0
	v_mov_b32_e32 v7, 0
	v_add_co_u32 v0, vcc_lo, v8, v10
	v_add_co_ci_u32_e32 v29, vcc_lo, v9, v11, vcc_lo
	s_delay_alu instid0(VALU_DEP_3)
	v_dual_mov_b32 v11, v7 :: v_dual_mov_b32 v10, v6
	s_mul_i32 s20, s6, s16
	s_lshl_b64 s[18:19], s[16:17], 3
	s_lshl_b64 s[20:21], s[20:21], 3
	;; [unrolled: 1-line block ×3, first 2 shown]
	s_branch .LBB127_7
.LBB127_5:                              ;   in Loop: Header=BB127_7 Depth=1
	s_or_b32 exec_lo, exec_lo, s15
.LBB127_6:                              ;   in Loop: Header=BB127_7 Depth=1
	s_delay_alu instid0(SALU_CYCLE_1)
	s_or_b32 exec_lo, exec_lo, s1
	v_add_co_u32 v30, vcc_lo, s8, v0
	v_add_co_ci_u32_e32 v31, vcc_lo, s9, v29, vcc_lo
	v_add_co_u32 v32, vcc_lo, s10, v0
	v_add_co_ci_u32_e32 v33, vcc_lo, s11, v29, vcc_lo
	s_add_u32 s12, s12, s16
	global_load_b64 v[34:35], v[30:31], off
	global_load_b64 v[36:37], v[32:33], off
	v_add_co_u32 v30, vcc_lo, v30, s6
	v_add_co_ci_u32_e32 v31, vcc_lo, s7, v31, vcc_lo
	v_add_co_u32 v32, vcc_lo, v32, s6
	v_add_co_ci_u32_e32 v33, vcc_lo, s7, v33, vcc_lo
	global_load_b64 v[38:39], v[30:31], off
	global_load_b64 v[40:41], v[32:33], off
	v_add_co_u32 v30, vcc_lo, v30, s6
	v_add_co_ci_u32_e32 v31, vcc_lo, s7, v31, vcc_lo
	v_add_co_u32 v32, vcc_lo, v32, s6
	v_add_co_ci_u32_e32 v33, vcc_lo, s7, v33, vcc_lo
	;; [unrolled: 6-line block ×10, first 2 shown]
	s_addc_u32 s13, s13, 0
	s_delay_alu instid0(SALU_CYCLE_1)
	v_cmp_lt_i64_e64 s1, s[12:13], s[4:5]
	s_waitcnt vmcnt(18)
	v_mul_f64 v[34:35], v[34:35], v[36:37]
	ds_bpermute_b32 v36, v1, v8
	ds_bpermute_b32 v37, v1, v9
	s_waitcnt vmcnt(16)
	v_mul_f64 v[38:39], v[38:39], v[40:41]
	s_waitcnt vmcnt(14)
	v_mul_f64 v[42:43], v[42:43], v[44:45]
	s_waitcnt vmcnt(12)
	v_mul_f64 v[46:47], v[46:47], v[48:49]
	s_waitcnt lgkmcnt(0)
	v_fma_f64 v[10:11], v[34:35], v[36:37], v[10:11]
	ds_bpermute_b32 v34, v15, v8
	ds_bpermute_b32 v35, v15, v9
	global_load_b64 v[36:37], v[30:31], off
	global_load_b64 v[40:41], v[32:33], off
	v_add_co_u32 v30, vcc_lo, v30, s6
	v_add_co_ci_u32_e32 v31, vcc_lo, s7, v31, vcc_lo
	v_add_co_u32 v32, vcc_lo, v32, s6
	v_add_co_ci_u32_e32 v33, vcc_lo, s7, v33, vcc_lo
	s_waitcnt vmcnt(12)
	v_mul_f64 v[50:51], v[50:51], v[52:53]
	s_waitcnt vmcnt(10)
	v_mul_f64 v[54:55], v[54:55], v[56:57]
	;; [unrolled: 2-line block ×3, first 2 shown]
	s_waitcnt lgkmcnt(0)
	v_fma_f64 v[10:11], v[38:39], v[34:35], v[10:11]
	ds_bpermute_b32 v34, v16, v8
	ds_bpermute_b32 v35, v16, v9
	global_load_b64 v[38:39], v[30:31], off
	global_load_b64 v[44:45], v[32:33], off
	v_add_co_u32 v30, vcc_lo, v30, s6
	v_add_co_ci_u32_e32 v31, vcc_lo, s7, v31, vcc_lo
	v_add_co_u32 v32, vcc_lo, v32, s6
	v_add_co_ci_u32_e32 v33, vcc_lo, s7, v33, vcc_lo
	s_waitcnt lgkmcnt(0)
	v_fma_f64 v[10:11], v[42:43], v[34:35], v[10:11]
	ds_bpermute_b32 v34, v17, v8
	ds_bpermute_b32 v35, v17, v9
	global_load_b64 v[42:43], v[30:31], off
	global_load_b64 v[48:49], v[32:33], off
	v_add_co_u32 v30, vcc_lo, v30, s6
	v_add_co_ci_u32_e32 v31, vcc_lo, s7, v31, vcc_lo
	v_add_co_u32 v32, vcc_lo, v32, s6
	v_add_co_ci_u32_e32 v33, vcc_lo, s7, v33, vcc_lo
	;; [unrolled: 10-line block ×4, first 2 shown]
	global_load_b64 v[30:31], v[30:31], off
	global_load_b64 v[32:33], v[32:33], off
	v_add_co_u32 v4, vcc_lo, v4, s18
	v_add_co_ci_u32_e32 v5, vcc_lo, s19, v5, vcc_lo
	v_add_co_u32 v2, vcc_lo, v2, s16
	v_add_co_ci_u32_e32 v3, vcc_lo, 0, v3, vcc_lo
	;; [unrolled: 2-line block ×3, first 2 shown]
	s_and_b32 vcc_lo, exec_lo, s1
	s_waitcnt lgkmcnt(0)
	v_fma_f64 v[10:11], v[54:55], v[34:35], v[10:11]
	ds_bpermute_b32 v34, v19, v8
	ds_bpermute_b32 v35, v19, v9
	s_waitcnt vmcnt(16)
	v_mul_f64 v[54:55], v[62:63], v[64:65]
	s_waitcnt lgkmcnt(0)
	v_fma_f64 v[10:11], v[58:59], v[34:35], v[10:11]
	ds_bpermute_b32 v34, v20, v8
	ds_bpermute_b32 v35, v20, v9
	s_waitcnt vmcnt(14)
	v_mul_f64 v[58:59], v[66:67], v[68:69]
	;; [unrolled: 6-line block ×8, first 2 shown]
	s_waitcnt vmcnt(0)
	v_mul_f64 v[30:31], v[30:31], v[32:33]
	s_waitcnt lgkmcnt(0)
	v_fma_f64 v[10:11], v[38:39], v[34:35], v[10:11]
	ds_bpermute_b32 v34, v27, v8
	ds_bpermute_b32 v35, v27, v9
	;; [unrolled: 1-line block ×4, first 2 shown]
	s_waitcnt lgkmcnt(2)
	v_fma_f64 v[10:11], v[36:37], v[34:35], v[10:11]
	s_waitcnt lgkmcnt(0)
	s_delay_alu instid0(VALU_DEP_1)
	v_fma_f64 v[10:11], v[30:31], v[8:9], v[10:11]
	s_cbranch_vccz .LBB127_10
.LBB127_7:                              ; =>This Inner Loop Header: Depth=1
	v_dual_mov_b32 v9, v7 :: v_dual_mov_b32 v8, v6
	s_and_saveexec_b32 s1, s0
	s_cbranch_execz .LBB127_6
; %bb.8:                                ;   in Loop: Header=BB127_7 Depth=1
	v_mov_b32_e32 v8, 0
	v_mov_b32_e32 v9, 0
	s_mov_b32 s15, exec_lo
	v_cmpx_gt_i64_e64 s[4:5], v[2:3]
	s_cbranch_execz .LBB127_5
; %bb.9:                                ;   in Loop: Header=BB127_7 Depth=1
	global_load_b64 v[8:9], v[4:5], off
	s_branch .LBB127_5
.LBB127_10:
	v_mov_b32_e32 v1, v13
.LBB127_11:
	s_delay_alu instid0(VALU_DEP_1) | instskip(SKIP_3) | instid1(VALU_DEP_2)
	v_mad_u32_u24 v3, 0x41, v1, v12
	v_mov_b32_e32 v2, 0
	s_mov_b32 s15, 0
	s_mov_b32 s0, exec_lo
	v_sub_nc_u32_e32 v0, v3, v1
	v_lshl_add_u32 v1, v3, 3, 0
	v_mov_b32_e32 v3, v2
	ds_store_b64 v1, v[10:11]
	ds_store_b64 v1, v[2:3] offset:8320
	s_waitcnt lgkmcnt(0)
	s_barrier
	buffer_gl0_inv
	v_cmpx_gt_u32_e32 0x800, v0
	s_cbranch_execz .LBB127_18
; %bb.12:
	v_mbcnt_lo_u32_b32 v2, -1, 0
	v_cmp_eq_u32_e64 s0, 0, v12
	s_cmp_lg_u64 s[2:3], 0
	v_lshrrev_b32_e32 v0, 5, v0
	s_cselect_b32 s1, -1, 0
	v_xor_b32_e32 v3, 8, v2
	s_and_b32 s1, s0, s1
	v_xor_b32_e32 v4, 4, v2
	v_xor_b32_e32 v5, 2, v2
	;; [unrolled: 1-line block ×3, first 2 shown]
	v_cmp_gt_i32_e64 s0, 32, v3
	v_and_b32_e32 v1, 31, v12
	s_lshl_b64 s[4:5], s[14:15], 9
	v_subrev_nc_u32_e32 v9, 32, v0
	s_delay_alu instid0(VALU_DEP_3) | instskip(SKIP_3) | instid1(VALU_DEP_3)
	v_cndmask_b32_e64 v3, v2, v3, s0
	v_cmp_gt_i32_e64 s0, 32, v4
	v_cmp_gt_u32_e32 vcc_lo, 16, v1
	v_mul_u32_u24_e32 v1, 0x208, v1
	v_cndmask_b32_e64 v7, v2, v4, s0
	v_cmp_gt_i32_e64 s0, 32, v5
	v_lshlrev_b32_e32 v4, 2, v3
	v_lshlrev_b32_e32 v3, 3, v0
	s_delay_alu instid0(VALU_DEP_3) | instskip(SKIP_2) | instid1(VALU_DEP_2)
	v_cndmask_b32_e64 v8, v2, v5, s0
	v_cmp_gt_i32_e64 s0, 32, v6
	v_lshlrev_b32_e32 v5, 2, v7
	v_cndmask_b32_e64 v2, v2, v6, s0
	s_add_u32 s0, s2, s4
	s_addc_u32 s2, s3, s5
	v_add_co_u32 v0, s0, s0, v3
	v_lshlrev_b32_e32 v6, 2, v8
	v_lshlrev_b32_e32 v7, 2, v2
	v_add3_u32 v8, v1, v3, 0
	v_add_co_ci_u32_e64 v1, null, s2, 0, s0
                                        ; implicit-def: $vgpr2_vgpr3
	s_branch .LBB127_14
.LBB127_13:                             ;   in Loop: Header=BB127_14 Depth=1
	s_or_b32 exec_lo, exec_lo, s0
	v_add_co_u32 v9, s0, v9, 32
	s_delay_alu instid0(VALU_DEP_1) | instskip(SKIP_4) | instid1(SALU_CYCLE_1)
	s_xor_b32 s2, s0, -1
	v_add_co_u32 v0, s0, 0x100, v0
	v_add_nc_u32_e32 v8, 0x100, v8
	v_add_co_ci_u32_e64 v1, s0, 0, v1, s0
	s_and_b32 s0, exec_lo, s2
	s_or_b32 s15, s0, s15
	s_delay_alu instid0(SALU_CYCLE_1)
	s_and_not1_b32 exec_lo, exec_lo, s15
	s_cbranch_execz .LBB127_18
.LBB127_14:                             ; =>This Inner Loop Header: Depth=1
	s_and_saveexec_b32 s0, vcc_lo
	s_cbranch_execz .LBB127_16
; %bb.15:                               ;   in Loop: Header=BB127_14 Depth=1
	ds_load_b64 v[2:3], v8
.LBB127_16:                             ;   in Loop: Header=BB127_14 Depth=1
	s_or_b32 exec_lo, exec_lo, s0
	s_waitcnt lgkmcnt(0)
	ds_bpermute_b32 v10, v4, v2
	ds_bpermute_b32 v11, v4, v3
	s_waitcnt lgkmcnt(0)
	v_add_f64 v[2:3], v[2:3], v[10:11]
	ds_bpermute_b32 v10, v5, v2
	ds_bpermute_b32 v11, v5, v3
	s_waitcnt lgkmcnt(0)
	v_add_f64 v[2:3], v[2:3], v[10:11]
	;; [unrolled: 4-line block ×4, first 2 shown]
	s_and_saveexec_b32 s0, s1
	s_cbranch_execz .LBB127_13
; %bb.17:                               ;   in Loop: Header=BB127_14 Depth=1
	global_store_b64 v[0:1], v[2:3], off
	s_branch .LBB127_13
.LBB127_18:
	s_nop 0
	s_sendmsg sendmsg(MSG_DEALLOC_VGPRS)
	s_endpgm
	.section	.rodata,"a",@progbits
	.p2align	6, 0x0
	.amdhsa_kernel _ZN2at6native12_GLOBAL__N_135GammaBetaBackwardCUDAKernelTemplateIddLj64ELj16ELj256ELb0ELb1ELb1EEEvllPKT_S5_PKT0_S8_PS3_S9_
		.amdhsa_group_segment_fixed_size 0
		.amdhsa_private_segment_fixed_size 0
		.amdhsa_kernarg_size 320
		.amdhsa_user_sgpr_count 14
		.amdhsa_user_sgpr_dispatch_ptr 0
		.amdhsa_user_sgpr_queue_ptr 0
		.amdhsa_user_sgpr_kernarg_segment_ptr 1
		.amdhsa_user_sgpr_dispatch_id 0
		.amdhsa_user_sgpr_private_segment_size 0
		.amdhsa_wavefront_size32 1
		.amdhsa_uses_dynamic_stack 0
		.amdhsa_enable_private_segment 0
		.amdhsa_system_sgpr_workgroup_id_x 1
		.amdhsa_system_sgpr_workgroup_id_y 1
		.amdhsa_system_sgpr_workgroup_id_z 0
		.amdhsa_system_sgpr_workgroup_info 0
		.amdhsa_system_vgpr_workitem_id 1
		.amdhsa_next_free_vgpr 74
		.amdhsa_next_free_sgpr 22
		.amdhsa_reserve_vcc 1
		.amdhsa_float_round_mode_32 0
		.amdhsa_float_round_mode_16_64 0
		.amdhsa_float_denorm_mode_32 3
		.amdhsa_float_denorm_mode_16_64 3
		.amdhsa_dx10_clamp 1
		.amdhsa_ieee_mode 1
		.amdhsa_fp16_overflow 0
		.amdhsa_workgroup_processor_mode 1
		.amdhsa_memory_ordered 1
		.amdhsa_forward_progress 0
		.amdhsa_shared_vgpr_count 0
		.amdhsa_exception_fp_ieee_invalid_op 0
		.amdhsa_exception_fp_denorm_src 0
		.amdhsa_exception_fp_ieee_div_zero 0
		.amdhsa_exception_fp_ieee_overflow 0
		.amdhsa_exception_fp_ieee_underflow 0
		.amdhsa_exception_fp_ieee_inexact 0
		.amdhsa_exception_int_div_zero 0
	.end_amdhsa_kernel
	.section	.text._ZN2at6native12_GLOBAL__N_135GammaBetaBackwardCUDAKernelTemplateIddLj64ELj16ELj256ELb0ELb1ELb1EEEvllPKT_S5_PKT0_S8_PS3_S9_,"axG",@progbits,_ZN2at6native12_GLOBAL__N_135GammaBetaBackwardCUDAKernelTemplateIddLj64ELj16ELj256ELb0ELb1ELb1EEEvllPKT_S5_PKT0_S8_PS3_S9_,comdat
.Lfunc_end127:
	.size	_ZN2at6native12_GLOBAL__N_135GammaBetaBackwardCUDAKernelTemplateIddLj64ELj16ELj256ELb0ELb1ELb1EEEvllPKT_S5_PKT0_S8_PS3_S9_, .Lfunc_end127-_ZN2at6native12_GLOBAL__N_135GammaBetaBackwardCUDAKernelTemplateIddLj64ELj16ELj256ELb0ELb1ELb1EEEvllPKT_S5_PKT0_S8_PS3_S9_
                                        ; -- End function
	.section	.AMDGPU.csdata,"",@progbits
; Kernel info:
; codeLenInByte = 2380
; NumSgprs: 24
; NumVgprs: 74
; ScratchSize: 0
; MemoryBound: 0
; FloatMode: 240
; IeeeMode: 1
; LDSByteSize: 0 bytes/workgroup (compile time only)
; SGPRBlocks: 2
; VGPRBlocks: 9
; NumSGPRsForWavesPerEU: 24
; NumVGPRsForWavesPerEU: 74
; Occupancy: 16
; WaveLimiterHint : 0
; COMPUTE_PGM_RSRC2:SCRATCH_EN: 0
; COMPUTE_PGM_RSRC2:USER_SGPR: 14
; COMPUTE_PGM_RSRC2:TRAP_HANDLER: 0
; COMPUTE_PGM_RSRC2:TGID_X_EN: 1
; COMPUTE_PGM_RSRC2:TGID_Y_EN: 1
; COMPUTE_PGM_RSRC2:TGID_Z_EN: 0
; COMPUTE_PGM_RSRC2:TIDIG_COMP_CNT: 1
	.section	.text._ZN2at6native12_GLOBAL__N_135GammaBetaBackwardCUDAKernelTemplateIddLj64ELj16ELj256ELb0ELb0ELb1EEEvllPKT_S5_PKT0_S8_PS3_S9_,"axG",@progbits,_ZN2at6native12_GLOBAL__N_135GammaBetaBackwardCUDAKernelTemplateIddLj64ELj16ELj256ELb0ELb0ELb1EEEvllPKT_S5_PKT0_S8_PS3_S9_,comdat
	.globl	_ZN2at6native12_GLOBAL__N_135GammaBetaBackwardCUDAKernelTemplateIddLj64ELj16ELj256ELb0ELb0ELb1EEEvllPKT_S5_PKT0_S8_PS3_S9_ ; -- Begin function _ZN2at6native12_GLOBAL__N_135GammaBetaBackwardCUDAKernelTemplateIddLj64ELj16ELj256ELb0ELb0ELb1EEEvllPKT_S5_PKT0_S8_PS3_S9_
	.p2align	8
	.type	_ZN2at6native12_GLOBAL__N_135GammaBetaBackwardCUDAKernelTemplateIddLj64ELj16ELj256ELb0ELb0ELb1EEEvllPKT_S5_PKT0_S8_PS3_S9_,@function
_ZN2at6native12_GLOBAL__N_135GammaBetaBackwardCUDAKernelTemplateIddLj64ELj16ELj256ELb0ELb0ELb1EEEvllPKT_S5_PKT0_S8_PS3_S9_: ; @_ZN2at6native12_GLOBAL__N_135GammaBetaBackwardCUDAKernelTemplateIddLj64ELj16ELj256ELb0ELb0ELb1EEEvllPKT_S5_PKT0_S8_PS3_S9_
; %bb.0:
	s_clause 0x1
	s_load_b256 s[4:11], s[0:1], 0x0
	s_load_b64 s[12:13], s[0:1], 0x28
	s_lshl_b32 s26, s14, 6
	s_mov_b32 s17, 0
	s_or_b32 s16, s26, 63
	v_mov_b32_e32 v140, v0
	s_waitcnt lgkmcnt(0)
	v_cmp_ge_i64_e64 s2, s[16:17], s[6:7]
	s_lshl_b32 s16, s15, 8
	s_delay_alu instid0(SALU_CYCLE_1) | instskip(NEXT) | instid1(VALU_DEP_2)
	v_cmp_lt_i64_e64 s15, s[16:17], s[4:5]
	s_and_b32 vcc_lo, exec_lo, s2
	s_delay_alu instid0(VALU_DEP_1) | instskip(NEXT) | instid1(VALU_DEP_1)
	v_cndmask_b32_e64 v0, 0, 1, s15
	v_cmp_ne_u32_e64 s2, 1, v0
	s_cbranch_vccz .LBB128_80
; %bb.1:
	v_mov_b32_e32 v96, 0
	v_mov_b32_e32 v97, 0
	s_delay_alu instid0(VALU_DEP_3)
	s_and_b32 vcc_lo, exec_lo, s2
	s_cbranch_vccnz .LBB128_81
; %bb.2:
	v_bfe_u32 v70, v140, 10, 10
	v_dual_mov_b32 v3, 0 :: v_dual_and_b32 v72, 0x3ff, v140
	s_load_b32 s3, s[0:1], 0x44
	s_add_u32 s18, s0, 64
	s_delay_alu instid0(VALU_DEP_2) | instskip(SKIP_3) | instid1(VALU_DEP_1)
	v_dual_mov_b32 v96, 0 :: v_dual_lshlrev_b32 v71, 4, v70
	s_addc_u32 s19, s1, 0
	s_mov_b32 s36, 0
	s_mov_b64 s[24:25], s[16:17]
	v_add_co_u32 v8, s2, v71, s16
	s_delay_alu instid0(VALU_DEP_1) | instskip(SKIP_1) | instid1(VALU_DEP_3)
	v_add_co_ci_u32_e64 v9, null, 0, 0, s2
	v_mov_b32_e32 v97, 0
	v_add_co_u32 v2, vcc_lo, v8, 15
	s_delay_alu instid0(VALU_DEP_3) | instskip(SKIP_1) | instid1(VALU_DEP_3)
	v_add_co_ci_u32_e32 v0, vcc_lo, 0, v9, vcc_lo
	v_add_co_u32 v6, vcc_lo, v8, 14
	v_mul_lo_u32 v4, s7, v2
	s_delay_alu instid0(VALU_DEP_3) | instskip(SKIP_4) | instid1(SALU_CYCLE_1)
	v_mul_lo_u32 v5, s6, v0
	v_mad_u64_u32 v[0:1], null, s6, v2, 0
	v_add_nc_u32_e32 v2, s26, v72
	s_waitcnt lgkmcnt(0)
	s_lshl_b32 s27, s3, 8
	s_mul_i32 s3, s7, s27
	s_mul_hi_u32 s20, s6, s27
	v_cmp_gt_i64_e64 s2, s[6:7], v[2:3]
	s_delay_alu instid0(VALU_DEP_3) | instskip(SKIP_3) | instid1(VALU_DEP_4)
	v_add3_u32 v1, v1, v5, v4
	v_add_co_ci_u32_e32 v4, vcc_lo, 0, v9, vcc_lo
	v_lshlrev_b64 v[36:37], 3, v[2:3]
	v_mul_lo_u32 v2, s7, v6
	v_lshlrev_b64 v[0:1], 3, v[0:1]
	s_delay_alu instid0(VALU_DEP_4) | instskip(SKIP_3) | instid1(VALU_DEP_3)
	v_mul_lo_u32 v10, s6, v4
	v_mad_u64_u32 v[4:5], null, s6, v6, 0
	s_add_i32 s21, s20, s3
	s_mul_i32 s20, s6, s27
	v_add_co_u32 v73, vcc_lo, s8, v0
	v_add_co_ci_u32_e32 v74, vcc_lo, s9, v1, vcc_lo
	v_add_co_u32 v11, vcc_lo, v8, 13
	v_add_co_ci_u32_e32 v7, vcc_lo, 0, v9, vcc_lo
	v_add3_u32 v5, v5, v10, v2
	s_delay_alu instid0(VALU_DEP_3) | instskip(SKIP_1) | instid1(VALU_DEP_4)
	v_mul_lo_u32 v12, s7, v11
	v_add_co_u32 v75, vcc_lo, s10, v0
	v_mul_lo_u32 v13, s6, v7
	v_mad_u64_u32 v[6:7], null, s6, v11, 0
	v_add_co_ci_u32_e32 v76, vcc_lo, s11, v1, vcc_lo
	v_lshlrev_b64 v[0:1], 3, v[4:5]
	v_add_co_u32 v2, vcc_lo, v8, 12
	v_add_co_ci_u32_e32 v10, vcc_lo, 0, v9, vcc_lo
	v_add3_u32 v7, v7, v13, v12
	s_delay_alu instid0(VALU_DEP_4) | instskip(SKIP_1) | instid1(VALU_DEP_3)
	v_add_co_u32 v77, vcc_lo, s8, v0
	v_add_co_ci_u32_e32 v78, vcc_lo, s9, v1, vcc_lo
	v_lshlrev_b64 v[4:5], 3, v[6:7]
	v_add_co_u32 v79, vcc_lo, s10, v0
	v_mul_lo_u32 v11, s7, v2
	v_mul_lo_u32 v10, s6, v10
	v_mad_u64_u32 v[6:7], null, s6, v2, 0
	v_add_co_ci_u32_e32 v80, vcc_lo, s11, v1, vcc_lo
	v_add_co_u32 v81, vcc_lo, s8, v4
	v_add_co_ci_u32_e32 v82, vcc_lo, s9, v5, vcc_lo
	v_add_co_u32 v2, vcc_lo, v8, 11
	v_add_co_u32 v83, s3, s10, v4
	v_add_co_ci_u32_e32 v4, vcc_lo, 0, v9, vcc_lo
	v_add3_u32 v7, v7, v10, v11
	v_add_co_u32 v11, vcc_lo, v8, 10
	v_add_co_ci_u32_e64 v84, s3, s11, v5, s3
	v_mul_lo_u32 v10, s7, v2
	v_mul_lo_u32 v12, s6, v4
	v_mad_u64_u32 v[4:5], null, s6, v2, 0
	v_lshlrev_b64 v[0:1], 3, v[6:7]
	v_add_co_ci_u32_e32 v6, vcc_lo, 0, v9, vcc_lo
	v_mul_lo_u32 v2, s7, v11
	s_lshl_b64 s[20:21], s[20:21], 3
	s_add_u32 s22, s16, 0xff
	s_delay_alu instid0(VALU_DEP_2)
	v_mul_lo_u32 v13, s6, v6
	v_mad_u64_u32 v[6:7], null, s6, v11, 0
	v_add_co_u32 v85, vcc_lo, s8, v0
	v_add3_u32 v5, v5, v12, v10
	v_add_co_ci_u32_e32 v86, vcc_lo, s9, v1, vcc_lo
	v_add_co_u32 v87, vcc_lo, s10, v0
	v_add_co_ci_u32_e32 v88, vcc_lo, s11, v1, vcc_lo
	s_delay_alu instid0(VALU_DEP_4) | instskip(SKIP_3) | instid1(VALU_DEP_4)
	v_lshlrev_b64 v[0:1], 3, v[4:5]
	v_add3_u32 v7, v7, v13, v2
	v_add_co_u32 v2, vcc_lo, v8, 9
	v_add_co_ci_u32_e32 v10, vcc_lo, 0, v9, vcc_lo
	v_add_co_u32 v89, vcc_lo, s8, v0
	s_delay_alu instid0(VALU_DEP_4)
	v_lshlrev_b64 v[4:5], 3, v[6:7]
	v_add_co_ci_u32_e32 v90, vcc_lo, s9, v1, vcc_lo
	v_add_co_u32 v91, vcc_lo, s10, v0
	v_mul_lo_u32 v11, s7, v2
	v_mul_lo_u32 v10, s6, v10
	v_mad_u64_u32 v[6:7], null, s6, v2, 0
	v_add_co_ci_u32_e32 v92, vcc_lo, s11, v1, vcc_lo
	v_add_co_u32 v93, vcc_lo, s8, v4
	v_add_co_ci_u32_e32 v94, vcc_lo, s9, v5, vcc_lo
	v_add_co_u32 v2, vcc_lo, v8, 8
	v_add_co_u32 v95, s3, s10, v4
	v_add_co_ci_u32_e32 v4, vcc_lo, 0, v9, vcc_lo
	v_add3_u32 v7, v7, v10, v11
	v_add_co_u32 v11, vcc_lo, v8, 7
	v_add_co_ci_u32_e64 v98, s3, s11, v5, s3
	v_mul_lo_u32 v10, s7, v2
	v_mul_lo_u32 v12, s6, v4
	v_mad_u64_u32 v[4:5], null, s6, v2, 0
	v_lshlrev_b64 v[0:1], 3, v[6:7]
	v_add_co_ci_u32_e32 v6, vcc_lo, 0, v9, vcc_lo
	v_mul_lo_u32 v2, s7, v11
	s_addc_u32 s23, 0, 0
	s_delay_alu instid0(VALU_DEP_2)
	v_mul_lo_u32 v13, s6, v6
	v_mad_u64_u32 v[6:7], null, s6, v11, 0
	v_add_co_u32 v99, vcc_lo, s8, v0
	v_add3_u32 v5, v5, v12, v10
	v_add_co_ci_u32_e32 v100, vcc_lo, s9, v1, vcc_lo
	v_add_co_u32 v101, vcc_lo, s10, v0
	v_add_co_ci_u32_e32 v102, vcc_lo, s11, v1, vcc_lo
	s_delay_alu instid0(VALU_DEP_4) | instskip(SKIP_3) | instid1(VALU_DEP_4)
	v_lshlrev_b64 v[0:1], 3, v[4:5]
	v_add3_u32 v7, v7, v13, v2
	v_add_co_u32 v2, vcc_lo, v8, 6
	v_add_co_ci_u32_e32 v10, vcc_lo, 0, v9, vcc_lo
	v_add_co_u32 v103, vcc_lo, s8, v0
	s_delay_alu instid0(VALU_DEP_4)
	v_lshlrev_b64 v[4:5], 3, v[6:7]
	v_add_co_ci_u32_e32 v104, vcc_lo, s9, v1, vcc_lo
	v_add_co_u32 v105, vcc_lo, s10, v0
	v_mul_lo_u32 v11, s7, v2
	v_mul_lo_u32 v10, s6, v10
	v_mad_u64_u32 v[6:7], null, s6, v2, 0
	v_add_co_ci_u32_e32 v106, vcc_lo, s11, v1, vcc_lo
	v_add_co_u32 v107, vcc_lo, s8, v4
	v_add_co_ci_u32_e32 v108, vcc_lo, s9, v5, vcc_lo
	v_add_co_u32 v2, vcc_lo, v8, 5
	v_add_co_u32 v109, s3, s10, v4
	v_add_co_ci_u32_e32 v4, vcc_lo, 0, v9, vcc_lo
	v_add3_u32 v7, v7, v10, v11
	v_add_co_u32 v11, vcc_lo, v8, 4
	v_add_co_ci_u32_e64 v110, s3, s11, v5, s3
	v_mul_lo_u32 v10, s7, v2
	v_mul_lo_u32 v12, s6, v4
	v_mad_u64_u32 v[4:5], null, s6, v2, 0
	v_lshlrev_b64 v[0:1], 3, v[6:7]
	v_add_co_ci_u32_e32 v6, vcc_lo, 0, v9, vcc_lo
	v_mul_lo_u32 v2, s7, v11
	s_delay_alu instid0(VALU_DEP_2)
	v_mul_lo_u32 v13, s6, v6
	v_mad_u64_u32 v[6:7], null, s6, v11, 0
	v_add_co_u32 v111, vcc_lo, s8, v0
	v_add3_u32 v5, v5, v12, v10
	v_add_co_ci_u32_e32 v112, vcc_lo, s9, v1, vcc_lo
	v_add_co_u32 v113, vcc_lo, s10, v0
	v_add_co_ci_u32_e32 v114, vcc_lo, s11, v1, vcc_lo
	s_delay_alu instid0(VALU_DEP_4) | instskip(SKIP_3) | instid1(VALU_DEP_4)
	v_lshlrev_b64 v[0:1], 3, v[4:5]
	v_add3_u32 v7, v7, v13, v2
	v_add_co_u32 v2, vcc_lo, v8, 3
	v_add_co_ci_u32_e32 v10, vcc_lo, 0, v9, vcc_lo
	v_add_co_u32 v115, vcc_lo, s8, v0
	s_delay_alu instid0(VALU_DEP_4)
	v_lshlrev_b64 v[4:5], 3, v[6:7]
	v_add_co_ci_u32_e32 v116, vcc_lo, s9, v1, vcc_lo
	v_mul_lo_u32 v11, s7, v2
	v_mul_lo_u32 v10, s6, v10
	v_mad_u64_u32 v[6:7], null, s6, v2, 0
	v_add_co_u32 v117, vcc_lo, s10, v0
	v_add_co_ci_u32_e32 v118, vcc_lo, s11, v1, vcc_lo
	v_add_co_u32 v119, vcc_lo, s8, v4
	v_add_co_ci_u32_e32 v120, vcc_lo, s9, v5, vcc_lo
	v_add_co_u32 v2, vcc_lo, v8, 2
	v_add3_u32 v7, v7, v10, v11
	v_add_co_ci_u32_e32 v10, vcc_lo, 0, v9, vcc_lo
	v_add_co_u32 v121, vcc_lo, s10, v4
	v_add_co_ci_u32_e32 v122, vcc_lo, s11, v5, vcc_lo
	v_mul_lo_u32 v11, s7, v2
	s_delay_alu instid0(VALU_DEP_4)
	v_mul_lo_u32 v10, s6, v10
	v_mad_u64_u32 v[4:5], null, s6, v2, 0
	v_lshlrev_b64 v[0:1], 3, v[6:7]
	v_mul_lo_u32 v2, s7, v8
	v_mul_lo_u32 v9, s6, v9
	v_mad_u64_u32 v[6:7], null, s6, v8, 0
	s_delay_alu instid0(VALU_DEP_4)
	v_add_co_u32 v123, vcc_lo, s8, v0
	v_add3_u32 v5, v5, v10, v11
	v_add_co_ci_u32_e32 v124, vcc_lo, s9, v1, vcc_lo
	v_add_co_u32 v125, vcc_lo, s10, v0
	v_add3_u32 v7, v7, v9, v2
	v_add_co_ci_u32_e32 v126, vcc_lo, s11, v1, vcc_lo
	v_lshlrev_b64 v[0:1], 3, v[4:5]
	v_add_co_u32 v4, vcc_lo, v6, s6
	s_delay_alu instid0(VALU_DEP_4) | instskip(NEXT) | instid1(VALU_DEP_3)
	v_add_co_ci_u32_e32 v5, vcc_lo, s7, v7, vcc_lo
	v_add_co_u32 v127, vcc_lo, s8, v0
	s_delay_alu instid0(VALU_DEP_2) | instskip(SKIP_3) | instid1(VALU_DEP_4)
	v_lshlrev_b64 v[4:5], 3, v[4:5]
	v_add_co_ci_u32_e32 v128, vcc_lo, s9, v1, vcc_lo
	v_add_co_u32 v129, vcc_lo, s10, v0
	v_add_co_ci_u32_e32 v130, vcc_lo, s11, v1, vcc_lo
	v_add_co_u32 v131, vcc_lo, s8, v4
	v_lshlrev_b64 v[0:1], 3, v[6:7]
	v_add_co_ci_u32_e32 v132, vcc_lo, s9, v5, vcc_lo
	v_add_co_u32 v133, vcc_lo, s10, v4
	v_add_co_ci_u32_e32 v134, vcc_lo, s11, v5, vcc_lo
	s_delay_alu instid0(VALU_DEP_4)
	v_add_co_u32 v135, vcc_lo, s8, v0
	v_add_co_ci_u32_e32 v136, vcc_lo, s9, v1, vcc_lo
	v_add_co_u32 v137, vcc_lo, s10, v0
	v_add_co_ci_u32_e32 v138, vcc_lo, s11, v1, vcc_lo
	s_branch .LBB128_5
.LBB128_3:                              ;   in Loop: Header=BB128_5 Depth=1
	s_or_b32 exec_lo, exec_lo, s3
	s_waitcnt vmcnt(0)
	v_mul_f64 v[4:5], v[40:41], v[4:5]
	ds_bpermute_b32 v40, v3, v38
	ds_bpermute_b32 v41, v3, v39
	v_mul_f64 v[6:7], v[42:43], v[6:7]
	v_mul_f64 v[0:1], v[1:2], v[8:9]
	;; [unrolled: 1-line block ×3, first 2 shown]
	s_waitcnt lgkmcnt(0)
	v_fma_f64 v[4:5], v[4:5], v[40:41], v[96:97]
	ds_bpermute_b32 v40, v3, v38 offset:4
	ds_bpermute_b32 v41, v3, v39 offset:4
	s_waitcnt lgkmcnt(0)
	v_fma_f64 v[4:5], v[6:7], v[40:41], v[4:5]
	ds_bpermute_b32 v6, v3, v38 offset:8
	ds_bpermute_b32 v7, v3, v39 offset:8
	;; [unrolled: 4-line block ×3, first 2 shown]
	v_mul_f64 v[6:7], v[44:45], v[12:13]
	s_waitcnt lgkmcnt(0)
	v_fma_f64 v[0:1], v[8:9], v[4:5], v[0:1]
	ds_bpermute_b32 v4, v3, v38 offset:16
	ds_bpermute_b32 v5, v3, v39 offset:16
	v_mul_f64 v[8:9], v[50:51], v[14:15]
	s_waitcnt lgkmcnt(0)
	v_fma_f64 v[0:1], v[6:7], v[4:5], v[0:1]
	ds_bpermute_b32 v4, v3, v38 offset:20
	ds_bpermute_b32 v5, v3, v39 offset:20
	;; [unrolled: 5-line block ×10, first 2 shown]
	ds_bpermute_b32 v6, v3, v38 offset:56
	ds_bpermute_b32 v7, v3, v39 offset:56
	s_waitcnt lgkmcnt(2)
	v_fma_f64 v[0:1], v[8:9], v[4:5], v[0:1]
	v_mul_f64 v[4:5], v[66:67], v[32:33]
	s_waitcnt lgkmcnt(0)
	s_delay_alu instid0(VALU_DEP_1)
	v_fma_f64 v[1:2], v[4:5], v[6:7], v[0:1]
	ds_bpermute_b32 v4, v3, v38 offset:60
	ds_bpermute_b32 v5, v3, v39 offset:60
.LBB128_4:                              ;   in Loop: Header=BB128_5 Depth=1
	v_add_co_u32 v73, vcc_lo, v73, s20
	v_add_co_ci_u32_e32 v74, vcc_lo, s21, v74, vcc_lo
	v_add_co_u32 v75, vcc_lo, v75, s20
	v_add_co_ci_u32_e32 v76, vcc_lo, s21, v76, vcc_lo
	;; [unrolled: 2-line block ×8, first 2 shown]
	v_mul_f64 v[6:7], v[52:53], v[34:35]
	v_add_co_u32 v89, vcc_lo, v89, s20
	v_add_co_ci_u32_e32 v90, vcc_lo, s21, v90, vcc_lo
	v_add_co_u32 v91, vcc_lo, v91, s20
	v_add_co_ci_u32_e32 v92, vcc_lo, s21, v92, vcc_lo
	;; [unrolled: 2-line block ×12, first 2 shown]
	v_add_co_u32 v115, vcc_lo, v115, s20
	s_waitcnt lgkmcnt(0)
	v_fma_f64 v[96:97], v[6:7], v[4:5], v[1:2]
	v_add_co_ci_u32_e32 v116, vcc_lo, s21, v116, vcc_lo
	v_add_co_u32 v117, vcc_lo, v117, s20
	v_add_co_ci_u32_e32 v118, vcc_lo, s21, v118, vcc_lo
	v_add_co_u32 v119, vcc_lo, v119, s20
	;; [unrolled: 2-line block ×9, first 2 shown]
	s_add_u32 s24, s24, s27
	v_add_co_ci_u32_e32 v134, vcc_lo, s21, v134, vcc_lo
	s_addc_u32 s25, s25, 0
	v_add_co_u32 v135, vcc_lo, v135, s20
	v_cmp_lt_i64_e64 s3, s[24:25], s[4:5]
	v_add_co_ci_u32_e32 v136, vcc_lo, s21, v136, vcc_lo
	v_add_co_u32 v137, vcc_lo, v137, s20
	v_add_co_ci_u32_e32 v138, vcc_lo, s21, v138, vcc_lo
	s_add_u32 s22, s22, s27
	s_addc_u32 s23, s23, 0
	s_and_b32 vcc_lo, exec_lo, s3
	s_cbranch_vccz .LBB128_81
.LBB128_5:                              ; =>This Inner Loop Header: Depth=1
	v_cmp_ge_i64_e64 s3, s[22:23], s[4:5]
	v_add_co_u32 v0, s28, v71, s22
	s_delay_alu instid0(VALU_DEP_1) | instskip(NEXT) | instid1(VALU_DEP_3)
	v_add_co_ci_u32_e64 v139, null, 0, s23, s28
	s_and_b32 vcc_lo, exec_lo, s3
	s_cbranch_vccz .LBB128_43
; %bb.6:                                ;   in Loop: Header=BB128_5 Depth=1
	s_load_b32 s3, s[18:19], 0xc
	s_waitcnt lgkmcnt(0)
	s_and_b32 s3, s3, 0xffff
	s_delay_alu instid0(SALU_CYCLE_1) | instskip(SKIP_2) | instid1(VALU_DEP_2)
	v_mad_u32_u24 v1, v70, s3, v72
	v_mov_b32_e32 v40, 0
	v_mov_b32_e32 v41, 0
	;; [unrolled: 1-line block ×3, first 2 shown]
	s_mov_b32 s3, exec_lo
	v_and_b32_e32 v1, 31, v1
	s_delay_alu instid0(VALU_DEP_3) | instskip(NEXT) | instid1(VALU_DEP_2)
	v_mov_b32_e32 v39, v41
	v_cmpx_gt_u32_e32 16, v1
	s_cbranch_execz .LBB128_10
; %bb.7:                                ;   in Loop: Header=BB128_5 Depth=1
	v_add_co_u32 v1, vcc_lo, v0, v1
	v_add_co_ci_u32_e32 v2, vcc_lo, 0, v139, vcc_lo
	v_mov_b32_e32 v38, 0
	s_delay_alu instid0(VALU_DEP_3) | instskip(NEXT) | instid1(VALU_DEP_3)
	v_add_co_u32 v1, vcc_lo, 0xffffff01, v1
	v_add_co_ci_u32_e32 v2, vcc_lo, -1, v2, vcc_lo
	v_mov_b32_e32 v39, 0
	s_mov_b32 s28, exec_lo
	s_delay_alu instid0(VALU_DEP_2)
	v_cmpx_gt_i64_e64 s[4:5], v[1:2]
	s_cbranch_execz .LBB128_9
; %bb.8:                                ;   in Loop: Header=BB128_5 Depth=1
	v_lshlrev_b64 v[1:2], 3, v[1:2]
	s_delay_alu instid0(VALU_DEP_1) | instskip(NEXT) | instid1(VALU_DEP_2)
	v_add_co_u32 v1, vcc_lo, s12, v1
	v_add_co_ci_u32_e32 v2, vcc_lo, s13, v2, vcc_lo
	global_load_b64 v[38:39], v[1:2], off
.LBB128_9:                              ;   in Loop: Header=BB128_5 Depth=1
	s_or_b32 exec_lo, exec_lo, s28
.LBB128_10:                             ;   in Loop: Header=BB128_5 Depth=1
	s_delay_alu instid0(SALU_CYCLE_1)
	s_or_b32 exec_lo, exec_lo, s3
	v_add_co_u32 v1, vcc_lo, 0xffffff01, v0
	v_add_co_ci_u32_e32 v2, vcc_lo, -1, v139, vcc_lo
	s_mov_b32 s37, s36
	s_mov_b32 s38, s36
	;; [unrolled: 1-line block ×3, first 2 shown]
	s_delay_alu instid0(VALU_DEP_1)
	v_cmp_gt_i64_e32 vcc_lo, s[4:5], v[1:2]
	s_mov_b32 s40, s36
	s_mov_b32 s41, s36
	;; [unrolled: 1-line block ×28, first 2 shown]
	v_dual_mov_b32 v4, s36 :: v_dual_mov_b32 v5, s37
	v_dual_mov_b32 v6, s38 :: v_dual_mov_b32 v7, s39
	;; [unrolled: 1-line block ×16, first 2 shown]
	s_and_b32 s28, s2, vcc_lo
	s_delay_alu instid0(SALU_CYCLE_1)
	s_and_saveexec_b32 s3, s28
	s_cbranch_execz .LBB128_12
; %bb.11:                               ;   in Loop: Header=BB128_5 Depth=1
	v_add_co_u32 v1, vcc_lo, v135, v36
	v_add_co_ci_u32_e32 v2, vcc_lo, v136, v37, vcc_lo
	v_add_co_u32 v4, vcc_lo, v137, v36
	v_add_co_ci_u32_e32 v5, vcc_lo, v138, v37, vcc_lo
	global_load_b64 v[1:2], v[1:2], off
	v_mov_b32_e32 v32, v3
	v_mov_b32_e32 v6, v3
	global_load_b64 v[40:41], v[4:5], off
	v_mov_b32_e32 v4, v3
	v_mov_b32_e32 v5, v3
	;; [unrolled: 1-line block ×27, first 2 shown]
	s_waitcnt vmcnt(1)
	v_mov_b32_e32 v35, v32
	s_delay_alu instid0(VALU_DEP_2)
	v_dual_mov_b32 v34, v31 :: v_dual_mov_b32 v33, v30
	v_mov_b32_e32 v32, v29
	v_mov_b32_e32 v31, v28
	v_mov_b32_e32 v30, v27
	v_mov_b32_e32 v29, v26
	v_mov_b32_e32 v28, v25
	v_mov_b32_e32 v27, v24
	v_mov_b32_e32 v26, v23
	v_mov_b32_e32 v25, v22
	v_mov_b32_e32 v24, v21
	v_mov_b32_e32 v23, v20
	v_mov_b32_e32 v22, v19
	v_mov_b32_e32 v21, v18
	v_mov_b32_e32 v20, v17
	v_mov_b32_e32 v19, v16
	v_mov_b32_e32 v18, v15
	v_mov_b32_e32 v17, v14
	v_mov_b32_e32 v16, v13
	v_mov_b32_e32 v15, v12
	v_mov_b32_e32 v14, v11
	v_mov_b32_e32 v13, v10
	v_mov_b32_e32 v12, v9
	v_mov_b32_e32 v11, v8
	v_mov_b32_e32 v10, v7
	v_mov_b32_e32 v9, v6
	v_mov_b32_e32 v8, v5
	v_mov_b32_e32 v7, v4
	v_mov_b32_e32 v6, v3
	v_mov_b32_e32 v5, v2
	v_mov_b32_e32 v4, v1
.LBB128_12:                             ;   in Loop: Header=BB128_5 Depth=1
	s_or_b32 exec_lo, exec_lo, s3
	v_add_co_u32 v42, vcc_lo, 0xffffff02, v0
	v_add_co_ci_u32_e32 v43, vcc_lo, -1, v139, vcc_lo
	v_mov_b32_e32 v1, 0
	v_mov_b32_e32 v2, 0
	s_delay_alu instid0(VALU_DEP_3) | instskip(NEXT) | instid1(VALU_DEP_2)
	v_cmp_gt_i64_e32 vcc_lo, s[4:5], v[42:43]
	v_dual_mov_b32 v43, v2 :: v_dual_mov_b32 v42, v1
	s_and_b32 s28, s2, vcc_lo
	s_delay_alu instid0(SALU_CYCLE_1)
	s_and_saveexec_b32 s3, s28
	s_cbranch_execz .LBB128_14
; %bb.13:                               ;   in Loop: Header=BB128_5 Depth=1
	v_add_co_u32 v6, vcc_lo, v131, v36
	v_add_co_ci_u32_e32 v7, vcc_lo, v132, v37, vcc_lo
	v_add_co_u32 v42, vcc_lo, v133, v36
	v_add_co_ci_u32_e32 v43, vcc_lo, v134, v37, vcc_lo
	global_load_b64 v[6:7], v[6:7], off
	global_load_b64 v[42:43], v[42:43], off
.LBB128_14:                             ;   in Loop: Header=BB128_5 Depth=1
	s_or_b32 exec_lo, exec_lo, s3
	v_add_co_u32 v44, vcc_lo, 0xffffff03, v0
	v_add_co_ci_u32_e32 v45, vcc_lo, -1, v139, vcc_lo
	s_delay_alu instid0(VALU_DEP_1) | instskip(SKIP_1) | instid1(SALU_CYCLE_1)
	v_cmp_gt_i64_e32 vcc_lo, s[4:5], v[44:45]
	s_and_b32 s28, s2, vcc_lo
	s_and_saveexec_b32 s3, s28
	s_cbranch_execz .LBB128_16
; %bb.15:                               ;   in Loop: Header=BB128_5 Depth=1
	v_add_co_u32 v1, vcc_lo, v127, v36
	v_add_co_ci_u32_e32 v2, vcc_lo, v128, v37, vcc_lo
	v_add_co_u32 v44, vcc_lo, v129, v36
	v_add_co_ci_u32_e32 v45, vcc_lo, v130, v37, vcc_lo
	global_load_b64 v[8:9], v[1:2], off
	global_load_b64 v[1:2], v[44:45], off
.LBB128_16:                             ;   in Loop: Header=BB128_5 Depth=1
	s_or_b32 exec_lo, exec_lo, s3
	v_add_co_u32 v46, vcc_lo, 0xffffff04, v0
	v_add_co_ci_u32_e32 v47, vcc_lo, -1, v139, vcc_lo
	v_mov_b32_e32 v44, 0
	v_mov_b32_e32 v45, 0
	s_delay_alu instid0(VALU_DEP_3) | instskip(NEXT) | instid1(VALU_DEP_2)
	v_cmp_gt_i64_e32 vcc_lo, s[4:5], v[46:47]
	v_dual_mov_b32 v47, v45 :: v_dual_mov_b32 v46, v44
	s_and_b32 s28, s2, vcc_lo
	s_delay_alu instid0(SALU_CYCLE_1)
	s_and_saveexec_b32 s3, s28
	s_cbranch_execz .LBB128_18
; %bb.17:                               ;   in Loop: Header=BB128_5 Depth=1
	v_add_co_u32 v10, vcc_lo, v123, v36
	v_add_co_ci_u32_e32 v11, vcc_lo, v124, v37, vcc_lo
	v_add_co_u32 v46, vcc_lo, v125, v36
	v_add_co_ci_u32_e32 v47, vcc_lo, v126, v37, vcc_lo
	global_load_b64 v[10:11], v[10:11], off
	global_load_b64 v[46:47], v[46:47], off
.LBB128_18:                             ;   in Loop: Header=BB128_5 Depth=1
	s_or_b32 exec_lo, exec_lo, s3
	v_add_co_u32 v48, vcc_lo, 0xffffff05, v0
	v_add_co_ci_u32_e32 v49, vcc_lo, -1, v139, vcc_lo
	s_delay_alu instid0(VALU_DEP_1) | instskip(SKIP_1) | instid1(SALU_CYCLE_1)
	v_cmp_gt_i64_e32 vcc_lo, s[4:5], v[48:49]
	s_and_b32 s28, s2, vcc_lo
	s_and_saveexec_b32 s3, s28
	s_cbranch_execz .LBB128_20
; %bb.19:                               ;   in Loop: Header=BB128_5 Depth=1
	v_add_co_u32 v12, vcc_lo, v119, v36
	v_add_co_ci_u32_e32 v13, vcc_lo, v120, v37, vcc_lo
	v_add_co_u32 v44, vcc_lo, v121, v36
	v_add_co_ci_u32_e32 v45, vcc_lo, v122, v37, vcc_lo
	global_load_b64 v[12:13], v[12:13], off
	global_load_b64 v[44:45], v[44:45], off
.LBB128_20:                             ;   in Loop: Header=BB128_5 Depth=1
	s_or_b32 exec_lo, exec_lo, s3
	v_add_co_u32 v50, vcc_lo, 0xffffff06, v0
	v_add_co_ci_u32_e32 v51, vcc_lo, -1, v139, vcc_lo
	v_mov_b32_e32 v48, 0
	v_mov_b32_e32 v49, 0
	s_delay_alu instid0(VALU_DEP_3) | instskip(NEXT) | instid1(VALU_DEP_2)
	v_cmp_gt_i64_e32 vcc_lo, s[4:5], v[50:51]
	v_dual_mov_b32 v51, v49 :: v_dual_mov_b32 v50, v48
	s_and_b32 s28, s2, vcc_lo
	s_delay_alu instid0(SALU_CYCLE_1)
	s_and_saveexec_b32 s3, s28
	s_cbranch_execz .LBB128_22
; %bb.21:                               ;   in Loop: Header=BB128_5 Depth=1
	v_add_co_u32 v14, vcc_lo, v115, v36
	v_add_co_ci_u32_e32 v15, vcc_lo, v116, v37, vcc_lo
	v_add_co_u32 v50, vcc_lo, v117, v36
	v_add_co_ci_u32_e32 v51, vcc_lo, v118, v37, vcc_lo
	global_load_b64 v[14:15], v[14:15], off
	global_load_b64 v[50:51], v[50:51], off
.LBB128_22:                             ;   in Loop: Header=BB128_5 Depth=1
	s_or_b32 exec_lo, exec_lo, s3
	v_add_co_u32 v52, vcc_lo, 0xffffff07, v0
	v_add_co_ci_u32_e32 v53, vcc_lo, -1, v139, vcc_lo
	s_delay_alu instid0(VALU_DEP_1) | instskip(SKIP_1) | instid1(SALU_CYCLE_1)
	v_cmp_gt_i64_e32 vcc_lo, s[4:5], v[52:53]
	s_and_b32 s28, s2, vcc_lo
	s_and_saveexec_b32 s3, s28
	s_cbranch_execz .LBB128_24
; %bb.23:                               ;   in Loop: Header=BB128_5 Depth=1
	v_add_co_u32 v16, vcc_lo, v111, v36
	v_add_co_ci_u32_e32 v17, vcc_lo, v112, v37, vcc_lo
	v_add_co_u32 v48, vcc_lo, v113, v36
	v_add_co_ci_u32_e32 v49, vcc_lo, v114, v37, vcc_lo
	global_load_b64 v[16:17], v[16:17], off
	global_load_b64 v[48:49], v[48:49], off
.LBB128_24:                             ;   in Loop: Header=BB128_5 Depth=1
	s_or_b32 exec_lo, exec_lo, s3
	v_add_co_u32 v52, vcc_lo, 0xffffff08, v0
	v_add_co_ci_u32_e32 v53, vcc_lo, -1, v139, vcc_lo
	v_mov_b32_e32 v54, 0
	v_mov_b32_e32 v55, 0
	s_delay_alu instid0(VALU_DEP_3) | instskip(NEXT) | instid1(VALU_DEP_2)
	v_cmp_gt_i64_e32 vcc_lo, s[4:5], v[52:53]
	v_dual_mov_b32 v57, v55 :: v_dual_mov_b32 v56, v54
	s_and_b32 s28, s2, vcc_lo
	s_delay_alu instid0(SALU_CYCLE_1)
	s_and_saveexec_b32 s3, s28
	s_cbranch_execz .LBB128_26
; %bb.25:                               ;   in Loop: Header=BB128_5 Depth=1
	v_add_co_u32 v18, vcc_lo, v107, v36
	v_add_co_ci_u32_e32 v19, vcc_lo, v108, v37, vcc_lo
	v_add_co_u32 v52, vcc_lo, v109, v36
	v_add_co_ci_u32_e32 v53, vcc_lo, v110, v37, vcc_lo
	global_load_b64 v[18:19], v[18:19], off
	global_load_b64 v[56:57], v[52:53], off
.LBB128_26:                             ;   in Loop: Header=BB128_5 Depth=1
	s_or_b32 exec_lo, exec_lo, s3
	v_add_co_u32 v52, vcc_lo, 0xffffff09, v0
	v_add_co_ci_u32_e32 v53, vcc_lo, -1, v139, vcc_lo
	s_delay_alu instid0(VALU_DEP_1) | instskip(SKIP_1) | instid1(SALU_CYCLE_1)
	v_cmp_gt_i64_e32 vcc_lo, s[4:5], v[52:53]
	s_and_b32 s28, s2, vcc_lo
	s_and_saveexec_b32 s3, s28
	s_cbranch_execz .LBB128_28
; %bb.27:                               ;   in Loop: Header=BB128_5 Depth=1
	v_add_co_u32 v20, vcc_lo, v103, v36
	v_add_co_ci_u32_e32 v21, vcc_lo, v104, v37, vcc_lo
	v_add_co_u32 v52, vcc_lo, v105, v36
	v_add_co_ci_u32_e32 v53, vcc_lo, v106, v37, vcc_lo
	global_load_b64 v[20:21], v[20:21], off
	global_load_b64 v[54:55], v[52:53], off
.LBB128_28:                             ;   in Loop: Header=BB128_5 Depth=1
	s_or_b32 exec_lo, exec_lo, s3
	v_add_co_u32 v52, vcc_lo, 0xffffff0a, v0
	v_add_co_ci_u32_e32 v53, vcc_lo, -1, v139, vcc_lo
	v_mov_b32_e32 v58, 0
	v_mov_b32_e32 v59, 0
	s_delay_alu instid0(VALU_DEP_3) | instskip(NEXT) | instid1(VALU_DEP_2)
	v_cmp_gt_i64_e32 vcc_lo, s[4:5], v[52:53]
	v_dual_mov_b32 v61, v59 :: v_dual_mov_b32 v60, v58
	s_and_b32 s28, s2, vcc_lo
	s_delay_alu instid0(SALU_CYCLE_1)
	s_and_saveexec_b32 s3, s28
	s_cbranch_execz .LBB128_30
; %bb.29:                               ;   in Loop: Header=BB128_5 Depth=1
	v_add_co_u32 v22, vcc_lo, v99, v36
	v_add_co_ci_u32_e32 v23, vcc_lo, v100, v37, vcc_lo
	v_add_co_u32 v52, vcc_lo, v101, v36
	v_add_co_ci_u32_e32 v53, vcc_lo, v102, v37, vcc_lo
	global_load_b64 v[22:23], v[22:23], off
	global_load_b64 v[60:61], v[52:53], off
.LBB128_30:                             ;   in Loop: Header=BB128_5 Depth=1
	s_or_b32 exec_lo, exec_lo, s3
	v_add_co_u32 v52, vcc_lo, 0xffffff0b, v0
	v_add_co_ci_u32_e32 v53, vcc_lo, -1, v139, vcc_lo
	s_delay_alu instid0(VALU_DEP_1) | instskip(SKIP_1) | instid1(SALU_CYCLE_1)
	v_cmp_gt_i64_e32 vcc_lo, s[4:5], v[52:53]
	s_and_b32 s28, s2, vcc_lo
	s_and_saveexec_b32 s3, s28
	s_cbranch_execz .LBB128_32
; %bb.31:                               ;   in Loop: Header=BB128_5 Depth=1
	v_add_co_u32 v24, vcc_lo, v93, v36
	v_add_co_ci_u32_e32 v25, vcc_lo, v94, v37, vcc_lo
	v_add_co_u32 v52, vcc_lo, v95, v36
	v_add_co_ci_u32_e32 v53, vcc_lo, v98, v37, vcc_lo
	global_load_b64 v[24:25], v[24:25], off
	global_load_b64 v[58:59], v[52:53], off
.LBB128_32:                             ;   in Loop: Header=BB128_5 Depth=1
	s_or_b32 exec_lo, exec_lo, s3
	v_add_co_u32 v52, vcc_lo, 0xffffff0c, v0
	v_add_co_ci_u32_e32 v53, vcc_lo, -1, v139, vcc_lo
	v_mov_b32_e32 v62, 0
	v_mov_b32_e32 v63, 0
	s_delay_alu instid0(VALU_DEP_3) | instskip(NEXT) | instid1(VALU_DEP_2)
	v_cmp_gt_i64_e32 vcc_lo, s[4:5], v[52:53]
	v_dual_mov_b32 v65, v63 :: v_dual_mov_b32 v64, v62
	s_and_b32 s28, s2, vcc_lo
	s_delay_alu instid0(SALU_CYCLE_1)
	s_and_saveexec_b32 s3, s28
	s_cbranch_execz .LBB128_34
; %bb.33:                               ;   in Loop: Header=BB128_5 Depth=1
	v_add_co_u32 v26, vcc_lo, v89, v36
	v_add_co_ci_u32_e32 v27, vcc_lo, v90, v37, vcc_lo
	v_add_co_u32 v52, vcc_lo, v91, v36
	v_add_co_ci_u32_e32 v53, vcc_lo, v92, v37, vcc_lo
	global_load_b64 v[26:27], v[26:27], off
	global_load_b64 v[64:65], v[52:53], off
.LBB128_34:                             ;   in Loop: Header=BB128_5 Depth=1
	s_or_b32 exec_lo, exec_lo, s3
	v_add_co_u32 v52, vcc_lo, 0xffffff0d, v0
	v_add_co_ci_u32_e32 v53, vcc_lo, -1, v139, vcc_lo
	s_delay_alu instid0(VALU_DEP_1) | instskip(SKIP_1) | instid1(SALU_CYCLE_1)
	v_cmp_gt_i64_e32 vcc_lo, s[4:5], v[52:53]
	s_and_b32 s28, s2, vcc_lo
	s_and_saveexec_b32 s3, s28
	s_cbranch_execz .LBB128_36
; %bb.35:                               ;   in Loop: Header=BB128_5 Depth=1
	v_add_co_u32 v28, vcc_lo, v85, v36
	v_add_co_ci_u32_e32 v29, vcc_lo, v86, v37, vcc_lo
	v_add_co_u32 v52, vcc_lo, v87, v36
	v_add_co_ci_u32_e32 v53, vcc_lo, v88, v37, vcc_lo
	global_load_b64 v[28:29], v[28:29], off
	global_load_b64 v[62:63], v[52:53], off
.LBB128_36:                             ;   in Loop: Header=BB128_5 Depth=1
	s_or_b32 exec_lo, exec_lo, s3
	v_add_co_u32 v52, vcc_lo, 0xffffff0e, v0
	v_add_co_ci_u32_e32 v53, vcc_lo, -1, v139, vcc_lo
	v_mov_b32_e32 v66, 0
	v_mov_b32_e32 v67, 0
	s_delay_alu instid0(VALU_DEP_3) | instskip(NEXT) | instid1(VALU_DEP_2)
	v_cmp_gt_i64_e32 vcc_lo, s[4:5], v[52:53]
	v_dual_mov_b32 v69, v67 :: v_dual_mov_b32 v68, v66
	s_and_b32 s28, s2, vcc_lo
	s_delay_alu instid0(SALU_CYCLE_1)
	s_and_saveexec_b32 s3, s28
	s_cbranch_execz .LBB128_38
; %bb.37:                               ;   in Loop: Header=BB128_5 Depth=1
	v_add_co_u32 v30, vcc_lo, v81, v36
	v_add_co_ci_u32_e32 v31, vcc_lo, v82, v37, vcc_lo
	v_add_co_u32 v52, vcc_lo, v83, v36
	v_add_co_ci_u32_e32 v53, vcc_lo, v84, v37, vcc_lo
	global_load_b64 v[30:31], v[30:31], off
	global_load_b64 v[68:69], v[52:53], off
.LBB128_38:                             ;   in Loop: Header=BB128_5 Depth=1
	s_or_b32 exec_lo, exec_lo, s3
	v_add_co_u32 v52, vcc_lo, 0xffffff0f, v0
	v_add_co_ci_u32_e32 v53, vcc_lo, -1, v139, vcc_lo
	s_delay_alu instid0(VALU_DEP_1) | instskip(SKIP_1) | instid1(SALU_CYCLE_1)
	v_cmp_gt_i64_e32 vcc_lo, s[4:5], v[52:53]
	s_and_b32 s28, s2, vcc_lo
	s_and_saveexec_b32 s3, s28
	s_cbranch_execz .LBB128_40
; %bb.39:                               ;   in Loop: Header=BB128_5 Depth=1
	v_add_co_u32 v32, vcc_lo, v77, v36
	v_add_co_ci_u32_e32 v33, vcc_lo, v78, v37, vcc_lo
	v_add_co_u32 v52, vcc_lo, v79, v36
	v_add_co_ci_u32_e32 v53, vcc_lo, v80, v37, vcc_lo
	global_load_b64 v[32:33], v[32:33], off
	global_load_b64 v[66:67], v[52:53], off
.LBB128_40:                             ;   in Loop: Header=BB128_5 Depth=1
	s_or_b32 exec_lo, exec_lo, s3
	v_add_co_u32 v52, vcc_lo, 0xffffff10, v0
	v_add_co_ci_u32_e32 v53, vcc_lo, -1, v139, vcc_lo
	s_delay_alu instid0(VALU_DEP_1) | instskip(SKIP_3) | instid1(SALU_CYCLE_1)
	v_cmp_gt_i64_e32 vcc_lo, s[4:5], v[52:53]
	v_mov_b32_e32 v52, 0
	v_mov_b32_e32 v53, 0
	s_and_b32 s28, s2, vcc_lo
	s_and_saveexec_b32 s3, s28
	s_cbranch_execz .LBB128_42
; %bb.41:                               ;   in Loop: Header=BB128_5 Depth=1
	v_add_co_u32 v34, vcc_lo, v73, v36
	v_add_co_ci_u32_e32 v35, vcc_lo, v74, v37, vcc_lo
	v_add_co_u32 v52, vcc_lo, v75, v36
	v_add_co_ci_u32_e32 v53, vcc_lo, v76, v37, vcc_lo
	global_load_b64 v[34:35], v[34:35], off
	global_load_b64 v[52:53], v[52:53], off
.LBB128_42:                             ;   in Loop: Header=BB128_5 Depth=1
	s_or_b32 exec_lo, exec_lo, s3
	s_waitcnt vmcnt(0)
	v_mul_f64 v[4:5], v[40:41], v[4:5]
	ds_bpermute_b32 v40, v3, v38
	ds_bpermute_b32 v41, v3, v39
	v_mul_f64 v[6:7], v[42:43], v[6:7]
	v_mul_f64 v[1:2], v[1:2], v[8:9]
	;; [unrolled: 1-line block ×3, first 2 shown]
	s_waitcnt lgkmcnt(0)
	v_fma_f64 v[4:5], v[4:5], v[40:41], v[96:97]
	ds_bpermute_b32 v40, v3, v38 offset:4
	ds_bpermute_b32 v41, v3, v39 offset:4
	s_waitcnt lgkmcnt(0)
	v_fma_f64 v[4:5], v[6:7], v[40:41], v[4:5]
	ds_bpermute_b32 v6, v3, v38 offset:8
	ds_bpermute_b32 v7, v3, v39 offset:8
	;; [unrolled: 4-line block ×3, first 2 shown]
	v_mul_f64 v[6:7], v[44:45], v[12:13]
	s_waitcnt lgkmcnt(0)
	v_fma_f64 v[1:2], v[8:9], v[4:5], v[1:2]
	ds_bpermute_b32 v4, v3, v38 offset:16
	ds_bpermute_b32 v5, v3, v39 offset:16
	v_mul_f64 v[8:9], v[50:51], v[14:15]
	s_waitcnt lgkmcnt(0)
	v_fma_f64 v[1:2], v[6:7], v[4:5], v[1:2]
	ds_bpermute_b32 v4, v3, v38 offset:20
	ds_bpermute_b32 v5, v3, v39 offset:20
	;; [unrolled: 5-line block ×10, first 2 shown]
	ds_bpermute_b32 v6, v3, v38 offset:56
	ds_bpermute_b32 v7, v3, v39 offset:56
	s_waitcnt lgkmcnt(2)
	v_fma_f64 v[1:2], v[8:9], v[4:5], v[1:2]
	v_mul_f64 v[4:5], v[66:67], v[32:33]
	s_waitcnt lgkmcnt(0)
	s_delay_alu instid0(VALU_DEP_1)
	v_fma_f64 v[1:2], v[4:5], v[6:7], v[1:2]
	ds_bpermute_b32 v4, v3, v38 offset:60
	ds_bpermute_b32 v5, v3, v39 offset:60
	s_branch .LBB128_4
.LBB128_43:                             ;   in Loop: Header=BB128_5 Depth=1
                                        ; implicit-def: $vgpr4_vgpr5_vgpr6_vgpr7_vgpr8_vgpr9_vgpr10_vgpr11_vgpr12_vgpr13_vgpr14_vgpr15_vgpr16_vgpr17_vgpr18_vgpr19_vgpr20_vgpr21_vgpr22_vgpr23_vgpr24_vgpr25_vgpr26_vgpr27_vgpr28_vgpr29_vgpr30_vgpr31_vgpr32_vgpr33_vgpr34_vgpr35
                                        ; implicit-def: $vgpr1_vgpr2
                                        ; implicit-def: $vgpr52_vgpr53
                                        ; implicit-def: $vgpr4
	s_cbranch_execz .LBB128_4
; %bb.44:                               ;   in Loop: Header=BB128_5 Depth=1
	s_load_b32 s3, s[18:19], 0x0
	s_waitcnt lgkmcnt(0)
	s_cmp_lt_u32 s14, s3
	s_cselect_b32 s3, 12, 18
	s_delay_alu instid0(SALU_CYCLE_1)
	s_add_u32 s28, s18, s3
	s_addc_u32 s29, s19, 0
	s_mov_b32 s3, exec_lo
	global_load_u16 v1, v3, s[28:29]
	s_waitcnt vmcnt(0)
	v_mad_u32_u24 v1, v70, v1, v72
	v_mov_b32_e32 v40, 0
	v_mov_b32_e32 v41, 0
	s_delay_alu instid0(VALU_DEP_2) | instskip(NEXT) | instid1(VALU_DEP_2)
	v_dual_mov_b32 v38, v40 :: v_dual_and_b32 v1, 31, v1
	v_mov_b32_e32 v39, v41
	s_delay_alu instid0(VALU_DEP_2)
	v_cmpx_gt_u32_e32 16, v1
	s_cbranch_execz .LBB128_48
; %bb.45:                               ;   in Loop: Header=BB128_5 Depth=1
	v_add_co_u32 v0, vcc_lo, v0, v1
	v_add_co_ci_u32_e32 v2, vcc_lo, 0, v139, vcc_lo
	v_mov_b32_e32 v38, 0
	s_delay_alu instid0(VALU_DEP_3) | instskip(NEXT) | instid1(VALU_DEP_3)
	v_add_co_u32 v1, vcc_lo, 0xffffff01, v0
	v_add_co_ci_u32_e32 v2, vcc_lo, -1, v2, vcc_lo
	v_mov_b32_e32 v39, 0
	s_mov_b32 s28, exec_lo
	s_delay_alu instid0(VALU_DEP_2)
	v_cmpx_gt_i64_e64 s[4:5], v[1:2]
	s_cbranch_execz .LBB128_47
; %bb.46:                               ;   in Loop: Header=BB128_5 Depth=1
	v_lshlrev_b64 v[0:1], 3, v[1:2]
	s_delay_alu instid0(VALU_DEP_1) | instskip(NEXT) | instid1(VALU_DEP_2)
	v_add_co_u32 v0, vcc_lo, s12, v0
	v_add_co_ci_u32_e32 v1, vcc_lo, s13, v1, vcc_lo
	global_load_b64 v[38:39], v[0:1], off
.LBB128_47:                             ;   in Loop: Header=BB128_5 Depth=1
	s_or_b32 exec_lo, exec_lo, s28
.LBB128_48:                             ;   in Loop: Header=BB128_5 Depth=1
	s_delay_alu instid0(SALU_CYCLE_1)
	s_or_b32 exec_lo, exec_lo, s3
	s_mov_b32 s37, s36
	s_mov_b32 s38, s36
	;; [unrolled: 1-line block ×31, first 2 shown]
	v_dual_mov_b32 v4, s36 :: v_dual_mov_b32 v5, s37
	v_dual_mov_b32 v6, s38 :: v_dual_mov_b32 v7, s39
	v_dual_mov_b32 v8, s40 :: v_dual_mov_b32 v9, s41
	v_dual_mov_b32 v10, s42 :: v_dual_mov_b32 v11, s43
	v_dual_mov_b32 v12, s44 :: v_dual_mov_b32 v13, s45
	v_dual_mov_b32 v14, s46 :: v_dual_mov_b32 v15, s47
	v_dual_mov_b32 v16, s48 :: v_dual_mov_b32 v17, s49
	v_dual_mov_b32 v18, s50 :: v_dual_mov_b32 v19, s51
	v_dual_mov_b32 v20, s52 :: v_dual_mov_b32 v21, s53
	v_dual_mov_b32 v22, s54 :: v_dual_mov_b32 v23, s55
	v_dual_mov_b32 v24, s56 :: v_dual_mov_b32 v25, s57
	v_dual_mov_b32 v26, s58 :: v_dual_mov_b32 v27, s59
	v_dual_mov_b32 v28, s60 :: v_dual_mov_b32 v29, s61
	v_dual_mov_b32 v30, s62 :: v_dual_mov_b32 v31, s63
	v_dual_mov_b32 v32, s64 :: v_dual_mov_b32 v33, s65
	v_dual_mov_b32 v34, s66 :: v_dual_mov_b32 v35, s67
	s_and_saveexec_b32 s3, s2
	s_cbranch_execz .LBB128_50
; %bb.49:                               ;   in Loop: Header=BB128_5 Depth=1
	v_add_co_u32 v0, vcc_lo, v135, v36
	v_add_co_ci_u32_e32 v1, vcc_lo, v136, v37, vcc_lo
	v_add_co_u32 v4, vcc_lo, v137, v36
	v_add_co_ci_u32_e32 v5, vcc_lo, v138, v37, vcc_lo
	global_load_b64 v[1:2], v[0:1], off
	v_mov_b32_e32 v32, v3
	v_mov_b32_e32 v6, v3
	global_load_b64 v[40:41], v[4:5], off
	v_mov_b32_e32 v4, v3
	v_mov_b32_e32 v5, v3
	;; [unrolled: 1-line block ×27, first 2 shown]
	s_waitcnt vmcnt(1)
	v_mov_b32_e32 v35, v32
	s_delay_alu instid0(VALU_DEP_2)
	v_dual_mov_b32 v34, v31 :: v_dual_mov_b32 v33, v30
	v_mov_b32_e32 v32, v29
	v_mov_b32_e32 v31, v28
	v_mov_b32_e32 v30, v27
	v_mov_b32_e32 v29, v26
	v_mov_b32_e32 v28, v25
	v_mov_b32_e32 v27, v24
	v_mov_b32_e32 v26, v23
	v_mov_b32_e32 v25, v22
	v_mov_b32_e32 v24, v21
	v_mov_b32_e32 v23, v20
	v_mov_b32_e32 v22, v19
	v_mov_b32_e32 v21, v18
	v_mov_b32_e32 v20, v17
	v_mov_b32_e32 v19, v16
	v_mov_b32_e32 v18, v15
	v_mov_b32_e32 v17, v14
	v_mov_b32_e32 v16, v13
	v_mov_b32_e32 v15, v12
	v_mov_b32_e32 v14, v11
	v_mov_b32_e32 v13, v10
	v_mov_b32_e32 v12, v9
	v_mov_b32_e32 v11, v8
	v_mov_b32_e32 v10, v7
	v_mov_b32_e32 v9, v6
	v_mov_b32_e32 v8, v5
	v_mov_b32_e32 v7, v4
	v_mov_b32_e32 v6, v3
	v_mov_b32_e32 v5, v2
	v_mov_b32_e32 v4, v1
.LBB128_50:                             ;   in Loop: Header=BB128_5 Depth=1
	s_or_b32 exec_lo, exec_lo, s3
	v_mov_b32_e32 v1, 0
	v_mov_b32_e32 v2, 0
	s_delay_alu instid0(VALU_DEP_1)
	v_dual_mov_b32 v43, v2 :: v_dual_mov_b32 v42, v1
	s_and_saveexec_b32 s3, s2
	s_cbranch_execz .LBB128_52
; %bb.51:                               ;   in Loop: Header=BB128_5 Depth=1
	v_add_co_u32 v6, vcc_lo, v131, v36
	v_add_co_ci_u32_e32 v7, vcc_lo, v132, v37, vcc_lo
	v_add_co_u32 v42, vcc_lo, v133, v36
	v_add_co_ci_u32_e32 v43, vcc_lo, v134, v37, vcc_lo
	global_load_b64 v[6:7], v[6:7], off
	global_load_b64 v[42:43], v[42:43], off
.LBB128_52:                             ;   in Loop: Header=BB128_5 Depth=1
	s_or_b32 exec_lo, exec_lo, s3
	s_and_saveexec_b32 s3, s2
	s_cbranch_execz .LBB128_54
; %bb.53:                               ;   in Loop: Header=BB128_5 Depth=1
	v_add_co_u32 v0, vcc_lo, v127, v36
	v_add_co_ci_u32_e32 v1, vcc_lo, v128, v37, vcc_lo
	v_add_co_u32 v44, vcc_lo, v129, v36
	v_add_co_ci_u32_e32 v45, vcc_lo, v130, v37, vcc_lo
	global_load_b64 v[8:9], v[0:1], off
	global_load_b64 v[1:2], v[44:45], off
.LBB128_54:                             ;   in Loop: Header=BB128_5 Depth=1
	s_or_b32 exec_lo, exec_lo, s3
	v_mov_b32_e32 v44, 0
	v_mov_b32_e32 v45, 0
	s_delay_alu instid0(VALU_DEP_1)
	v_dual_mov_b32 v47, v45 :: v_dual_mov_b32 v46, v44
	s_and_saveexec_b32 s3, s2
	s_cbranch_execz .LBB128_56
; %bb.55:                               ;   in Loop: Header=BB128_5 Depth=1
	v_add_co_u32 v10, vcc_lo, v123, v36
	v_add_co_ci_u32_e32 v11, vcc_lo, v124, v37, vcc_lo
	v_add_co_u32 v46, vcc_lo, v125, v36
	v_add_co_ci_u32_e32 v47, vcc_lo, v126, v37, vcc_lo
	global_load_b64 v[10:11], v[10:11], off
	global_load_b64 v[46:47], v[46:47], off
.LBB128_56:                             ;   in Loop: Header=BB128_5 Depth=1
	s_or_b32 exec_lo, exec_lo, s3
	s_and_saveexec_b32 s3, s2
	s_cbranch_execz .LBB128_58
; %bb.57:                               ;   in Loop: Header=BB128_5 Depth=1
	v_add_co_u32 v12, vcc_lo, v119, v36
	v_add_co_ci_u32_e32 v13, vcc_lo, v120, v37, vcc_lo
	v_add_co_u32 v44, vcc_lo, v121, v36
	v_add_co_ci_u32_e32 v45, vcc_lo, v122, v37, vcc_lo
	global_load_b64 v[12:13], v[12:13], off
	global_load_b64 v[44:45], v[44:45], off
.LBB128_58:                             ;   in Loop: Header=BB128_5 Depth=1
	;; [unrolled: 26-line block ×7, first 2 shown]
	s_or_b32 exec_lo, exec_lo, s3
	v_mov_b32_e32 v52, 0
	v_mov_b32_e32 v53, 0
	s_and_saveexec_b32 s3, s2
	s_cbranch_execz .LBB128_3
; %bb.79:                               ;   in Loop: Header=BB128_5 Depth=1
	v_add_co_u32 v34, vcc_lo, v73, v36
	v_add_co_ci_u32_e32 v35, vcc_lo, v74, v37, vcc_lo
	v_add_co_u32 v52, vcc_lo, v75, v36
	v_add_co_ci_u32_e32 v53, vcc_lo, v76, v37, vcc_lo
	global_load_b64 v[34:35], v[34:35], off
	global_load_b64 v[52:53], v[52:53], off
	s_branch .LBB128_3
.LBB128_80:
                                        ; implicit-def: $vgpr96_vgpr97
	s_branch .LBB128_82
.LBB128_81:
	s_cbranch_execnz .LBB128_131
.LBB128_82:
	v_mov_b32_e32 v96, 0
	v_mov_b32_e32 v97, 0
	s_and_not1_b32 vcc_lo, exec_lo, s15
	s_cbranch_vccnz .LBB128_131
; %bb.83:
	s_load_b32 s15, s[0:1], 0x44
	v_bfe_u32 v12, v140, 10, 10
	s_add_u32 s2, s0, 64
	s_addc_u32 s3, s1, 0
	s_mov_b32 s36, 0
	s_delay_alu instid0(VALU_DEP_1)
	v_lshlrev_b32_e32 v0, 7, v12
	v_lshlrev_b32_e32 v64, 4, v12
	s_clause 0x1
	scratch_store_b32 off, v12, off offset:24
	scratch_store_b32 off, v64, off offset:28
	s_waitcnt lgkmcnt(0)
	s_lshl_b32 s15, s15, 8
	s_add_u32 s18, s16, 0xff
	s_addc_u32 s19, 0, 0
	s_lshl_b64 s[20:21], s[16:17], 3
	s_delay_alu instid0(SALU_CYCLE_1) | instskip(NEXT) | instid1(VALU_DEP_1)
	v_add_co_u32 v0, s20, v0, s20
	v_add_co_ci_u32_e64 v1, null, 0, s21, s20
	v_add_co_u32 v101, s20, v64, s16
	s_delay_alu instid0(VALU_DEP_3) | instskip(NEXT) | instid1(VALU_DEP_3)
	v_add_co_u32 v3, vcc_lo, v0, 8
	v_add_co_ci_u32_e32 v2, vcc_lo, 0, v1, vcc_lo
	v_add_co_u32 v4, vcc_lo, v0, 16
	v_add_co_ci_u32_e32 v5, vcc_lo, 0, v1, vcc_lo
	;; [unrolled: 2-line block ×3, first 2 shown]
	v_add_co_u32 v12, vcc_lo, v0, 32
	v_mul_lo_u32 v8, s6, v2
	v_add_co_ci_u32_e32 v2, vcc_lo, 0, v1, vcc_lo
	v_add_co_u32 v13, vcc_lo, v0, 40
	v_add_co_ci_u32_e32 v14, vcc_lo, 0, v1, vcc_lo
	v_add_co_u32 v17, vcc_lo, v0, 48
	s_delay_alu instid0(VALU_DEP_4) | instskip(SKIP_4) | instid1(VALU_DEP_4)
	v_mul_lo_u32 v15, s6, v2
	v_add_co_ci_u32_e32 v2, vcc_lo, 0, v1, vcc_lo
	v_add_co_u32 v19, vcc_lo, v0, 56
	v_add_co_ci_u32_e32 v20, vcc_lo, 0, v1, vcc_lo
	v_add_co_u32 v23, vcc_lo, v0, 64
	v_mul_lo_u32 v21, s6, v2
	v_add_co_ci_u32_e32 v2, vcc_lo, 0, v1, vcc_lo
	v_add_co_u32 v25, vcc_lo, 0x48, v0
	v_add_co_ci_u32_e32 v26, vcc_lo, 0, v1, vcc_lo
	v_add_co_u32 v30, vcc_lo, 0x50, v0
	s_delay_alu instid0(VALU_DEP_4) | instskip(SKIP_4) | instid1(VALU_DEP_4)
	v_mul_lo_u32 v27, s6, v2
	v_add_co_ci_u32_e32 v2, vcc_lo, 0, v1, vcc_lo
	v_add_co_u32 v31, vcc_lo, 0x58, v0
	v_add_co_ci_u32_e32 v32, vcc_lo, 0, v1, vcc_lo
	v_add_co_u32 v35, vcc_lo, 0x60, v0
	v_mul_lo_u32 v33, s6, v2
	v_add_co_ci_u32_e32 v2, vcc_lo, 0, v1, vcc_lo
	v_add_co_u32 v93, vcc_lo, 0x68, v0
	v_mad_u64_u32 v[38:39], null, s6, v4, s[8:9]
	v_mul_lo_u32 v5, s6, v5
	v_mul_lo_u32 v10, s7, v4
	v_mad_u64_u32 v[68:69], null, s6, v4, s[10:11]
	v_add_co_ci_u32_e32 v62, vcc_lo, 0, v1, vcc_lo
	v_mad_u64_u32 v[58:59], null, s6, v35, s[8:9]
	v_mul_lo_u32 v94, s6, v2
	v_mul_lo_u32 v95, s7, v35
	v_add_co_u32 v98, vcc_lo, 0x70, v0
	v_mad_u64_u32 v[88:89], null, s6, v35, s[10:11]
	v_mad_u64_u32 v[36:37], null, s6, v3, s[8:9]
	v_mul_lo_u32 v9, s7, v3
	v_mad_u64_u32 v[66:67], null, s6, v3, s[10:11]
	v_add_co_ci_u32_e32 v2, vcc_lo, 0, v1, vcc_lo
	v_add_co_u32 v0, vcc_lo, 0x78, v0
	v_add_co_ci_u32_e64 v102, null, 0, 0, s20
	v_add_co_ci_u32_e32 v1, vcc_lo, 0, v1, vcc_lo
	v_add3_u32 v39, v10, v39, v5
	v_add3_u32 v69, v10, v69, v5
	v_add_co_u32 v5, vcc_lo, v101, 15
	v_mad_u64_u32 v[40:41], null, s6, v6, s[8:9]
	v_mul_lo_u32 v7, s6, v7
	v_mul_lo_u32 v11, s7, v6
	v_add3_u32 v59, v95, v59, v94
	v_mad_u64_u32 v[64:65], null, s6, v0, s[8:9]
	v_mul_lo_u32 v104, s7, v0
	v_mad_u64_u32 v[70:71], null, s6, v6, s[10:11]
	v_add3_u32 v89, v95, v89, v94
	v_mad_u64_u32 v[94:95], null, s6, v0, s[10:11]
	v_add_co_ci_u32_e32 v0, vcc_lo, 0, v102, vcc_lo
	v_add3_u32 v37, v9, v37, v8
	v_add3_u32 v67, v9, v67, v8
	v_add_co_u32 v8, vcc_lo, v101, 14
	v_add_co_ci_u32_e32 v6, vcc_lo, 0, v102, vcc_lo
	v_add3_u32 v41, v11, v41, v7
	v_mul_lo_u32 v99, s6, v2
	v_mul_lo_u32 v103, s6, v1
	;; [unrolled: 1-line block ×4, first 2 shown]
	v_mad_u64_u32 v[1:2], null, s6, v101, 0
	v_add3_u32 v71, v11, v71, v7
	v_mul_lo_u32 v7, s7, v5
	v_mad_u64_u32 v[3:4], null, s6, v5, 0
	v_mul_lo_u32 v9, s7, v8
	v_mul_lo_u32 v10, s6, v6
	v_mad_u64_u32 v[5:6], null, s6, v8, 0
	v_mul_lo_u32 v0, s6, v0
	v_add_co_u32 v11, vcc_lo, v101, 13
	v_add_co_ci_u32_e32 v8, vcc_lo, 0, v102, vcc_lo
	v_mad_u64_u32 v[42:43], null, s6, v12, s[8:9]
	v_mul_lo_u32 v16, s7, v12
	v_mad_u64_u32 v[72:73], null, s6, v12, s[10:11]
	v_add_co_u32 v12, vcc_lo, v101, 12
	v_mad_u64_u32 v[44:45], null, s6, v13, s[8:9]
	v_mul_lo_u32 v14, s6, v14
	v_mul_lo_u32 v18, s7, v13
	v_mad_u64_u32 v[46:47], null, s6, v17, s[8:9]
	v_mul_lo_u32 v22, s7, v17
	v_mad_u64_u32 v[48:49], null, s6, v19, s[8:9]
	v_mul_lo_u32 v20, s6, v20
	v_mul_lo_u32 v24, s7, v19
	v_mad_u64_u32 v[74:75], null, s6, v13, s[10:11]
	v_add3_u32 v2, v2, v77, v76
	v_mad_u64_u32 v[76:77], null, s6, v17, s[10:11]
	v_mad_u64_u32 v[78:79], null, s6, v19, s[10:11]
	v_add3_u32 v6, v6, v10, v9
	v_add_co_ci_u32_e32 v9, vcc_lo, 0, v102, vcc_lo
	v_add_co_u32 v13, vcc_lo, v101, 11
	v_add3_u32 v4, v4, v0, v7
	v_mul_lo_u32 v0, s7, v11
	v_mul_lo_u32 v17, s6, v8
	v_mad_u64_u32 v[7:8], null, s6, v11, 0
	v_add_co_ci_u32_e32 v11, vcc_lo, 0, v102, vcc_lo
	v_add3_u32 v43, v16, v43, v15
	v_add3_u32 v73, v16, v73, v15
	v_add_co_u32 v15, vcc_lo, v101, 10
	v_add3_u32 v45, v18, v45, v14
	v_add3_u32 v47, v22, v47, v21
	;; [unrolled: 1-line block ×6, first 2 shown]
	v_mul_lo_u32 v18, s7, v12
	v_mul_lo_u32 v19, s6, v9
	v_mad_u64_u32 v[9:10], null, s6, v12, 0
	v_mul_lo_u32 v20, s7, v13
	v_mul_lo_u32 v21, s6, v11
	v_mad_u64_u32 v[11:12], null, s6, v13, 0
	v_add_co_ci_u32_e32 v13, vcc_lo, 0, v102, vcc_lo
	v_mad_u64_u32 v[50:51], null, s6, v23, s[8:9]
	v_mul_lo_u32 v28, s7, v23
	v_mad_u64_u32 v[80:81], null, s6, v23, s[10:11]
	v_add_co_u32 v23, vcc_lo, v101, 9
	v_mad_u64_u32 v[56:57], null, s6, v31, s[8:9]
	v_mul_lo_u32 v32, s6, v32
	v_mul_lo_u32 v92, s7, v31
	v_mad_u64_u32 v[86:87], null, s6, v31, s[10:11]
	v_add_co_ci_u32_e32 v16, vcc_lo, 0, v102, vcc_lo
	v_mul_lo_u32 v22, s7, v15
	v_mul_lo_u32 v24, s6, v13
	v_mad_u64_u32 v[13:14], null, s6, v15, 0
	v_add3_u32 v8, v8, v17, v0
	v_add_co_u32 v0, vcc_lo, v101, 8
	v_add_co_ci_u32_e32 v17, vcc_lo, 0, v102, vcc_lo
	v_add3_u32 v12, v12, v21, v20
	v_add_co_u32 v21, vcc_lo, v101, 7
	v_mad_u64_u32 v[54:55], null, s6, v30, s[8:9]
	v_mul_lo_u32 v34, s7, v30
	v_mad_u64_u32 v[60:61], null, s6, v93, s[8:9]
	v_mul_lo_u32 v96, s6, v62
	v_mul_lo_u32 v97, s7, v93
	v_mad_u64_u32 v[84:85], null, s6, v30, s[10:11]
	v_mad_u64_u32 v[90:91], null, s6, v93, s[10:11]
	v_add3_u32 v10, v10, v19, v18
	v_add_co_ci_u32_e32 v19, vcc_lo, 0, v102, vcc_lo
	v_add3_u32 v57, v92, v57, v32
	v_add3_u32 v87, v92, v87, v32
	v_mul_lo_u32 v31, s7, v23
	v_mul_lo_u32 v32, s6, v16
	v_mad_u64_u32 v[15:16], null, s6, v23, 0
	v_add_co_u32 v23, vcc_lo, v101, 6
	v_mad_u64_u32 v[52:53], null, s6, v25, s[8:9]
	v_mul_lo_u32 v26, s6, v26
	v_mul_lo_u32 v29, s7, v25
	v_mad_u64_u32 v[82:83], null, s6, v25, s[10:11]
	v_add3_u32 v14, v14, v24, v22
	v_add_co_ci_u32_e32 v22, vcc_lo, 0, v102, vcc_lo
	v_add_co_u32 v25, vcc_lo, v101, 5
	v_add3_u32 v55, v34, v55, v33
	v_add3_u32 v61, v97, v61, v96
	v_mad_u64_u32 v[62:63], null, s6, v98, s[8:9]
	v_mul_lo_u32 v100, s7, v98
	v_add3_u32 v85, v34, v85, v33
	v_add3_u32 v91, v97, v91, v96
	v_mad_u64_u32 v[92:93], null, s6, v98, s[10:11]
	v_mul_lo_u32 v33, s7, v0
	v_mul_lo_u32 v34, s6, v17
	v_mad_u64_u32 v[17:18], null, s6, v0, 0
	v_mul_lo_u32 v0, s7, v21
	v_mul_lo_u32 v35, s6, v19
	;; [unrolled: 3-line block ×3, first 2 shown]
	v_mad_u64_u32 v[21:22], null, s6, v23, 0
	v_add_co_ci_u32_e32 v23, vcc_lo, 0, v102, vcc_lo
	v_add3_u32 v51, v28, v51, v27
	v_add3_u32 v81, v28, v81, v27
	v_add_co_u32 v27, vcc_lo, v101, 4
	v_add3_u32 v53, v29, v53, v26
	v_add3_u32 v83, v29, v83, v26
	v_add_co_ci_u32_e32 v26, vcc_lo, 0, v102, vcc_lo
	v_add_co_u32 v29, vcc_lo, v101, 3
	v_add3_u32 v63, v100, v63, v99
	v_add3_u32 v65, v104, v65, v103
	;; [unrolled: 1-line block ×4, first 2 shown]
	v_mul_lo_u32 v98, s7, v25
	v_mul_lo_u32 v99, s6, v23
	v_mad_u64_u32 v[23:24], null, s6, v25, 0
	v_mul_lo_u32 v100, s7, v27
	v_mul_lo_u32 v103, s6, v26
	v_mad_u64_u32 v[25:26], null, s6, v27, 0
	v_add_co_ci_u32_e32 v27, vcc_lo, 0, v102, vcc_lo
	v_add_co_u32 v101, vcc_lo, v101, 2
	v_add3_u32 v16, v16, v32, v31
	v_lshlrev_b64 v[31:32], 3, v[1:2]
	v_add_co_ci_u32_e32 v30, vcc_lo, 0, v102, vcc_lo
	v_add3_u32 v20, v20, v35, v0
	v_add_co_u32 v0, vcc_lo, v1, s6
	v_add_co_ci_u32_e32 v1, vcc_lo, s7, v2, vcc_lo
	v_add_co_u32 v134, vcc_lo, s8, v31
	v_lshlrev_b64 v[2:3], 3, v[3:4]
	v_add_co_ci_u32_e32 v135, vcc_lo, s9, v32, vcc_lo
	v_add_co_u32 v136, vcc_lo, s10, v31
	v_add_co_ci_u32_e32 v137, vcc_lo, s11, v32, vcc_lo
	s_delay_alu instid0(VALU_DEP_4)
	v_add_co_u32 v138, vcc_lo, s8, v2
	v_lshlrev_b64 v[4:5], 3, v[5:6]
	v_add_co_ci_u32_e32 v139, vcc_lo, s9, v3, vcc_lo
	v_mov_b32_e32 v31, v140
	v_add_co_u32 v140, vcc_lo, s10, v2
	v_add_co_ci_u32_e32 v141, vcc_lo, s11, v3, vcc_lo
	v_add_co_u32 v142, vcc_lo, s8, v4
	v_lshlrev_b64 v[2:3], 3, v[7:8]
	v_add_co_ci_u32_e32 v143, vcc_lo, s9, v5, vcc_lo
	v_add_co_u32 v144, vcc_lo, s10, v4
	v_add_co_ci_u32_e32 v145, vcc_lo, s11, v5, vcc_lo
	s_delay_alu instid0(VALU_DEP_4) | instskip(SKIP_4) | instid1(VALU_DEP_4)
	v_add_co_u32 v146, vcc_lo, s8, v2
	v_lshlrev_b64 v[4:5], 3, v[9:10]
	v_add_co_ci_u32_e32 v147, vcc_lo, s9, v3, vcc_lo
	v_add_co_u32 v148, vcc_lo, s10, v2
	v_add_co_ci_u32_e32 v149, vcc_lo, s11, v3, vcc_lo
	v_add_co_u32 v150, vcc_lo, s8, v4
	v_lshlrev_b64 v[2:3], 3, v[11:12]
	v_add_co_ci_u32_e32 v151, vcc_lo, s9, v5, vcc_lo
	v_add_co_u32 v152, vcc_lo, s10, v4
	v_add_co_ci_u32_e32 v153, vcc_lo, s11, v5, vcc_lo
	s_delay_alu instid0(VALU_DEP_4) | instskip(SKIP_4) | instid1(VALU_DEP_4)
	v_add_co_u32 v154, vcc_lo, s8, v2
	v_lshlrev_b64 v[4:5], 3, v[13:14]
	v_add_co_ci_u32_e32 v155, vcc_lo, s9, v3, vcc_lo
	v_add_co_u32 v156, vcc_lo, s10, v2
	v_add_co_ci_u32_e32 v157, vcc_lo, s11, v3, vcc_lo
	v_add_co_u32 v158, vcc_lo, s8, v4
	v_lshlrev_b64 v[2:3], 3, v[15:16]
	v_add3_u32 v18, v18, v34, v33
	v_add_co_ci_u32_e32 v159, vcc_lo, s9, v5, vcc_lo
	v_add_co_u32 v160, vcc_lo, s10, v4
	v_add_co_ci_u32_e32 v161, vcc_lo, s11, v5, vcc_lo
	v_add_co_u32 v162, vcc_lo, s8, v2
	v_lshlrev_b64 v[4:5], 3, v[17:18]
	v_add_co_ci_u32_e32 v163, vcc_lo, s9, v3, vcc_lo
	v_add_co_u32 v164, vcc_lo, s10, v2
	v_add_co_ci_u32_e32 v165, vcc_lo, s11, v3, vcc_lo
	s_delay_alu instid0(VALU_DEP_4)
	v_add_co_u32 v166, vcc_lo, s8, v4
	v_lshlrev_b64 v[2:3], 3, v[19:20]
	v_add3_u32 v22, v22, v97, v96
	v_add_co_ci_u32_e32 v167, vcc_lo, s9, v5, vcc_lo
	v_add_co_u32 v168, vcc_lo, s10, v4
	v_add_co_ci_u32_e32 v169, vcc_lo, s11, v5, vcc_lo
	v_add_co_u32 v170, vcc_lo, s8, v2
	v_lshlrev_b64 v[4:5], 3, v[21:22]
	v_add3_u32 v24, v24, v99, v98
	v_add_co_ci_u32_e32 v171, vcc_lo, s9, v3, vcc_lo
	v_add_co_u32 v172, vcc_lo, s10, v2
	v_mul_lo_u32 v102, s6, v27
	v_mul_lo_u32 v104, s7, v29
	v_mad_u64_u32 v[27:28], null, s6, v29, 0
	v_add_co_ci_u32_e32 v173, vcc_lo, s11, v3, vcc_lo
	v_add_co_u32 v174, vcc_lo, s8, v4
	v_lshlrev_b64 v[2:3], 3, v[23:24]
	v_add3_u32 v26, v26, v103, v100
	v_add_co_ci_u32_e32 v175, vcc_lo, s9, v5, vcc_lo
	v_add_co_u32 v176, vcc_lo, s10, v4
	v_mul_lo_u32 v105, s6, v30
	v_mul_lo_u32 v106, s7, v101
	v_mad_u64_u32 v[29:30], null, s6, v101, 0
	v_add_co_ci_u32_e32 v177, vcc_lo, s11, v5, vcc_lo
	v_add_co_u32 v178, vcc_lo, s8, v2
	v_lshlrev_b64 v[4:5], 3, v[25:26]
	v_add3_u32 v28, v28, v102, v104
	v_add_co_ci_u32_e32 v179, vcc_lo, s9, v3, vcc_lo
	v_add_co_u32 v180, vcc_lo, s10, v2
	v_add_co_ci_u32_e32 v181, vcc_lo, s11, v3, vcc_lo
	v_add_co_u32 v182, vcc_lo, s8, v4
	v_lshlrev_b64 v[2:3], 3, v[27:28]
	v_add3_u32 v30, v30, v105, v106
	v_add_co_ci_u32_e32 v183, vcc_lo, s9, v5, vcc_lo
	v_add_co_u32 v184, vcc_lo, s10, v4
	v_add_co_ci_u32_e32 v185, vcc_lo, s11, v5, vcc_lo
	v_add_co_u32 v186, vcc_lo, s8, v2
	v_lshlrev_b64 v[4:5], 3, v[29:30]
	v_add_co_ci_u32_e32 v187, vcc_lo, s9, v3, vcc_lo
	v_add_co_u32 v188, vcc_lo, s10, v2
	v_add_co_ci_u32_e32 v189, vcc_lo, s11, v3, vcc_lo
	s_delay_alu instid0(VALU_DEP_4)
	v_add_co_u32 v190, vcc_lo, s8, v4
	v_lshlrev_b64 v[6:7], 3, v[0:1]
	v_and_b32_e32 v1, 0x3ff, v31
	v_add_co_ci_u32_e32 v191, vcc_lo, s9, v5, vcc_lo
	v_add_co_u32 v133, vcc_lo, s10, v4
	v_add_co_ci_u32_e32 v0, vcc_lo, s11, v5, vcc_lo
	s_delay_alu instid0(VALU_DEP_4)
	v_dual_mov_b32 v3, 0 :: v_dual_add_nc_u32 v2, s26, v1
	v_add_co_u32 v132, vcc_lo, s8, v6
	v_add_co_ci_u32_e32 v100, vcc_lo, s9, v7, vcc_lo
	v_add_co_u32 v101, vcc_lo, s10, v6
	scratch_store_b32 off, v1, off offset:32 ; 4-byte Folded Spill
	s_mul_i32 s8, s7, s15
	s_mul_hi_u32 s9, s6, s15
	v_lshlrev_b64 v[98:99], 3, v[2:3]
	v_mov_b32_e32 v1, 0
	v_add_co_ci_u32_e32 v104, vcc_lo, s11, v7, vcc_lo
	v_mov_b32_e32 v2, 0
	s_add_i32 s9, s9, s8
	s_mul_i32 s8, s6, s15
	scratch_store_b32 off, v31, off offset:36 ; 4-byte Folded Spill
	s_lshl_b64 s[8:9], s[8:9], 3
	scratch_store_b64 off, v[1:2], off      ; 8-byte Folded Spill
.LBB128_84:                             ; =>This Inner Loop Header: Depth=1
	scratch_load_b32 v1, off, off offset:28 ; 4-byte Folded Reload
	v_cmp_ge_i64_e64 s10, s[18:19], s[4:5]
	s_delay_alu instid0(VALU_DEP_1) | instskip(SKIP_2) | instid1(VALU_DEP_1)
	s_and_b32 vcc_lo, exec_lo, s10
	s_waitcnt vmcnt(0)
	v_add_co_u32 v105, s11, v1, s18
	v_add_co_ci_u32_e64 v108, null, 0, s19, s11
	s_cbranch_vccz .LBB128_122
; %bb.85:                               ;   in Loop: Header=BB128_84 Depth=1
	s_load_b32 s10, s[2:3], 0xc
	s_clause 0x1
	scratch_load_b32 v1, off, off offset:24
	scratch_load_b32 v2, off, off offset:32
	s_waitcnt lgkmcnt(0)
	s_and_b32 s10, s10, 0xffff
	s_waitcnt vmcnt(0)
	v_mad_u32_u24 v1, v1, s10, v2
	v_mov_b32_e32 v102, 0
	v_mov_b32_e32 v103, 0
	s_delay_alu instid0(VALU_DEP_2) | instskip(SKIP_2) | instid1(VALU_DEP_3)
	v_mov_b32_e32 v96, v102
	s_mov_b32 s10, exec_lo
	v_and_b32_e32 v1, 31, v1
	v_mov_b32_e32 v97, v103
	s_delay_alu instid0(VALU_DEP_2)
	v_cmpx_gt_u32_e32 16, v1
	s_cbranch_execz .LBB128_89
; %bb.86:                               ;   in Loop: Header=BB128_84 Depth=1
	v_add_co_u32 v1, vcc_lo, v105, v1
	v_add_co_ci_u32_e32 v2, vcc_lo, 0, v108, vcc_lo
	v_mov_b32_e32 v96, 0
	s_delay_alu instid0(VALU_DEP_3) | instskip(NEXT) | instid1(VALU_DEP_3)
	v_add_co_u32 v1, vcc_lo, 0xffffff01, v1
	v_add_co_ci_u32_e32 v2, vcc_lo, -1, v2, vcc_lo
	v_mov_b32_e32 v97, 0
	s_mov_b32 s11, exec_lo
	s_delay_alu instid0(VALU_DEP_2)
	v_cmpx_gt_i64_e64 s[4:5], v[1:2]
	s_cbranch_execz .LBB128_88
; %bb.87:                               ;   in Loop: Header=BB128_84 Depth=1
	v_lshlrev_b64 v[1:2], 3, v[1:2]
	s_delay_alu instid0(VALU_DEP_1) | instskip(NEXT) | instid1(VALU_DEP_2)
	v_add_co_u32 v1, vcc_lo, s12, v1
	v_add_co_ci_u32_e32 v2, vcc_lo, s13, v2, vcc_lo
	global_load_b64 v[96:97], v[1:2], off
.LBB128_88:                             ;   in Loop: Header=BB128_84 Depth=1
	s_or_b32 exec_lo, exec_lo, s11
.LBB128_89:                             ;   in Loop: Header=BB128_84 Depth=1
	s_delay_alu instid0(SALU_CYCLE_1)
	s_or_b32 exec_lo, exec_lo, s10
	v_add_co_u32 v1, vcc_lo, 0xffffff01, v105
	s_mov_b32 s37, s36
	s_mov_b32 s38, s36
	;; [unrolled: 1-line block ×31, first 2 shown]
	v_dual_mov_b32 v4, s36 :: v_dual_mov_b32 v5, s37
	v_add_co_ci_u32_e32 v2, vcc_lo, -1, v108, vcc_lo
	v_dual_mov_b32 v6, s38 :: v_dual_mov_b32 v7, s39
	v_dual_mov_b32 v8, s40 :: v_dual_mov_b32 v9, s41
	;; [unrolled: 1-line block ×15, first 2 shown]
	s_mov_b32 s10, exec_lo
	v_cmpx_gt_i64_e64 s[4:5], v[1:2]
	s_cbranch_execz .LBB128_91
; %bb.90:                               ;   in Loop: Header=BB128_84 Depth=1
	v_add_co_u32 v1, vcc_lo, v134, v98
	v_add_co_ci_u32_e32 v2, vcc_lo, v135, v99, vcc_lo
	v_add_co_u32 v4, vcc_lo, v136, v98
	v_add_co_ci_u32_e32 v5, vcc_lo, v137, v99, vcc_lo
	global_load_b64 v[1:2], v[1:2], off
	v_mov_b32_e32 v32, v3
	v_mov_b32_e32 v6, v3
	global_load_b64 v[102:103], v[4:5], off
	v_mov_b32_e32 v4, v3
	v_mov_b32_e32 v5, v3
	;; [unrolled: 1-line block ×27, first 2 shown]
	s_waitcnt vmcnt(1)
	v_mov_b32_e32 v35, v32
	s_delay_alu instid0(VALU_DEP_2)
	v_dual_mov_b32 v34, v31 :: v_dual_mov_b32 v33, v30
	v_mov_b32_e32 v32, v29
	v_mov_b32_e32 v31, v28
	v_mov_b32_e32 v30, v27
	v_mov_b32_e32 v29, v26
	v_mov_b32_e32 v28, v25
	v_mov_b32_e32 v27, v24
	v_mov_b32_e32 v26, v23
	v_mov_b32_e32 v25, v22
	v_mov_b32_e32 v24, v21
	v_mov_b32_e32 v23, v20
	v_mov_b32_e32 v22, v19
	v_mov_b32_e32 v21, v18
	v_mov_b32_e32 v20, v17
	v_mov_b32_e32 v19, v16
	v_mov_b32_e32 v18, v15
	v_mov_b32_e32 v17, v14
	v_mov_b32_e32 v16, v13
	v_mov_b32_e32 v15, v12
	v_mov_b32_e32 v14, v11
	v_mov_b32_e32 v13, v10
	v_mov_b32_e32 v12, v9
	v_mov_b32_e32 v11, v8
	v_mov_b32_e32 v10, v7
	v_mov_b32_e32 v9, v6
	v_mov_b32_e32 v8, v5
	v_mov_b32_e32 v7, v4
	v_mov_b32_e32 v6, v3
	v_mov_b32_e32 v5, v2
	v_mov_b32_e32 v4, v1
.LBB128_91:                             ;   in Loop: Header=BB128_84 Depth=1
	s_or_b32 exec_lo, exec_lo, s10
	v_add_co_u32 v106, vcc_lo, 0xffffff02, v105
	v_mov_b32_e32 v1, 0
	v_add_co_ci_u32_e32 v107, vcc_lo, -1, v108, vcc_lo
	v_mov_b32_e32 v2, 0
	s_mov_b32 s10, exec_lo
	scratch_store_b64 off, v[1:2], off offset:8 ; 8-byte Folded Spill
	v_cmpx_gt_i64_e64 s[4:5], v[106:107]
	s_cbranch_execz .LBB128_93
; %bb.92:                               ;   in Loop: Header=BB128_84 Depth=1
	v_add_co_u32 v6, vcc_lo, v132, v98
	v_add_co_ci_u32_e32 v7, vcc_lo, v100, v99, vcc_lo
	v_add_co_u32 v106, vcc_lo, v101, v98
	v_add_co_ci_u32_e32 v107, vcc_lo, v104, v99, vcc_lo
	global_load_b64 v[6:7], v[6:7], off
	global_load_b64 v[106:107], v[106:107], off
	s_waitcnt vmcnt(0)
	scratch_store_b64 off, v[106:107], off offset:8 ; 8-byte Folded Spill
.LBB128_93:                             ;   in Loop: Header=BB128_84 Depth=1
	s_or_b32 exec_lo, exec_lo, s10
	v_add_co_u32 v106, vcc_lo, 0xffffff03, v105
	v_add_co_ci_u32_e32 v107, vcc_lo, -1, v108, vcc_lo
	s_mov_b32 s10, exec_lo
	s_delay_alu instid0(VALU_DEP_1)
	v_cmpx_gt_i64_e64 s[4:5], v[106:107]
	s_cbranch_execz .LBB128_95
; %bb.94:                               ;   in Loop: Header=BB128_84 Depth=1
	v_add_co_u32 v1, vcc_lo, v190, v98
	v_add_co_ci_u32_e32 v2, vcc_lo, v191, v99, vcc_lo
	v_add_co_u32 v106, vcc_lo, v133, v98
	v_add_co_ci_u32_e32 v107, vcc_lo, v0, v99, vcc_lo
	global_load_b64 v[8:9], v[1:2], off
	global_load_b64 v[1:2], v[106:107], off
.LBB128_95:                             ;   in Loop: Header=BB128_84 Depth=1
	s_or_b32 exec_lo, exec_lo, s10
	v_add_co_u32 v109, vcc_lo, 0xffffff04, v105
	v_mov_b32_e32 v106, 0
	v_add_co_ci_u32_e32 v110, vcc_lo, -1, v108, vcc_lo
	v_mov_b32_e32 v107, 0
	s_mov_b32 s10, exec_lo
	scratch_store_b64 off, v[106:107], off offset:16 ; 8-byte Folded Spill
	v_cmpx_gt_i64_e64 s[4:5], v[109:110]
	s_cbranch_execz .LBB128_97
; %bb.96:                               ;   in Loop: Header=BB128_84 Depth=1
	v_add_co_u32 v10, vcc_lo, v186, v98
	v_add_co_ci_u32_e32 v11, vcc_lo, v187, v99, vcc_lo
	v_add_co_u32 v109, vcc_lo, v188, v98
	v_add_co_ci_u32_e32 v110, vcc_lo, v189, v99, vcc_lo
	global_load_b64 v[10:11], v[10:11], off
	global_load_b64 v[109:110], v[109:110], off
	s_waitcnt vmcnt(0)
	scratch_store_b64 off, v[109:110], off offset:16 ; 8-byte Folded Spill
.LBB128_97:                             ;   in Loop: Header=BB128_84 Depth=1
	s_or_b32 exec_lo, exec_lo, s10
	v_add_co_u32 v109, vcc_lo, 0xffffff05, v105
	v_add_co_ci_u32_e32 v110, vcc_lo, -1, v108, vcc_lo
	s_mov_b32 s10, exec_lo
	s_delay_alu instid0(VALU_DEP_1)
	v_cmpx_gt_i64_e64 s[4:5], v[109:110]
	s_cbranch_execz .LBB128_99
; %bb.98:                               ;   in Loop: Header=BB128_84 Depth=1
	v_add_co_u32 v12, vcc_lo, v182, v98
	v_add_co_ci_u32_e32 v13, vcc_lo, v183, v99, vcc_lo
	v_add_co_u32 v106, vcc_lo, v184, v98
	v_add_co_ci_u32_e32 v107, vcc_lo, v185, v99, vcc_lo
	global_load_b64 v[12:13], v[12:13], off
	global_load_b64 v[106:107], v[106:107], off
.LBB128_99:                             ;   in Loop: Header=BB128_84 Depth=1
	s_or_b32 exec_lo, exec_lo, s10
	v_add_co_u32 v112, vcc_lo, 0xffffff06, v105
	v_add_co_ci_u32_e32 v113, vcc_lo, -1, v108, vcc_lo
	v_mov_b32_e32 v110, 0
	v_mov_b32_e32 v111, 0
	s_delay_alu instid0(VALU_DEP_3) | instskip(NEXT) | instid1(VALU_DEP_2)
	v_cmp_gt_i64_e32 vcc_lo, s[4:5], v[112:113]
	v_dual_mov_b32 v113, v111 :: v_dual_mov_b32 v112, v110
	s_and_saveexec_b32 s10, vcc_lo
	s_cbranch_execz .LBB128_101
; %bb.100:                              ;   in Loop: Header=BB128_84 Depth=1
	v_add_co_u32 v14, vcc_lo, v178, v98
	v_add_co_ci_u32_e32 v15, vcc_lo, v179, v99, vcc_lo
	v_add_co_u32 v112, vcc_lo, v180, v98
	v_add_co_ci_u32_e32 v113, vcc_lo, v181, v99, vcc_lo
	global_load_b64 v[14:15], v[14:15], off
	global_load_b64 v[112:113], v[112:113], off
.LBB128_101:                            ;   in Loop: Header=BB128_84 Depth=1
	s_or_b32 exec_lo, exec_lo, s10
	v_add_co_u32 v114, vcc_lo, 0xffffff07, v105
	v_add_co_ci_u32_e32 v115, vcc_lo, -1, v108, vcc_lo
	s_mov_b32 s10, exec_lo
	s_delay_alu instid0(VALU_DEP_1)
	v_cmpx_gt_i64_e64 s[4:5], v[114:115]
	s_cbranch_execz .LBB128_103
; %bb.102:                              ;   in Loop: Header=BB128_84 Depth=1
	v_add_co_u32 v16, vcc_lo, v174, v98
	v_add_co_ci_u32_e32 v17, vcc_lo, v175, v99, vcc_lo
	v_add_co_u32 v109, vcc_lo, v176, v98
	v_add_co_ci_u32_e32 v110, vcc_lo, v177, v99, vcc_lo
	global_load_b64 v[16:17], v[16:17], off
	global_load_b64 v[110:111], v[109:110], off
.LBB128_103:                            ;   in Loop: Header=BB128_84 Depth=1
	s_or_b32 exec_lo, exec_lo, s10
	v_add_co_u32 v116, vcc_lo, 0xffffff08, v105
	v_add_co_ci_u32_e32 v117, vcc_lo, -1, v108, vcc_lo
	v_mov_b32_e32 v114, 0
	v_mov_b32_e32 v115, 0
	s_delay_alu instid0(VALU_DEP_3) | instskip(NEXT) | instid1(VALU_DEP_2)
	v_cmp_gt_i64_e32 vcc_lo, s[4:5], v[116:117]
	v_dual_mov_b32 v117, v115 :: v_dual_mov_b32 v116, v114
	s_and_saveexec_b32 s10, vcc_lo
	s_cbranch_execz .LBB128_105
; %bb.104:                              ;   in Loop: Header=BB128_84 Depth=1
	v_add_co_u32 v18, vcc_lo, v170, v98
	v_add_co_ci_u32_e32 v19, vcc_lo, v171, v99, vcc_lo
	v_add_co_u32 v116, vcc_lo, v172, v98
	v_add_co_ci_u32_e32 v117, vcc_lo, v173, v99, vcc_lo
	global_load_b64 v[18:19], v[18:19], off
	global_load_b64 v[116:117], v[116:117], off
.LBB128_105:                            ;   in Loop: Header=BB128_84 Depth=1
	s_or_b32 exec_lo, exec_lo, s10
	v_add_co_u32 v118, vcc_lo, 0xffffff09, v105
	v_add_co_ci_u32_e32 v119, vcc_lo, -1, v108, vcc_lo
	s_mov_b32 s10, exec_lo
	s_delay_alu instid0(VALU_DEP_1)
	v_cmpx_gt_i64_e64 s[4:5], v[118:119]
	s_cbranch_execz .LBB128_107
; %bb.106:                              ;   in Loop: Header=BB128_84 Depth=1
	v_add_co_u32 v20, vcc_lo, v166, v98
	v_add_co_ci_u32_e32 v21, vcc_lo, v167, v99, vcc_lo
	v_add_co_u32 v114, vcc_lo, v168, v98
	v_add_co_ci_u32_e32 v115, vcc_lo, v169, v99, vcc_lo
	global_load_b64 v[20:21], v[20:21], off
	global_load_b64 v[114:115], v[114:115], off
.LBB128_107:                            ;   in Loop: Header=BB128_84 Depth=1
	s_or_b32 exec_lo, exec_lo, s10
	v_add_co_u32 v120, vcc_lo, 0xffffff0a, v105
	v_add_co_ci_u32_e32 v121, vcc_lo, -1, v108, vcc_lo
	v_mov_b32_e32 v118, 0
	v_mov_b32_e32 v119, 0
	s_delay_alu instid0(VALU_DEP_3) | instskip(NEXT) | instid1(VALU_DEP_2)
	v_cmp_gt_i64_e32 vcc_lo, s[4:5], v[120:121]
	v_dual_mov_b32 v121, v119 :: v_dual_mov_b32 v120, v118
	s_and_saveexec_b32 s10, vcc_lo
	s_cbranch_execz .LBB128_109
; %bb.108:                              ;   in Loop: Header=BB128_84 Depth=1
	v_add_co_u32 v22, vcc_lo, v162, v98
	v_add_co_ci_u32_e32 v23, vcc_lo, v163, v99, vcc_lo
	v_add_co_u32 v120, vcc_lo, v164, v98
	v_add_co_ci_u32_e32 v121, vcc_lo, v165, v99, vcc_lo
	global_load_b64 v[22:23], v[22:23], off
	global_load_b64 v[120:121], v[120:121], off
.LBB128_109:                            ;   in Loop: Header=BB128_84 Depth=1
	s_or_b32 exec_lo, exec_lo, s10
	v_add_co_u32 v122, vcc_lo, 0xffffff0b, v105
	v_add_co_ci_u32_e32 v123, vcc_lo, -1, v108, vcc_lo
	s_mov_b32 s10, exec_lo
	s_delay_alu instid0(VALU_DEP_1)
	v_cmpx_gt_i64_e64 s[4:5], v[122:123]
	s_cbranch_execz .LBB128_111
; %bb.110:                              ;   in Loop: Header=BB128_84 Depth=1
	v_add_co_u32 v24, vcc_lo, v158, v98
	v_add_co_ci_u32_e32 v25, vcc_lo, v159, v99, vcc_lo
	v_add_co_u32 v118, vcc_lo, v160, v98
	v_add_co_ci_u32_e32 v119, vcc_lo, v161, v99, vcc_lo
	global_load_b64 v[24:25], v[24:25], off
	global_load_b64 v[118:119], v[118:119], off
.LBB128_111:                            ;   in Loop: Header=BB128_84 Depth=1
	s_or_b32 exec_lo, exec_lo, s10
	v_add_co_u32 v124, vcc_lo, 0xffffff0c, v105
	v_add_co_ci_u32_e32 v125, vcc_lo, -1, v108, vcc_lo
	v_mov_b32_e32 v122, 0
	v_mov_b32_e32 v123, 0
	s_delay_alu instid0(VALU_DEP_3) | instskip(NEXT) | instid1(VALU_DEP_2)
	v_cmp_gt_i64_e32 vcc_lo, s[4:5], v[124:125]
	v_dual_mov_b32 v125, v123 :: v_dual_mov_b32 v124, v122
	s_and_saveexec_b32 s10, vcc_lo
	s_cbranch_execz .LBB128_113
; %bb.112:                              ;   in Loop: Header=BB128_84 Depth=1
	v_add_co_u32 v26, vcc_lo, v154, v98
	v_add_co_ci_u32_e32 v27, vcc_lo, v155, v99, vcc_lo
	v_add_co_u32 v124, vcc_lo, v156, v98
	v_add_co_ci_u32_e32 v125, vcc_lo, v157, v99, vcc_lo
	global_load_b64 v[26:27], v[26:27], off
	global_load_b64 v[124:125], v[124:125], off
.LBB128_113:                            ;   in Loop: Header=BB128_84 Depth=1
	s_or_b32 exec_lo, exec_lo, s10
	v_add_co_u32 v126, vcc_lo, 0xffffff0d, v105
	v_add_co_ci_u32_e32 v127, vcc_lo, -1, v108, vcc_lo
	s_mov_b32 s10, exec_lo
	s_delay_alu instid0(VALU_DEP_1)
	v_cmpx_gt_i64_e64 s[4:5], v[126:127]
	s_cbranch_execz .LBB128_115
; %bb.114:                              ;   in Loop: Header=BB128_84 Depth=1
	v_add_co_u32 v28, vcc_lo, v150, v98
	v_add_co_ci_u32_e32 v29, vcc_lo, v151, v99, vcc_lo
	v_add_co_u32 v122, vcc_lo, v152, v98
	v_add_co_ci_u32_e32 v123, vcc_lo, v153, v99, vcc_lo
	global_load_b64 v[28:29], v[28:29], off
	global_load_b64 v[122:123], v[122:123], off
.LBB128_115:                            ;   in Loop: Header=BB128_84 Depth=1
	s_or_b32 exec_lo, exec_lo, s10
	v_add_co_u32 v128, vcc_lo, 0xffffff0e, v105
	v_add_co_ci_u32_e32 v129, vcc_lo, -1, v108, vcc_lo
	v_mov_b32_e32 v126, 0
	v_mov_b32_e32 v127, 0
	s_delay_alu instid0(VALU_DEP_3) | instskip(NEXT) | instid1(VALU_DEP_2)
	v_cmp_gt_i64_e32 vcc_lo, s[4:5], v[128:129]
	v_dual_mov_b32 v129, v127 :: v_dual_mov_b32 v128, v126
	s_and_saveexec_b32 s10, vcc_lo
	s_cbranch_execz .LBB128_117
; %bb.116:                              ;   in Loop: Header=BB128_84 Depth=1
	v_add_co_u32 v30, vcc_lo, v146, v98
	v_add_co_ci_u32_e32 v31, vcc_lo, v147, v99, vcc_lo
	v_add_co_u32 v128, vcc_lo, v148, v98
	v_add_co_ci_u32_e32 v129, vcc_lo, v149, v99, vcc_lo
	global_load_b64 v[30:31], v[30:31], off
	global_load_b64 v[128:129], v[128:129], off
.LBB128_117:                            ;   in Loop: Header=BB128_84 Depth=1
	s_or_b32 exec_lo, exec_lo, s10
	v_add_co_u32 v130, vcc_lo, 0xffffff0f, v105
	v_add_co_ci_u32_e32 v131, vcc_lo, -1, v108, vcc_lo
	s_mov_b32 s10, exec_lo
	s_delay_alu instid0(VALU_DEP_1)
	v_cmpx_gt_i64_e64 s[4:5], v[130:131]
	s_cbranch_execz .LBB128_119
; %bb.118:                              ;   in Loop: Header=BB128_84 Depth=1
	v_add_co_u32 v32, vcc_lo, v142, v98
	v_add_co_ci_u32_e32 v33, vcc_lo, v143, v99, vcc_lo
	v_add_co_u32 v126, vcc_lo, v144, v98
	v_add_co_ci_u32_e32 v127, vcc_lo, v145, v99, vcc_lo
	global_load_b64 v[32:33], v[32:33], off
	global_load_b64 v[126:127], v[126:127], off
.LBB128_119:                            ;   in Loop: Header=BB128_84 Depth=1
	s_or_b32 exec_lo, exec_lo, s10
	v_add_co_u32 v130, vcc_lo, 0xffffff10, v105
	v_add_co_ci_u32_e32 v131, vcc_lo, -1, v108, vcc_lo
	s_delay_alu instid0(VALU_DEP_1)
	v_cmp_gt_i64_e32 vcc_lo, s[4:5], v[130:131]
	v_mov_b32_e32 v130, 0
	v_mov_b32_e32 v131, 0
	s_and_saveexec_b32 s10, vcc_lo
	s_cbranch_execz .LBB128_121
; %bb.120:                              ;   in Loop: Header=BB128_84 Depth=1
	v_add_co_u32 v34, vcc_lo, v138, v98
	v_add_co_ci_u32_e32 v35, vcc_lo, v139, v99, vcc_lo
	v_add_co_u32 v130, vcc_lo, v140, v98
	v_add_co_ci_u32_e32 v131, vcc_lo, v141, v99, vcc_lo
	global_load_b64 v[34:35], v[34:35], off
	global_load_b64 v[130:131], v[130:131], off
.LBB128_121:                            ;   in Loop: Header=BB128_84 Depth=1
	s_or_b32 exec_lo, exec_lo, s10
	s_waitcnt vmcnt(0)
	v_mul_f64 v[4:5], v[102:103], v[4:5]
	scratch_load_b64 v[102:103], off, off offset:8 ; 8-byte Folded Reload
	v_mul_f64 v[1:2], v[1:2], v[8:9]
	scratch_load_b64 v[8:9], off, off offset:16 ; 8-byte Folded Reload
	s_waitcnt vmcnt(1)
	v_mul_f64 v[6:7], v[102:103], v[6:7]
	scratch_load_b64 v[102:103], off, off   ; 8-byte Folded Reload
	s_waitcnt vmcnt(1)
	v_mul_f64 v[8:9], v[8:9], v[10:11]
	v_mul_f64 v[10:11], v[106:107], v[12:13]
	;; [unrolled: 1-line block ×13, first 2 shown]
	ds_bpermute_b32 v34, v3, v96
	ds_bpermute_b32 v35, v3, v97
	s_waitcnt vmcnt(0) lgkmcnt(0)
	v_fma_f64 v[4:5], v[4:5], v[34:35], v[102:103]
	ds_bpermute_b32 v34, v3, v96 offset:4
	ds_bpermute_b32 v35, v3, v97 offset:4
	s_waitcnt lgkmcnt(0)
	v_fma_f64 v[4:5], v[6:7], v[34:35], v[4:5]
	ds_bpermute_b32 v6, v3, v96 offset:8
	ds_bpermute_b32 v7, v3, v97 offset:8
	s_waitcnt lgkmcnt(0)
	;; [unrolled: 4-line block ×15, first 2 shown]
	v_fma_f64 v[96:97], v[32:33], v[4:5], v[1:2]
	s_branch .LBB128_128
.LBB128_122:                            ;   in Loop: Header=BB128_84 Depth=1
                                        ; implicit-def: $vgpr96_vgpr97
	s_cbranch_execz .LBB128_128
; %bb.123:                              ;   in Loop: Header=BB128_84 Depth=1
	s_load_b32 s10, s[2:3], 0x0
	s_waitcnt lgkmcnt(0)
	s_cmp_lt_u32 s14, s10
	s_cselect_b32 s10, 12, 18
	s_delay_alu instid0(SALU_CYCLE_1)
	s_add_u32 s10, s2, s10
	s_addc_u32 s11, s3, 0
	global_load_u16 v1, v3, s[10:11]
	s_clause 0x1
	scratch_load_b32 v2, off, off offset:24
	scratch_load_b32 v4, off, off offset:32
	s_mov_b32 s10, exec_lo
	s_waitcnt vmcnt(0)
	v_mad_u32_u24 v1, v2, v1, v4
	s_delay_alu instid0(VALU_DEP_1) | instskip(SKIP_1) | instid1(VALU_DEP_2)
	v_dual_mov_b32 v1, 0 :: v_dual_and_b32 v4, 31, v1
	v_mov_b32_e32 v2, 0
	v_cmpx_gt_u32_e32 16, v4
	s_cbranch_execz .LBB128_127
; %bb.124:                              ;   in Loop: Header=BB128_84 Depth=1
	v_add_co_u32 v1, vcc_lo, v105, v4
	v_add_co_ci_u32_e32 v2, vcc_lo, 0, v108, vcc_lo
	s_mov_b32 s11, exec_lo
	s_delay_alu instid0(VALU_DEP_2) | instskip(NEXT) | instid1(VALU_DEP_2)
	v_add_co_u32 v4, vcc_lo, 0xffffff01, v1
	v_add_co_ci_u32_e32 v5, vcc_lo, -1, v2, vcc_lo
	v_mov_b32_e32 v1, 0
	v_mov_b32_e32 v2, 0
	s_delay_alu instid0(VALU_DEP_3)
	v_cmpx_gt_i64_e64 s[4:5], v[4:5]
	s_cbranch_execz .LBB128_126
; %bb.125:                              ;   in Loop: Header=BB128_84 Depth=1
	v_lshlrev_b64 v[1:2], 3, v[4:5]
	s_delay_alu instid0(VALU_DEP_1) | instskip(NEXT) | instid1(VALU_DEP_2)
	v_add_co_u32 v1, vcc_lo, s12, v1
	v_add_co_ci_u32_e32 v2, vcc_lo, s13, v2, vcc_lo
	global_load_b64 v[1:2], v[1:2], off
.LBB128_126:                            ;   in Loop: Header=BB128_84 Depth=1
	s_or_b32 exec_lo, exec_lo, s11
.LBB128_127:                            ;   in Loop: Header=BB128_84 Depth=1
	s_delay_alu instid0(SALU_CYCLE_1)
	s_or_b32 exec_lo, exec_lo, s10
	v_add_co_u32 v4, vcc_lo, v134, v98
	v_add_co_ci_u32_e32 v5, vcc_lo, v135, v99, vcc_lo
	v_add_co_u32 v6, vcc_lo, v136, v98
	v_add_co_ci_u32_e32 v7, vcc_lo, v137, v99, vcc_lo
	v_add_co_u32 v8, vcc_lo, v36, v98
	global_load_b64 v[4:5], v[4:5], off
	global_load_b64 v[6:7], v[6:7], off
	v_add_co_ci_u32_e32 v9, vcc_lo, v37, v99, vcc_lo
	v_add_co_u32 v10, vcc_lo, v66, v98
	v_add_co_ci_u32_e32 v11, vcc_lo, v67, v99, vcc_lo
	global_load_b64 v[8:9], v[8:9], off
	global_load_b64 v[10:11], v[10:11], off
	v_add_co_u32 v12, vcc_lo, v38, v98
	v_add_co_ci_u32_e32 v13, vcc_lo, v39, v99, vcc_lo
	v_add_co_u32 v14, vcc_lo, v68, v98
	v_add_co_ci_u32_e32 v15, vcc_lo, v69, v99, vcc_lo
	;; [unrolled: 2-line block ×14, first 2 shown]
	global_load_b64 v[12:13], v[12:13], off
	global_load_b64 v[14:15], v[14:15], off
	;; [unrolled: 1-line block ×14, first 2 shown]
	s_waitcnt vmcnt(18)
	ds_bpermute_b32 v107, v3, v1
	ds_bpermute_b32 v108, v3, v2
	ds_bpermute_b32 v109, v3, v1 offset:4
	ds_bpermute_b32 v110, v3, v2 offset:4
	s_waitcnt vmcnt(16)
	v_mul_f64 v[4:5], v[4:5], v[6:7]
	v_add_co_u32 v6, vcc_lo, v52, v98
	v_add_co_ci_u32_e32 v7, vcc_lo, v53, v99, vcc_lo
	v_add_co_u32 v105, vcc_lo, v82, v98
	v_add_co_ci_u32_e32 v106, vcc_lo, v83, v99, vcc_lo
	global_load_b64 v[6:7], v[6:7], off
	global_load_b64 v[105:106], v[105:106], off
	s_waitcnt vmcnt(16)
	v_mul_f64 v[8:9], v[8:9], v[10:11]
	scratch_load_b64 v[10:11], off, off     ; 8-byte Folded Reload
	s_waitcnt vmcnt(15)
	v_mul_f64 v[12:13], v[12:13], v[14:15]
	s_waitcnt vmcnt(13)
	v_mul_f64 v[16:17], v[16:17], v[18:19]
	;; [unrolled: 2-line block ×8, first 2 shown]
	s_waitcnt vmcnt(0) lgkmcnt(2)
	v_fma_f64 v[4:5], v[4:5], v[107:108], v[10:11]
	v_add_co_u32 v10, vcc_lo, v54, v98
	v_add_co_ci_u32_e32 v11, vcc_lo, v55, v99, vcc_lo
	v_add_co_u32 v107, vcc_lo, v84, v98
	v_add_co_ci_u32_e32 v108, vcc_lo, v85, v99, vcc_lo
	global_load_b64 v[10:11], v[10:11], off
	global_load_b64 v[107:108], v[107:108], off
	s_waitcnt lgkmcnt(0)
	v_fma_f64 v[4:5], v[8:9], v[109:110], v[4:5]
	v_add_co_u32 v8, vcc_lo, v56, v98
	v_add_co_ci_u32_e32 v9, vcc_lo, v57, v99, vcc_lo
	v_add_co_u32 v14, vcc_lo, v86, v98
	v_add_co_ci_u32_e32 v15, vcc_lo, v87, v99, vcc_lo
	ds_bpermute_b32 v109, v3, v1 offset:8
	ds_bpermute_b32 v110, v3, v2 offset:8
	global_load_b64 v[8:9], v[8:9], off
	global_load_b64 v[14:15], v[14:15], off
	s_waitcnt lgkmcnt(0)
	v_fma_f64 v[4:5], v[12:13], v[109:110], v[4:5]
	v_add_co_u32 v12, vcc_lo, v58, v98
	v_add_co_ci_u32_e32 v13, vcc_lo, v59, v99, vcc_lo
	v_add_co_u32 v18, vcc_lo, v88, v98
	v_add_co_ci_u32_e32 v19, vcc_lo, v89, v99, vcc_lo
	ds_bpermute_b32 v109, v3, v1 offset:12
	ds_bpermute_b32 v110, v3, v2 offset:12
	;; [unrolled: 10-line block ×5, first 2 shown]
	global_load_b64 v[24:25], v[24:25], off
	global_load_b64 v[30:31], v[30:31], off
	s_waitcnt lgkmcnt(0)
	v_fma_f64 v[4:5], v[28:29], v[109:110], v[4:5]
	ds_bpermute_b32 v28, v3, v1 offset:28
	ds_bpermute_b32 v29, v3, v2 offset:28
	s_waitcnt lgkmcnt(0)
	v_fma_f64 v[4:5], v[32:33], v[28:29], v[4:5]
	ds_bpermute_b32 v28, v3, v1 offset:32
	ds_bpermute_b32 v29, v3, v2 offset:32
	;; [unrolled: 4-line block ×3, first 2 shown]
	s_waitcnt vmcnt(10)
	v_mul_f64 v[10:11], v[10:11], v[107:108]
	s_waitcnt lgkmcnt(0)
	v_fma_f64 v[4:5], v[6:7], v[28:29], v[4:5]
	ds_bpermute_b32 v6, v3, v1 offset:40
	ds_bpermute_b32 v7, v3, v2 offset:40
	s_waitcnt vmcnt(8)
	v_mul_f64 v[8:9], v[8:9], v[14:15]
	s_waitcnt lgkmcnt(0)
	v_fma_f64 v[4:5], v[10:11], v[6:7], v[4:5]
	ds_bpermute_b32 v6, v3, v1 offset:44
	ds_bpermute_b32 v7, v3, v2 offset:44
	;; [unrolled: 6-line block ×5, first 2 shown]
	ds_bpermute_b32 v1, v3, v1 offset:60
	ds_bpermute_b32 v2, v3, v2 offset:60
	s_waitcnt lgkmcnt(2)
	v_fma_f64 v[4:5], v[10:11], v[6:7], v[4:5]
	s_waitcnt vmcnt(0)
	v_mul_f64 v[6:7], v[24:25], v[30:31]
	s_waitcnt lgkmcnt(0)
	s_delay_alu instid0(VALU_DEP_1)
	v_fma_f64 v[96:97], v[6:7], v[1:2], v[4:5]
.LBB128_128:                            ;   in Loop: Header=BB128_84 Depth=1
	v_add_co_u32 v36, vcc_lo, v36, s8
	v_add_co_ci_u32_e32 v37, vcc_lo, s9, v37, vcc_lo
	v_add_co_u32 v38, vcc_lo, v38, s8
	v_add_co_ci_u32_e32 v39, vcc_lo, s9, v39, vcc_lo
	;; [unrolled: 2-line block ×59, first 2 shown]
	v_add_co_u32 v133, vcc_lo, v133, s8
	s_add_u32 s16, s16, s15
	v_add_co_ci_u32_e32 v0, vcc_lo, s9, v0, vcc_lo
	s_addc_u32 s17, s17, 0
	v_add_co_u32 v132, vcc_lo, v132, s8
	v_cmp_ge_i64_e64 s10, s[16:17], s[4:5]
	v_add_co_ci_u32_e32 v100, vcc_lo, s9, v100, vcc_lo
	v_add_co_u32 v101, vcc_lo, v101, s8
	v_add_co_ci_u32_e32 v104, vcc_lo, s9, v104, vcc_lo
	s_add_u32 s18, s18, s15
	s_addc_u32 s19, s19, 0
	s_and_b32 vcc_lo, exec_lo, s10
	s_cbranch_vccnz .LBB128_130
; %bb.129:                              ;   in Loop: Header=BB128_84 Depth=1
	scratch_store_b64 off, v[96:97], off    ; 8-byte Folded Spill
	s_branch .LBB128_84
.LBB128_130:
	scratch_load_b32 v140, off, off offset:36 ; 4-byte Folded Reload
.LBB128_131:
	s_waitcnt vmcnt(0)
	v_bfe_u32 v1, v140, 10, 10
	v_mov_b32_e32 v0, 0
	v_and_b32_e32 v2, 0x3ff, v140
	s_mov_b32 s15, 0
	s_mov_b32 s2, exec_lo
	s_delay_alu instid0(VALU_DEP_1) | instskip(NEXT) | instid1(VALU_DEP_1)
	v_mad_u32_u24 v4, 0x41, v1, v2
	v_sub_nc_u32_e32 v3, v4, v1
	v_mov_b32_e32 v1, v0
	v_lshl_add_u32 v4, v4, 3, 0
	ds_store_b64 v4, v[96:97]
	ds_store_b64 v4, v[0:1] offset:8320
	s_waitcnt lgkmcnt(0)
	s_waitcnt_vscnt null, 0x0
	s_barrier
	buffer_gl0_inv
	v_cmpx_gt_u32_e32 0x800, v3
	s_cbranch_execz .LBB128_138
; %bb.132:
	v_lshrrev_b32_e32 v4, 5, v3
	v_mbcnt_lo_u32_b32 v3, -1, 0
	v_dual_mov_b32 v10, v0 :: v_dual_and_b32 v1, 31, v2
	v_cmp_ne_u32_e32 vcc_lo, 0, v2
	s_load_b64 s[8:9], s[0:1], 0x30
	s_delay_alu instid0(VALU_DEP_3)
	v_xor_b32_e32 v2, 8, v3
	v_xor_b32_e32 v5, 4, v3
	;; [unrolled: 1-line block ×4, first 2 shown]
	s_lshl_b64 s[4:5], s[14:15], 6
	v_cmp_gt_i32_e64 s1, 32, v2
	v_lshlrev_b32_e32 v11, 3, v4
	v_cmp_gt_u32_e64 s0, 16, v1
	v_mul_u32_u24_e32 v1, 0x208, v1
	s_delay_alu instid0(VALU_DEP_4) | instskip(SKIP_1) | instid1(VALU_DEP_1)
	v_cndmask_b32_e64 v2, v3, v2, s1
	v_cmp_gt_i32_e64 s1, 32, v5
	v_cndmask_b32_e64 v8, v3, v5, s1
	v_cmp_gt_i32_e64 s1, 32, v6
	s_delay_alu instid0(VALU_DEP_4)
	v_lshlrev_b32_e32 v5, 2, v2
	s_waitcnt lgkmcnt(0)
	s_cmp_eq_u64 s[8:9], 0
	s_cselect_b32 s3, -1, 0
	v_cndmask_b32_e64 v9, v3, v6, s1
	v_cmp_gt_i32_e64 s1, 32, v7
	s_lshl_b64 s[10:11], s[14:15], 9
	v_lshlrev_b32_e32 v6, 2, v8
	s_delay_alu instid0(VALU_DEP_2)
	v_cndmask_b32_e64 v3, v3, v7, s1
	s_add_u32 s1, s8, s10
	s_addc_u32 s2, s9, s11
	v_add_co_u32 v0, s1, s1, v11
	v_lshlrev_b32_e32 v7, 2, v9
	v_lshlrev_b32_e32 v8, 2, v3
	v_add3_u32 v9, v1, v11, 0
	v_add_co_ci_u32_e64 v1, null, s2, 0, s1
                                        ; implicit-def: $vgpr2_vgpr3
	s_branch .LBB128_134
.LBB128_133:                            ;   in Loop: Header=BB128_134 Depth=1
	s_or_b32 exec_lo, exec_lo, s1
	v_add_co_u32 v4, s1, v4, 32
	s_delay_alu instid0(VALU_DEP_1) | instskip(SKIP_1) | instid1(VALU_DEP_3)
	v_add_co_ci_u32_e64 v10, s1, 0, v10, s1
	v_add_co_u32 v0, s2, 0x100, v0
	v_subrev_nc_u32_e32 v11, 32, v4
	v_add_nc_u32_e32 v9, 0x100, v9
	v_add_co_ci_u32_e64 v1, s2, 0, v1, s2
	s_delay_alu instid0(VALU_DEP_3) | instskip(NEXT) | instid1(VALU_DEP_1)
	v_cmp_lt_u32_e64 s1, 31, v11
	s_or_b32 s15, s1, s15
	s_delay_alu instid0(SALU_CYCLE_1)
	s_and_not1_b32 exec_lo, exec_lo, s15
	s_cbranch_execz .LBB128_138
.LBB128_134:                            ; =>This Inner Loop Header: Depth=1
	s_and_saveexec_b32 s1, s0
	s_cbranch_execz .LBB128_136
; %bb.135:                              ;   in Loop: Header=BB128_134 Depth=1
	ds_load_b64 v[2:3], v9
.LBB128_136:                            ;   in Loop: Header=BB128_134 Depth=1
	s_or_b32 exec_lo, exec_lo, s1
	s_waitcnt lgkmcnt(0)
	ds_bpermute_b32 v11, v5, v2
	ds_bpermute_b32 v12, v5, v3
	s_waitcnt lgkmcnt(0)
	v_add_f64 v[2:3], v[2:3], v[11:12]
	ds_bpermute_b32 v11, v6, v2
	ds_bpermute_b32 v12, v6, v3
	s_waitcnt lgkmcnt(0)
	v_add_f64 v[2:3], v[2:3], v[11:12]
	;; [unrolled: 4-line block ×4, first 2 shown]
	v_add_co_u32 v11, s1, s4, v4
	s_delay_alu instid0(VALU_DEP_1) | instskip(NEXT) | instid1(VALU_DEP_1)
	v_add_co_ci_u32_e64 v12, s1, s5, v10, s1
	v_cmp_le_i64_e64 s1, s[6:7], v[11:12]
	s_delay_alu instid0(VALU_DEP_1) | instskip(NEXT) | instid1(SALU_CYCLE_1)
	s_or_b32 s1, vcc_lo, s1
	s_or_b32 s1, s3, s1
	s_delay_alu instid0(SALU_CYCLE_1) | instskip(NEXT) | instid1(SALU_CYCLE_1)
	s_xor_b32 s2, s1, -1
	s_and_saveexec_b32 s1, s2
	s_cbranch_execz .LBB128_133
; %bb.137:                              ;   in Loop: Header=BB128_134 Depth=1
	global_store_b64 v[0:1], v[2:3], off
	s_branch .LBB128_133
.LBB128_138:
	s_nop 0
	s_sendmsg sendmsg(MSG_DEALLOC_VGPRS)
	s_endpgm
	.section	.rodata,"a",@progbits
	.p2align	6, 0x0
	.amdhsa_kernel _ZN2at6native12_GLOBAL__N_135GammaBetaBackwardCUDAKernelTemplateIddLj64ELj16ELj256ELb0ELb0ELb1EEEvllPKT_S5_PKT0_S8_PS3_S9_
		.amdhsa_group_segment_fixed_size 0
		.amdhsa_private_segment_fixed_size 44
		.amdhsa_kernarg_size 320
		.amdhsa_user_sgpr_count 14
		.amdhsa_user_sgpr_dispatch_ptr 0
		.amdhsa_user_sgpr_queue_ptr 0
		.amdhsa_user_sgpr_kernarg_segment_ptr 1
		.amdhsa_user_sgpr_dispatch_id 0
		.amdhsa_user_sgpr_private_segment_size 0
		.amdhsa_wavefront_size32 1
		.amdhsa_uses_dynamic_stack 0
		.amdhsa_enable_private_segment 1
		.amdhsa_system_sgpr_workgroup_id_x 1
		.amdhsa_system_sgpr_workgroup_id_y 1
		.amdhsa_system_sgpr_workgroup_id_z 0
		.amdhsa_system_sgpr_workgroup_info 0
		.amdhsa_system_vgpr_workitem_id 1
		.amdhsa_next_free_vgpr 192
		.amdhsa_next_free_sgpr 68
		.amdhsa_reserve_vcc 1
		.amdhsa_float_round_mode_32 0
		.amdhsa_float_round_mode_16_64 0
		.amdhsa_float_denorm_mode_32 3
		.amdhsa_float_denorm_mode_16_64 3
		.amdhsa_dx10_clamp 1
		.amdhsa_ieee_mode 1
		.amdhsa_fp16_overflow 0
		.amdhsa_workgroup_processor_mode 1
		.amdhsa_memory_ordered 1
		.amdhsa_forward_progress 0
		.amdhsa_shared_vgpr_count 0
		.amdhsa_exception_fp_ieee_invalid_op 0
		.amdhsa_exception_fp_denorm_src 0
		.amdhsa_exception_fp_ieee_div_zero 0
		.amdhsa_exception_fp_ieee_overflow 0
		.amdhsa_exception_fp_ieee_underflow 0
		.amdhsa_exception_fp_ieee_inexact 0
		.amdhsa_exception_int_div_zero 0
	.end_amdhsa_kernel
	.section	.text._ZN2at6native12_GLOBAL__N_135GammaBetaBackwardCUDAKernelTemplateIddLj64ELj16ELj256ELb0ELb0ELb1EEEvllPKT_S5_PKT0_S8_PS3_S9_,"axG",@progbits,_ZN2at6native12_GLOBAL__N_135GammaBetaBackwardCUDAKernelTemplateIddLj64ELj16ELj256ELb0ELb0ELb1EEEvllPKT_S5_PKT0_S8_PS3_S9_,comdat
.Lfunc_end128:
	.size	_ZN2at6native12_GLOBAL__N_135GammaBetaBackwardCUDAKernelTemplateIddLj64ELj16ELj256ELb0ELb0ELb1EEEvllPKT_S5_PKT0_S8_PS3_S9_, .Lfunc_end128-_ZN2at6native12_GLOBAL__N_135GammaBetaBackwardCUDAKernelTemplateIddLj64ELj16ELj256ELb0ELb0ELb1EEEvllPKT_S5_PKT0_S8_PS3_S9_
                                        ; -- End function
	.section	.AMDGPU.csdata,"",@progbits
; Kernel info:
; codeLenInByte = 14964
; NumSgprs: 70
; NumVgprs: 192
; ScratchSize: 44
; MemoryBound: 0
; FloatMode: 240
; IeeeMode: 1
; LDSByteSize: 0 bytes/workgroup (compile time only)
; SGPRBlocks: 8
; VGPRBlocks: 23
; NumSGPRsForWavesPerEU: 70
; NumVGPRsForWavesPerEU: 192
; Occupancy: 8
; WaveLimiterHint : 0
; COMPUTE_PGM_RSRC2:SCRATCH_EN: 1
; COMPUTE_PGM_RSRC2:USER_SGPR: 14
; COMPUTE_PGM_RSRC2:TRAP_HANDLER: 0
; COMPUTE_PGM_RSRC2:TGID_X_EN: 1
; COMPUTE_PGM_RSRC2:TGID_Y_EN: 1
; COMPUTE_PGM_RSRC2:TGID_Z_EN: 0
; COMPUTE_PGM_RSRC2:TIDIG_COMP_CNT: 1
	.section	.text._ZN2at6native12_GLOBAL__N_135GammaBetaBackwardCUDAKernelTemplateIddLj32ELj1ELj32ELb1ELb1ELb1EEEvllPKT_S5_PKT0_S8_PS3_S9_,"axG",@progbits,_ZN2at6native12_GLOBAL__N_135GammaBetaBackwardCUDAKernelTemplateIddLj32ELj1ELj32ELb1ELb1ELb1EEEvllPKT_S5_PKT0_S8_PS3_S9_,comdat
	.globl	_ZN2at6native12_GLOBAL__N_135GammaBetaBackwardCUDAKernelTemplateIddLj32ELj1ELj32ELb1ELb1ELb1EEEvllPKT_S5_PKT0_S8_PS3_S9_ ; -- Begin function _ZN2at6native12_GLOBAL__N_135GammaBetaBackwardCUDAKernelTemplateIddLj32ELj1ELj32ELb1ELb1ELb1EEEvllPKT_S5_PKT0_S8_PS3_S9_
	.p2align	8
	.type	_ZN2at6native12_GLOBAL__N_135GammaBetaBackwardCUDAKernelTemplateIddLj32ELj1ELj32ELb1ELb1ELb1EEEvllPKT_S5_PKT0_S8_PS3_S9_,@function
_ZN2at6native12_GLOBAL__N_135GammaBetaBackwardCUDAKernelTemplateIddLj32ELj1ELj32ELb1ELb1ELb1EEEvllPKT_S5_PKT0_S8_PS3_S9_: ; @_ZN2at6native12_GLOBAL__N_135GammaBetaBackwardCUDAKernelTemplateIddLj32ELj1ELj32ELb1ELb1ELb1EEEvllPKT_S5_PKT0_S8_PS3_S9_
; %bb.0:
	s_clause 0x1
	s_load_b128 s[4:7], s[0:1], 0x0
	s_load_b64 s[2:3], s[0:1], 0x30
	s_mov_b32 s13, 0
	s_lshl_b32 s12, s15, 5
	v_mov_b32_e32 v12, 0
	v_mov_b32_e32 v13, 0
	v_bfe_u32 v1, v0, 10, 10
	v_and_b32_e32 v0, 0x3ff, v0
	s_waitcnt lgkmcnt(0)
	v_cmp_ge_i64_e64 s8, s[12:13], s[4:5]
	s_delay_alu instid0(VALU_DEP_1)
	s_and_b32 vcc_lo, exec_lo, s8
	s_cbranch_vccnz .LBB129_5
; %bb.1:
	s_clause 0x3
	s_load_b32 s16, s[0:1], 0x4c
	s_load_b32 s17, s[0:1], 0x44
	s_load_b128 s[8:11], s[0:1], 0x10
	s_load_b64 s[18:19], s[0:1], 0x28
	v_dual_mov_b32 v3, 0 :: v_dual_lshlrev_b32 v4, 5, v1
	v_lshl_or_b32 v2, s14, 5, v0
	v_mov_b32_e32 v33, 0x50
	v_mov_b32_e32 v30, 0x44
	v_dual_mov_b32 v14, 4 :: v_dual_mov_b32 v15, 8
	v_dual_mov_b32 v16, 12 :: v_dual_mov_b32 v17, 16
	;; [unrolled: 1-line block ×6, first 2 shown]
	s_waitcnt lgkmcnt(0)
	s_and_b32 s16, s16, 0xffff
	v_dual_mov_b32 v26, 52 :: v_dual_mov_b32 v27, 56
	v_mad_u32_u24 v5, v1, s16, v0
	v_add_co_u32 v9, s16, v4, s12
	s_delay_alu instid0(VALU_DEP_1) | instskip(NEXT) | instid1(VALU_DEP_3)
	v_add_co_ci_u32_e64 v10, null, 0, 0, s16
	v_dual_mov_b32 v31, 0x48 :: v_dual_and_b32 v8, 31, v5
	s_delay_alu instid0(VALU_DEP_3) | instskip(NEXT) | instid1(VALU_DEP_3)
	v_mul_lo_u32 v6, s7, v9
	v_mul_lo_u32 v7, s6, v10
	v_mad_u64_u32 v[4:5], null, s6, v9, 0
	s_lshl_b32 s16, s17, 5
	v_dual_mov_b32 v28, 60 :: v_dual_mov_b32 v29, 64
	s_mul_i32 s20, s7, s16
	s_mul_hi_u32 s21, s6, s16
	v_mov_b32_e32 v34, 0x54
	s_delay_alu instid0(VALU_DEP_3)
	v_add3_u32 v5, v5, v7, v6
	v_mov_b32_e32 v36, 0x5c
	v_mov_b32_e32 v37, 0x60
	;; [unrolled: 1-line block ×4, first 2 shown]
	v_lshlrev_b64 v[6:7], 3, v[4:5]
	v_add_co_u32 v4, vcc_lo, v9, v8
	v_lshlrev_b64 v[8:9], 3, v[2:3]
	v_add_co_ci_u32_e32 v5, vcc_lo, 0, v10, vcc_lo
	v_mov_b32_e32 v40, 0x6c
	v_mov_b32_e32 v41, 0x70
	;; [unrolled: 1-line block ×3, first 2 shown]
	v_add_co_u32 v2, vcc_lo, v6, v8
	v_lshlrev_b64 v[10:11], 3, v[4:5]
	v_add_co_ci_u32_e32 v45, vcc_lo, v7, v9, vcc_lo
	v_mov_b32_e32 v6, 0
	v_dual_mov_b32 v7, 0 :: v_dual_mov_b32 v32, 0x4c
	s_delay_alu instid0(VALU_DEP_4) | instskip(SKIP_1) | instid1(VALU_DEP_3)
	v_add_co_u32 v8, vcc_lo, s18, v10
	v_mov_b32_e32 v35, 0x58
	v_dual_mov_b32 v13, v7 :: v_dual_mov_b32 v12, v6
	v_mov_b32_e32 v43, 0x78
	v_mov_b32_e32 v44, 0x7c
	v_add_co_ci_u32_e32 v9, vcc_lo, s19, v11, vcc_lo
	s_mov_b32 s17, s13
	s_add_i32 s21, s21, s20
	s_mul_i32 s20, s6, s16
	s_lshl_b64 s[22:23], s[6:7], 3
	s_lshl_b64 s[18:19], s[20:21], 3
	;; [unrolled: 1-line block ×3, first 2 shown]
	s_branch .LBB129_3
.LBB129_2:                              ;   in Loop: Header=BB129_3 Depth=1
	s_or_b32 exec_lo, exec_lo, s17
	v_add_co_u32 v46, vcc_lo, s8, v2
	v_add_co_ci_u32_e32 v47, vcc_lo, s9, v45, vcc_lo
	v_add_co_u32 v48, vcc_lo, s10, v2
	v_add_co_ci_u32_e32 v49, vcc_lo, s11, v45, vcc_lo
	s_add_u32 s12, s12, s16
	global_load_b64 v[50:51], v[46:47], off
	global_load_b64 v[52:53], v[48:49], off
	v_add_co_u32 v46, vcc_lo, v46, s22
	v_add_co_ci_u32_e32 v47, vcc_lo, s23, v47, vcc_lo
	v_add_co_u32 v48, vcc_lo, v48, s22
	v_add_co_ci_u32_e32 v49, vcc_lo, s23, v49, vcc_lo
	global_load_b64 v[54:55], v[46:47], off
	global_load_b64 v[56:57], v[48:49], off
	v_add_co_u32 v46, vcc_lo, v46, s22
	v_add_co_ci_u32_e32 v47, vcc_lo, s23, v47, vcc_lo
	v_add_co_u32 v48, vcc_lo, v48, s22
	v_add_co_ci_u32_e32 v49, vcc_lo, s23, v49, vcc_lo
	;; [unrolled: 6-line block ×10, first 2 shown]
	s_addc_u32 s13, s13, 0
	s_delay_alu instid0(SALU_CYCLE_1)
	v_cmp_lt_i64_e64 s17, s[12:13], s[4:5]
	s_waitcnt vmcnt(18)
	v_mul_f64 v[50:51], v[50:51], v[52:53]
	ds_bpermute_b32 v52, v3, v10
	ds_bpermute_b32 v53, v3, v11
	s_waitcnt vmcnt(16)
	v_mul_f64 v[54:55], v[54:55], v[56:57]
	s_waitcnt vmcnt(14)
	v_mul_f64 v[58:59], v[58:59], v[60:61]
	s_waitcnt vmcnt(12)
	v_mul_f64 v[62:63], v[62:63], v[64:65]
	s_waitcnt lgkmcnt(0)
	v_fma_f64 v[12:13], v[50:51], v[52:53], v[12:13]
	ds_bpermute_b32 v50, v14, v10
	ds_bpermute_b32 v51, v14, v11
	global_load_b64 v[52:53], v[46:47], off
	global_load_b64 v[56:57], v[48:49], off
	v_add_co_u32 v46, vcc_lo, v46, s22
	v_add_co_ci_u32_e32 v47, vcc_lo, s23, v47, vcc_lo
	v_add_co_u32 v48, vcc_lo, v48, s22
	v_add_co_ci_u32_e32 v49, vcc_lo, s23, v49, vcc_lo
	s_waitcnt vmcnt(12)
	v_mul_f64 v[66:67], v[66:67], v[68:69]
	s_waitcnt vmcnt(10)
	v_mul_f64 v[70:71], v[70:71], v[72:73]
	s_waitcnt vmcnt(8)
	v_mul_f64 v[74:75], v[74:75], v[76:77]
	s_waitcnt lgkmcnt(0)
	v_fma_f64 v[12:13], v[54:55], v[50:51], v[12:13]
	ds_bpermute_b32 v50, v15, v10
	ds_bpermute_b32 v51, v15, v11
	global_load_b64 v[54:55], v[46:47], off
	global_load_b64 v[60:61], v[48:49], off
	v_add_co_u32 v46, vcc_lo, v46, s22
	v_add_co_ci_u32_e32 v47, vcc_lo, s23, v47, vcc_lo
	v_add_co_u32 v48, vcc_lo, v48, s22
	v_add_co_ci_u32_e32 v49, vcc_lo, s23, v49, vcc_lo
	s_waitcnt vmcnt(8)
	v_mul_f64 v[78:79], v[78:79], v[80:81]
	s_waitcnt vmcnt(6)
	v_mul_f64 v[82:83], v[82:83], v[84:85]
	s_waitcnt vmcnt(4)
	v_mul_f64 v[86:87], v[86:87], v[88:89]
	s_waitcnt lgkmcnt(0)
	v_fma_f64 v[12:13], v[58:59], v[50:51], v[12:13]
	ds_bpermute_b32 v50, v16, v10
	ds_bpermute_b32 v51, v16, v11
	global_load_b64 v[58:59], v[46:47], off
	global_load_b64 v[64:65], v[48:49], off
	v_add_co_u32 v46, vcc_lo, v46, s22
	v_add_co_ci_u32_e32 v47, vcc_lo, s23, v47, vcc_lo
	v_add_co_u32 v48, vcc_lo, v48, s22
	v_add_co_ci_u32_e32 v49, vcc_lo, s23, v49, vcc_lo
	s_waitcnt lgkmcnt(0)
	v_fma_f64 v[12:13], v[62:63], v[50:51], v[12:13]
	ds_bpermute_b32 v50, v17, v10
	ds_bpermute_b32 v51, v17, v11
	global_load_b64 v[62:63], v[46:47], off
	global_load_b64 v[68:69], v[48:49], off
	v_add_co_u32 v46, vcc_lo, v46, s22
	v_add_co_ci_u32_e32 v47, vcc_lo, s23, v47, vcc_lo
	v_add_co_u32 v48, vcc_lo, v48, s22
	v_add_co_ci_u32_e32 v49, vcc_lo, s23, v49, vcc_lo
	s_waitcnt lgkmcnt(0)
	v_fma_f64 v[12:13], v[66:67], v[50:51], v[12:13]
	ds_bpermute_b32 v50, v18, v10
	ds_bpermute_b32 v51, v18, v11
	global_load_b64 v[66:67], v[46:47], off
	global_load_b64 v[72:73], v[48:49], off
	v_add_co_u32 v46, vcc_lo, v46, s22
	v_add_co_ci_u32_e32 v47, vcc_lo, s23, v47, vcc_lo
	v_add_co_u32 v48, vcc_lo, v48, s22
	v_add_co_ci_u32_e32 v49, vcc_lo, s23, v49, vcc_lo
	;; [unrolled: 10-line block ×6, first 2 shown]
	s_waitcnt vmcnt(16)
	v_mul_f64 v[52:53], v[52:53], v[56:57]
	s_waitcnt lgkmcnt(0)
	v_fma_f64 v[12:13], v[86:87], v[50:51], v[12:13]
	ds_bpermute_b32 v50, v23, v10
	ds_bpermute_b32 v51, v23, v11
	global_load_b64 v[56:57], v[46:47], off
	global_load_b64 v[86:87], v[48:49], off
	v_add_co_u32 v46, vcc_lo, v46, s22
	v_add_co_ci_u32_e32 v47, vcc_lo, s23, v47, vcc_lo
	v_add_co_u32 v48, vcc_lo, v48, s22
	v_add_co_ci_u32_e32 v49, vcc_lo, s23, v49, vcc_lo
	s_waitcnt vmcnt(16)
	v_mul_f64 v[54:55], v[54:55], v[60:61]
	s_waitcnt lgkmcnt(0)
	v_fma_f64 v[12:13], v[52:53], v[50:51], v[12:13]
	ds_bpermute_b32 v50, v24, v10
	ds_bpermute_b32 v51, v24, v11
	global_load_b64 v[52:53], v[46:47], off
	global_load_b64 v[60:61], v[48:49], off
	v_add_co_u32 v46, vcc_lo, v46, s22
	v_add_co_ci_u32_e32 v47, vcc_lo, s23, v47, vcc_lo
	v_add_co_u32 v48, vcc_lo, v48, s22
	v_add_co_ci_u32_e32 v49, vcc_lo, s23, v49, vcc_lo
	s_waitcnt vmcnt(16)
	v_mul_f64 v[58:59], v[58:59], v[64:65]
	s_waitcnt lgkmcnt(0)
	v_fma_f64 v[12:13], v[54:55], v[50:51], v[12:13]
	ds_bpermute_b32 v50, v25, v10
	ds_bpermute_b32 v51, v25, v11
	global_load_b64 v[54:55], v[46:47], off
	global_load_b64 v[64:65], v[48:49], off
	v_add_co_u32 v46, vcc_lo, v46, s22
	v_add_co_ci_u32_e32 v47, vcc_lo, s23, v47, vcc_lo
	v_add_co_u32 v48, vcc_lo, v48, s22
	v_add_co_ci_u32_e32 v49, vcc_lo, s23, v49, vcc_lo
	s_waitcnt vmcnt(16)
	v_mul_f64 v[62:63], v[62:63], v[68:69]
	s_waitcnt lgkmcnt(0)
	v_fma_f64 v[12:13], v[58:59], v[50:51], v[12:13]
	ds_bpermute_b32 v50, v26, v10
	ds_bpermute_b32 v51, v26, v11
	global_load_b64 v[58:59], v[46:47], off
	global_load_b64 v[68:69], v[48:49], off
	v_add_co_u32 v46, vcc_lo, v46, s22
	v_add_co_ci_u32_e32 v47, vcc_lo, s23, v47, vcc_lo
	v_add_co_u32 v48, vcc_lo, v48, s22
	v_add_co_ci_u32_e32 v49, vcc_lo, s23, v49, vcc_lo
	s_waitcnt vmcnt(16)
	v_mul_f64 v[66:67], v[66:67], v[72:73]
	s_waitcnt lgkmcnt(0)
	v_fma_f64 v[12:13], v[62:63], v[50:51], v[12:13]
	ds_bpermute_b32 v50, v27, v10
	ds_bpermute_b32 v51, v27, v11
	global_load_b64 v[62:63], v[46:47], off
	global_load_b64 v[72:73], v[48:49], off
	v_add_co_u32 v46, vcc_lo, v46, s22
	v_add_co_ci_u32_e32 v47, vcc_lo, s23, v47, vcc_lo
	v_add_co_u32 v48, vcc_lo, v48, s22
	v_add_co_ci_u32_e32 v49, vcc_lo, s23, v49, vcc_lo
	s_waitcnt vmcnt(16)
	v_mul_f64 v[70:71], v[70:71], v[76:77]
	s_waitcnt lgkmcnt(0)
	v_fma_f64 v[12:13], v[66:67], v[50:51], v[12:13]
	ds_bpermute_b32 v50, v28, v10
	ds_bpermute_b32 v51, v28, v11
	global_load_b64 v[66:67], v[46:47], off
	global_load_b64 v[76:77], v[48:49], off
	v_add_co_u32 v46, vcc_lo, v46, s22
	v_add_co_ci_u32_e32 v47, vcc_lo, s23, v47, vcc_lo
	v_add_co_u32 v48, vcc_lo, v48, s22
	v_add_co_ci_u32_e32 v49, vcc_lo, s23, v49, vcc_lo
	s_waitcnt vmcnt(16)
	v_mul_f64 v[74:75], v[74:75], v[80:81]
	s_waitcnt lgkmcnt(0)
	v_fma_f64 v[12:13], v[70:71], v[50:51], v[12:13]
	ds_bpermute_b32 v50, v29, v10
	ds_bpermute_b32 v51, v29, v11
	global_load_b64 v[70:71], v[46:47], off
	global_load_b64 v[80:81], v[48:49], off
	v_add_co_u32 v46, vcc_lo, v46, s22
	v_add_co_ci_u32_e32 v47, vcc_lo, s23, v47, vcc_lo
	v_add_co_u32 v48, vcc_lo, v48, s22
	v_add_co_ci_u32_e32 v49, vcc_lo, s23, v49, vcc_lo
	s_waitcnt vmcnt(16)
	v_mul_f64 v[78:79], v[78:79], v[84:85]
	s_waitcnt lgkmcnt(0)
	v_fma_f64 v[12:13], v[74:75], v[50:51], v[12:13]
	ds_bpermute_b32 v50, v30, v10
	ds_bpermute_b32 v51, v30, v11
	global_load_b64 v[74:75], v[46:47], off
	global_load_b64 v[84:85], v[48:49], off
	v_add_co_u32 v46, vcc_lo, v46, s22
	v_add_co_ci_u32_e32 v47, vcc_lo, s23, v47, vcc_lo
	v_add_co_u32 v48, vcc_lo, v48, s22
	v_add_co_ci_u32_e32 v49, vcc_lo, s23, v49, vcc_lo
	s_waitcnt vmcnt(16)
	v_mul_f64 v[82:83], v[82:83], v[88:89]
	s_waitcnt lgkmcnt(0)
	v_fma_f64 v[12:13], v[78:79], v[50:51], v[12:13]
	ds_bpermute_b32 v50, v31, v10
	ds_bpermute_b32 v51, v31, v11
	global_load_b64 v[78:79], v[46:47], off
	global_load_b64 v[88:89], v[48:49], off
	v_add_co_u32 v46, vcc_lo, v46, s22
	v_add_co_ci_u32_e32 v47, vcc_lo, s23, v47, vcc_lo
	v_add_co_u32 v48, vcc_lo, v48, s22
	v_add_co_ci_u32_e32 v49, vcc_lo, s23, v49, vcc_lo
	s_waitcnt vmcnt(16)
	v_mul_f64 v[56:57], v[56:57], v[86:87]
	s_waitcnt lgkmcnt(0)
	v_fma_f64 v[12:13], v[82:83], v[50:51], v[12:13]
	ds_bpermute_b32 v50, v32, v10
	ds_bpermute_b32 v51, v32, v11
	global_load_b64 v[82:83], v[46:47], off
	global_load_b64 v[86:87], v[48:49], off
	v_add_co_u32 v46, vcc_lo, v46, s22
	v_add_co_ci_u32_e32 v47, vcc_lo, s23, v47, vcc_lo
	v_add_co_u32 v48, vcc_lo, v48, s22
	v_add_co_ci_u32_e32 v49, vcc_lo, s23, v49, vcc_lo
	s_waitcnt vmcnt(16)
	v_mul_f64 v[52:53], v[52:53], v[60:61]
	s_waitcnt lgkmcnt(0)
	v_fma_f64 v[12:13], v[56:57], v[50:51], v[12:13]
	ds_bpermute_b32 v50, v33, v10
	ds_bpermute_b32 v51, v33, v11
	global_load_b64 v[56:57], v[46:47], off
	global_load_b64 v[60:61], v[48:49], off
	v_add_co_u32 v46, vcc_lo, v46, s22
	v_add_co_ci_u32_e32 v47, vcc_lo, s23, v47, vcc_lo
	v_add_co_u32 v48, vcc_lo, v48, s22
	v_add_co_ci_u32_e32 v49, vcc_lo, s23, v49, vcc_lo
	s_waitcnt vmcnt(16)
	v_mul_f64 v[54:55], v[54:55], v[64:65]
	s_waitcnt lgkmcnt(0)
	v_fma_f64 v[12:13], v[52:53], v[50:51], v[12:13]
	ds_bpermute_b32 v50, v34, v10
	ds_bpermute_b32 v51, v34, v11
	global_load_b64 v[52:53], v[46:47], off
	global_load_b64 v[64:65], v[48:49], off
	v_add_co_u32 v46, vcc_lo, v46, s22
	v_add_co_ci_u32_e32 v47, vcc_lo, s23, v47, vcc_lo
	v_add_co_u32 v48, vcc_lo, v48, s22
	v_add_co_ci_u32_e32 v49, vcc_lo, s23, v49, vcc_lo
	global_load_b64 v[46:47], v[46:47], off
	global_load_b64 v[48:49], v[48:49], off
	v_add_co_u32 v2, vcc_lo, v2, s18
	v_add_co_ci_u32_e32 v45, vcc_lo, s19, v45, vcc_lo
	s_waitcnt vmcnt(18)
	v_mul_f64 v[58:59], v[58:59], v[68:69]
	v_add_co_u32 v8, vcc_lo, v8, s20
	v_add_co_ci_u32_e32 v9, vcc_lo, s21, v9, vcc_lo
	v_add_co_u32 v4, vcc_lo, v4, s16
	v_add_co_ci_u32_e32 v5, vcc_lo, 0, v5, vcc_lo
	s_and_b32 vcc_lo, exec_lo, s17
	s_waitcnt lgkmcnt(0)
	v_fma_f64 v[12:13], v[54:55], v[50:51], v[12:13]
	ds_bpermute_b32 v50, v35, v10
	ds_bpermute_b32 v51, v35, v11
	s_waitcnt vmcnt(16)
	v_mul_f64 v[54:55], v[62:63], v[72:73]
	s_waitcnt lgkmcnt(0)
	v_fma_f64 v[12:13], v[58:59], v[50:51], v[12:13]
	ds_bpermute_b32 v50, v36, v10
	ds_bpermute_b32 v51, v36, v11
	s_waitcnt vmcnt(14)
	v_mul_f64 v[58:59], v[66:67], v[76:77]
	;; [unrolled: 6-line block ×8, first 2 shown]
	s_waitcnt vmcnt(0)
	v_mul_f64 v[46:47], v[46:47], v[48:49]
	s_waitcnt lgkmcnt(0)
	v_fma_f64 v[12:13], v[54:55], v[50:51], v[12:13]
	ds_bpermute_b32 v50, v43, v10
	ds_bpermute_b32 v51, v43, v11
	;; [unrolled: 1-line block ×4, first 2 shown]
	s_waitcnt lgkmcnt(2)
	v_fma_f64 v[12:13], v[52:53], v[50:51], v[12:13]
	s_waitcnt lgkmcnt(0)
	s_delay_alu instid0(VALU_DEP_1)
	v_fma_f64 v[12:13], v[46:47], v[10:11], v[12:13]
	s_cbranch_vccz .LBB129_5
.LBB129_3:                              ; =>This Inner Loop Header: Depth=1
	v_dual_mov_b32 v11, v7 :: v_dual_mov_b32 v10, v6
	s_mov_b32 s17, exec_lo
	v_cmpx_gt_i64_e64 s[4:5], v[4:5]
	s_cbranch_execz .LBB129_2
; %bb.4:                                ;   in Loop: Header=BB129_3 Depth=1
	global_load_b64 v[10:11], v[8:9], off
	s_branch .LBB129_2
.LBB129_5:
	s_cmp_eq_u64 s[2:3], 0
	s_cbranch_scc1 .LBB129_7
; %bb.6:
	s_load_b32 s0, s[0:1], 0x4c
	v_mov_b32_e32 v2, 0
	v_lshlrev_b32_e32 v0, 3, v0
	s_waitcnt lgkmcnt(0)
	s_lshr_b32 s0, s0, 16
	s_delay_alu instid0(VALU_DEP_2) | instid1(SALU_CYCLE_1)
	v_mad_u64_u32 v[3:4], null, s0, s15, v[1:2]
	s_mov_b32 s15, 0
	s_delay_alu instid0(SALU_CYCLE_1) | instskip(NEXT) | instid1(SALU_CYCLE_1)
	s_lshl_b64 s[0:1], s[14:15], 8
	s_add_u32 s0, s0, s2
	s_addc_u32 s1, s1, s3
	s_delay_alu instid0(VALU_DEP_1) | instskip(NEXT) | instid1(VALU_DEP_2)
	v_mul_lo_u32 v4, v4, s6
	v_mul_lo_u32 v5, v3, s7
	v_mad_u64_u32 v[1:2], null, v3, s6, 0
	s_delay_alu instid0(VALU_DEP_1) | instskip(NEXT) | instid1(VALU_DEP_1)
	v_add3_u32 v2, v2, v5, v4
	v_lshlrev_b64 v[1:2], 3, v[1:2]
	s_delay_alu instid0(VALU_DEP_1) | instskip(NEXT) | instid1(VALU_DEP_2)
	v_add_co_u32 v1, vcc_lo, s0, v1
	v_add_co_ci_u32_e32 v2, vcc_lo, s1, v2, vcc_lo
	s_delay_alu instid0(VALU_DEP_2) | instskip(NEXT) | instid1(VALU_DEP_2)
	v_add_co_u32 v0, vcc_lo, v1, v0
	v_add_co_ci_u32_e32 v1, vcc_lo, 0, v2, vcc_lo
	global_store_b64 v[0:1], v[12:13], off
.LBB129_7:
	s_nop 0
	s_sendmsg sendmsg(MSG_DEALLOC_VGPRS)
	s_endpgm
	.section	.rodata,"a",@progbits
	.p2align	6, 0x0
	.amdhsa_kernel _ZN2at6native12_GLOBAL__N_135GammaBetaBackwardCUDAKernelTemplateIddLj32ELj1ELj32ELb1ELb1ELb1EEEvllPKT_S5_PKT0_S8_PS3_S9_
		.amdhsa_group_segment_fixed_size 0
		.amdhsa_private_segment_fixed_size 0
		.amdhsa_kernarg_size 320
		.amdhsa_user_sgpr_count 14
		.amdhsa_user_sgpr_dispatch_ptr 0
		.amdhsa_user_sgpr_queue_ptr 0
		.amdhsa_user_sgpr_kernarg_segment_ptr 1
		.amdhsa_user_sgpr_dispatch_id 0
		.amdhsa_user_sgpr_private_segment_size 0
		.amdhsa_wavefront_size32 1
		.amdhsa_uses_dynamic_stack 0
		.amdhsa_enable_private_segment 0
		.amdhsa_system_sgpr_workgroup_id_x 1
		.amdhsa_system_sgpr_workgroup_id_y 1
		.amdhsa_system_sgpr_workgroup_id_z 0
		.amdhsa_system_sgpr_workgroup_info 0
		.amdhsa_system_vgpr_workitem_id 1
		.amdhsa_next_free_vgpr 90
		.amdhsa_next_free_sgpr 24
		.amdhsa_reserve_vcc 1
		.amdhsa_float_round_mode_32 0
		.amdhsa_float_round_mode_16_64 0
		.amdhsa_float_denorm_mode_32 3
		.amdhsa_float_denorm_mode_16_64 3
		.amdhsa_dx10_clamp 1
		.amdhsa_ieee_mode 1
		.amdhsa_fp16_overflow 0
		.amdhsa_workgroup_processor_mode 1
		.amdhsa_memory_ordered 1
		.amdhsa_forward_progress 0
		.amdhsa_shared_vgpr_count 0
		.amdhsa_exception_fp_ieee_invalid_op 0
		.amdhsa_exception_fp_denorm_src 0
		.amdhsa_exception_fp_ieee_div_zero 0
		.amdhsa_exception_fp_ieee_overflow 0
		.amdhsa_exception_fp_ieee_underflow 0
		.amdhsa_exception_fp_ieee_inexact 0
		.amdhsa_exception_int_div_zero 0
	.end_amdhsa_kernel
	.section	.text._ZN2at6native12_GLOBAL__N_135GammaBetaBackwardCUDAKernelTemplateIddLj32ELj1ELj32ELb1ELb1ELb1EEEvllPKT_S5_PKT0_S8_PS3_S9_,"axG",@progbits,_ZN2at6native12_GLOBAL__N_135GammaBetaBackwardCUDAKernelTemplateIddLj32ELj1ELj32ELb1ELb1ELb1EEEvllPKT_S5_PKT0_S8_PS3_S9_,comdat
.Lfunc_end129:
	.size	_ZN2at6native12_GLOBAL__N_135GammaBetaBackwardCUDAKernelTemplateIddLj32ELj1ELj32ELb1ELb1ELb1EEEvllPKT_S5_PKT0_S8_PS3_S9_, .Lfunc_end129-_ZN2at6native12_GLOBAL__N_135GammaBetaBackwardCUDAKernelTemplateIddLj32ELj1ELj32ELb1ELb1ELb1EEEvllPKT_S5_PKT0_S8_PS3_S9_
                                        ; -- End function
	.section	.AMDGPU.csdata,"",@progbits
; Kernel info:
; codeLenInByte = 3348
; NumSgprs: 26
; NumVgprs: 90
; ScratchSize: 0
; MemoryBound: 0
; FloatMode: 240
; IeeeMode: 1
; LDSByteSize: 0 bytes/workgroup (compile time only)
; SGPRBlocks: 3
; VGPRBlocks: 11
; NumSGPRsForWavesPerEU: 26
; NumVGPRsForWavesPerEU: 90
; Occupancy: 16
; WaveLimiterHint : 0
; COMPUTE_PGM_RSRC2:SCRATCH_EN: 0
; COMPUTE_PGM_RSRC2:USER_SGPR: 14
; COMPUTE_PGM_RSRC2:TRAP_HANDLER: 0
; COMPUTE_PGM_RSRC2:TGID_X_EN: 1
; COMPUTE_PGM_RSRC2:TGID_Y_EN: 1
; COMPUTE_PGM_RSRC2:TGID_Z_EN: 0
; COMPUTE_PGM_RSRC2:TIDIG_COMP_CNT: 1
	.section	.text._ZN2at6native12_GLOBAL__N_135GammaBetaBackwardCUDAKernelTemplateIddLj32ELj1ELj32ELb1ELb0ELb1EEEvllPKT_S5_PKT0_S8_PS3_S9_,"axG",@progbits,_ZN2at6native12_GLOBAL__N_135GammaBetaBackwardCUDAKernelTemplateIddLj32ELj1ELj32ELb1ELb0ELb1EEEvllPKT_S5_PKT0_S8_PS3_S9_,comdat
	.globl	_ZN2at6native12_GLOBAL__N_135GammaBetaBackwardCUDAKernelTemplateIddLj32ELj1ELj32ELb1ELb0ELb1EEEvllPKT_S5_PKT0_S8_PS3_S9_ ; -- Begin function _ZN2at6native12_GLOBAL__N_135GammaBetaBackwardCUDAKernelTemplateIddLj32ELj1ELj32ELb1ELb0ELb1EEEvllPKT_S5_PKT0_S8_PS3_S9_
	.p2align	8
	.type	_ZN2at6native12_GLOBAL__N_135GammaBetaBackwardCUDAKernelTemplateIddLj32ELj1ELj32ELb1ELb0ELb1EEEvllPKT_S5_PKT0_S8_PS3_S9_,@function
_ZN2at6native12_GLOBAL__N_135GammaBetaBackwardCUDAKernelTemplateIddLj32ELj1ELj32ELb1ELb0ELb1EEEvllPKT_S5_PKT0_S8_PS3_S9_: ; @_ZN2at6native12_GLOBAL__N_135GammaBetaBackwardCUDAKernelTemplateIddLj32ELj1ELj32ELb1ELb0ELb1EEEvllPKT_S5_PKT0_S8_PS3_S9_
; %bb.0:
	s_clause 0x1
	s_load_b256 s[16:23], s[0:1], 0x0
	s_load_b64 s[6:7], s[0:1], 0x28
	s_mov_b32 s2, s15
	s_lshl_b32 s15, s14, 5
	s_mov_b32 s9, 0
	s_or_b32 s8, s15, 31
	s_waitcnt lgkmcnt(0)
	v_cmp_ge_i64_e64 s3, s[8:9], s[18:19]
	s_lshl_b32 s8, s2, 5
	s_delay_alu instid0(SALU_CYCLE_1) | instskip(NEXT) | instid1(VALU_DEP_2)
	v_cmp_lt_i64_e64 s26, s[8:9], s[16:17]
	s_and_b32 vcc_lo, exec_lo, s3
	s_delay_alu instid0(VALU_DEP_1) | instskip(NEXT) | instid1(VALU_DEP_1)
	v_cndmask_b32_e64 v1, 0, 1, s26
	v_cmp_ne_u32_e64 s3, 1, v1
	s_cbranch_vccz .LBB130_140
; %bb.1:
	v_mov_b32_e32 v125, 0
	v_mov_b32_e32 v126, 0
	s_delay_alu instid0(VALU_DEP_3)
	s_and_b32 vcc_lo, exec_lo, s3
	s_cbranch_vccnz .LBB130_142
; %bb.2:
	v_bfe_u32 v1, v0, 10, 10
	s_load_b32 s4, s[0:1], 0x44
	v_mov_b32_e32 v125, 0
	s_add_u32 s10, s0, 64
	s_addc_u32 s11, s1, 0
	v_dual_mov_b32 v2, 0 :: v_dual_lshlrev_b32 v137, 5, v1
	s_clause 0x1
	scratch_store_b32 off, v1, off offset:48
	scratch_store_b32 off, v0, off offset:572
	v_dual_mov_b32 v126, 0 :: v_dual_and_b32 v1, 0x3ff, v0
	v_add_co_u32 v0, s3, v137, s8
	s_delay_alu instid0(VALU_DEP_1) | instskip(SKIP_4) | instid1(VALU_DEP_3)
	v_add_co_ci_u32_e64 v5, null, 0, 0, s3
	scratch_store_b32 off, v1, off offset:52 ; 4-byte Folded Spill
	v_add_co_u32 v3, vcc_lo, v0, 31
	v_add_co_ci_u32_e32 v4, vcc_lo, 0, v5, vcc_lo
	v_add_co_u32 v10, vcc_lo, v0, 30
	v_mul_lo_u32 v8, s19, v3
	s_delay_alu instid0(VALU_DEP_3)
	v_mul_lo_u32 v4, s18, v4
	v_mad_u64_u32 v[6:7], null, s18, v3, 0
	v_add_co_ci_u32_e32 v9, vcc_lo, 0, v5, vcc_lo
	v_mul_lo_u32 v11, s19, v10
	v_add_nc_u32_e32 v1, s15, v1
	s_waitcnt lgkmcnt(0)
	s_lshl_b32 s27, s4, 5
	v_mul_lo_u32 v12, s18, v9
	v_add3_u32 v7, v7, v4, v8
	v_mad_u64_u32 v[8:9], null, s18, v10, 0
	v_cmp_gt_i64_e64 s3, s[18:19], v[1:2]
	v_lshlrev_b64 v[3:4], 3, v[1:2]
	s_delay_alu instid0(VALU_DEP_4)
	v_lshlrev_b64 v[6:7], 3, v[6:7]
	s_mul_i32 s4, s19, s27
	s_mul_hi_u32 s5, s18, s27
	v_mov_b32_e32 v139, v2
	v_add3_u32 v9, v9, v12, v11
	s_add_i32 s13, s5, s4
	v_add_co_u32 v1, vcc_lo, s20, v6
	v_add_co_ci_u32_e32 v140, vcc_lo, s21, v7, vcc_lo
	v_add_co_u32 v10, vcc_lo, v0, 29
	v_add_co_u32 v141, s4, s22, v6
	s_delay_alu instid0(VALU_DEP_1) | instskip(SKIP_4) | instid1(VALU_DEP_3)
	v_add_co_ci_u32_e64 v142, s4, s23, v7, s4
	v_lshlrev_b64 v[6:7], 3, v[8:9]
	v_add_co_ci_u32_e32 v8, vcc_lo, 0, v5, vcc_lo
	v_add_co_u32 v13, vcc_lo, v0, 28
	v_mul_lo_u32 v12, s19, v10
	v_mul_lo_u32 v14, s18, v8
	v_mad_u64_u32 v[8:9], null, s18, v10, 0
	v_add_co_ci_u32_e32 v11, vcc_lo, 0, v5, vcc_lo
	v_mul_lo_u32 v15, s19, v13
	v_add_co_u32 v143, vcc_lo, s20, v6
	s_delay_alu instid0(VALU_DEP_3)
	v_mul_lo_u32 v16, s18, v11
	v_mad_u64_u32 v[10:11], null, s18, v13, 0
	v_add3_u32 v9, v9, v14, v12
	v_add_co_ci_u32_e32 v144, vcc_lo, s21, v7, vcc_lo
	v_add_co_u32 v145, vcc_lo, s22, v6
	v_add_co_ci_u32_e32 v146, vcc_lo, s23, v7, vcc_lo
	s_delay_alu instid0(VALU_DEP_4) | instskip(SKIP_3) | instid1(VALU_DEP_4)
	v_lshlrev_b64 v[6:7], 3, v[8:9]
	v_add3_u32 v11, v11, v16, v15
	v_add_co_u32 v12, vcc_lo, v0, 27
	v_add_co_ci_u32_e32 v13, vcc_lo, 0, v5, vcc_lo
	v_add_co_u32 v147, vcc_lo, s20, v6
	s_delay_alu instid0(VALU_DEP_4)
	v_lshlrev_b64 v[8:9], 3, v[10:11]
	v_add_co_ci_u32_e32 v148, vcc_lo, s21, v7, vcc_lo
	v_add_co_u32 v149, vcc_lo, s22, v6
	v_mul_lo_u32 v14, s19, v12
	v_mul_lo_u32 v13, s18, v13
	v_mad_u64_u32 v[10:11], null, s18, v12, 0
	v_add_co_ci_u32_e32 v150, vcc_lo, s23, v7, vcc_lo
	v_add_co_u32 v151, vcc_lo, s20, v8
	v_add_co_ci_u32_e32 v152, vcc_lo, s21, v9, vcc_lo
	v_add_co_u32 v12, vcc_lo, v0, 26
	v_add_co_u32 v153, s4, s22, v8
	v_add_co_ci_u32_e32 v8, vcc_lo, 0, v5, vcc_lo
	v_add3_u32 v11, v11, v13, v14
	v_add_co_u32 v14, vcc_lo, v0, 25
	v_add_co_ci_u32_e64 v154, s4, s23, v9, s4
	v_mul_lo_u32 v13, s19, v12
	v_mul_lo_u32 v15, s18, v8
	v_mad_u64_u32 v[8:9], null, s18, v12, 0
	v_lshlrev_b64 v[6:7], 3, v[10:11]
	v_add_co_ci_u32_e32 v10, vcc_lo, 0, v5, vcc_lo
	v_mul_lo_u32 v12, s19, v14
	s_mul_i32 s12, s18, s27
	s_mov_b64 s[24:25], s[8:9]
	s_delay_alu instid0(VALU_DEP_2)
	v_mul_lo_u32 v16, s18, v10
	v_mad_u64_u32 v[10:11], null, s18, v14, 0
	v_add_co_u32 v155, vcc_lo, s20, v6
	v_add3_u32 v9, v9, v15, v13
	v_add_co_ci_u32_e32 v156, vcc_lo, s21, v7, vcc_lo
	v_add_co_u32 v157, vcc_lo, s22, v6
	v_add_co_ci_u32_e32 v158, vcc_lo, s23, v7, vcc_lo
	s_delay_alu instid0(VALU_DEP_4) | instskip(SKIP_3) | instid1(VALU_DEP_4)
	v_lshlrev_b64 v[6:7], 3, v[8:9]
	v_add3_u32 v11, v11, v16, v12
	v_add_co_u32 v12, vcc_lo, v0, 24
	v_add_co_ci_u32_e32 v13, vcc_lo, 0, v5, vcc_lo
	v_add_co_u32 v159, vcc_lo, s20, v6
	s_delay_alu instid0(VALU_DEP_4)
	v_lshlrev_b64 v[8:9], 3, v[10:11]
	v_add_co_ci_u32_e32 v160, vcc_lo, s21, v7, vcc_lo
	v_add_co_u32 v161, vcc_lo, s22, v6
	v_mul_lo_u32 v14, s19, v12
	v_mul_lo_u32 v13, s18, v13
	v_mad_u64_u32 v[10:11], null, s18, v12, 0
	v_add_co_ci_u32_e32 v162, vcc_lo, s23, v7, vcc_lo
	v_add_co_u32 v163, vcc_lo, s20, v8
	v_add_co_ci_u32_e32 v164, vcc_lo, s21, v9, vcc_lo
	v_add_co_u32 v12, vcc_lo, v0, 23
	v_add_co_u32 v165, s4, s22, v8
	v_add_co_ci_u32_e32 v8, vcc_lo, 0, v5, vcc_lo
	v_add3_u32 v11, v11, v13, v14
	v_add_co_u32 v14, vcc_lo, v0, 22
	v_add_co_ci_u32_e64 v166, s4, s23, v9, s4
	v_mul_lo_u32 v13, s19, v12
	v_mul_lo_u32 v15, s18, v8
	v_mad_u64_u32 v[8:9], null, s18, v12, 0
	v_lshlrev_b64 v[6:7], 3, v[10:11]
	v_add_co_ci_u32_e32 v10, vcc_lo, 0, v5, vcc_lo
	v_mul_lo_u32 v12, s19, v14
	s_lshl_b64 s[12:13], s[12:13], 3
	s_delay_alu instid0(VALU_DEP_2)
	v_mul_lo_u32 v16, s18, v10
	v_mad_u64_u32 v[10:11], null, s18, v14, 0
	v_add_co_u32 v167, vcc_lo, s20, v6
	v_add3_u32 v9, v9, v15, v13
	v_add_co_ci_u32_e32 v168, vcc_lo, s21, v7, vcc_lo
	v_add_co_u32 v169, vcc_lo, s22, v6
	v_add_co_ci_u32_e32 v170, vcc_lo, s23, v7, vcc_lo
	s_delay_alu instid0(VALU_DEP_4) | instskip(SKIP_3) | instid1(VALU_DEP_4)
	v_lshlrev_b64 v[6:7], 3, v[8:9]
	v_add3_u32 v11, v11, v16, v12
	v_add_co_u32 v12, vcc_lo, v0, 21
	v_add_co_ci_u32_e32 v13, vcc_lo, 0, v5, vcc_lo
	v_add_co_u32 v171, vcc_lo, s20, v6
	s_delay_alu instid0(VALU_DEP_4)
	v_lshlrev_b64 v[8:9], 3, v[10:11]
	v_add_co_ci_u32_e32 v172, vcc_lo, s21, v7, vcc_lo
	v_add_co_u32 v173, vcc_lo, s22, v6
	v_mul_lo_u32 v14, s19, v12
	v_mul_lo_u32 v13, s18, v13
	v_mad_u64_u32 v[10:11], null, s18, v12, 0
	v_add_co_ci_u32_e32 v174, vcc_lo, s23, v7, vcc_lo
	v_add_co_u32 v175, vcc_lo, s20, v8
	v_add_co_ci_u32_e32 v176, vcc_lo, s21, v9, vcc_lo
	v_add_co_u32 v12, vcc_lo, v0, 20
	v_add_co_u32 v177, s4, s22, v8
	v_add_co_ci_u32_e32 v8, vcc_lo, 0, v5, vcc_lo
	v_add3_u32 v11, v11, v13, v14
	v_add_co_u32 v14, vcc_lo, v0, 19
	v_add_co_ci_u32_e64 v178, s4, s23, v9, s4
	v_mul_lo_u32 v13, s19, v12
	v_mul_lo_u32 v15, s18, v8
	v_mad_u64_u32 v[8:9], null, s18, v12, 0
	v_lshlrev_b64 v[6:7], 3, v[10:11]
	v_add_co_ci_u32_e32 v10, vcc_lo, 0, v5, vcc_lo
	v_mul_lo_u32 v12, s19, v14
	s_delay_alu instid0(VALU_DEP_2)
	v_mul_lo_u32 v16, s18, v10
	v_mad_u64_u32 v[10:11], null, s18, v14, 0
	v_add_co_u32 v179, vcc_lo, s20, v6
	v_add3_u32 v9, v9, v15, v13
	v_add_co_ci_u32_e32 v180, vcc_lo, s21, v7, vcc_lo
	v_add_co_u32 v181, vcc_lo, s22, v6
	v_add_co_ci_u32_e32 v182, vcc_lo, s23, v7, vcc_lo
	s_delay_alu instid0(VALU_DEP_4) | instskip(SKIP_3) | instid1(VALU_DEP_4)
	v_lshlrev_b64 v[6:7], 3, v[8:9]
	v_add3_u32 v11, v11, v16, v12
	v_add_co_u32 v12, vcc_lo, v0, 18
	v_add_co_ci_u32_e32 v13, vcc_lo, 0, v5, vcc_lo
	v_add_co_u32 v183, vcc_lo, s20, v6
	s_delay_alu instid0(VALU_DEP_4)
	v_lshlrev_b64 v[8:9], 3, v[10:11]
	v_add_co_ci_u32_e32 v184, vcc_lo, s21, v7, vcc_lo
	v_add_co_u32 v185, vcc_lo, s22, v6
	v_mul_lo_u32 v14, s19, v12
	v_mul_lo_u32 v13, s18, v13
	v_mad_u64_u32 v[10:11], null, s18, v12, 0
	v_add_co_ci_u32_e32 v186, vcc_lo, s23, v7, vcc_lo
	v_add_co_u32 v187, vcc_lo, s20, v8
	v_add_co_ci_u32_e32 v188, vcc_lo, s21, v9, vcc_lo
	v_add_co_u32 v12, vcc_lo, v0, 17
	v_add_co_u32 v189, s4, s22, v8
	v_add_co_ci_u32_e32 v8, vcc_lo, 0, v5, vcc_lo
	v_add3_u32 v11, v11, v13, v14
	v_add_co_u32 v14, vcc_lo, v0, 16
	v_add_co_ci_u32_e64 v190, s4, s23, v9, s4
	v_mul_lo_u32 v13, s19, v12
	v_mul_lo_u32 v15, s18, v8
	v_mad_u64_u32 v[8:9], null, s18, v12, 0
	v_lshlrev_b64 v[6:7], 3, v[10:11]
	v_add_co_ci_u32_e32 v10, vcc_lo, 0, v5, vcc_lo
	v_mul_lo_u32 v12, s19, v14
	;; [unrolled: 36-line block ×6, first 2 shown]
	s_mov_b64 s[4:5], 31
	s_delay_alu instid0(VALU_DEP_2)
	v_mul_lo_u32 v16, s18, v10
	v_mad_u64_u32 v[10:11], null, s18, v14, 0
	v_add_co_u32 v239, vcc_lo, s20, v6
	v_add3_u32 v9, v9, v15, v13
	v_add_co_ci_u32_e32 v240, vcc_lo, s21, v7, vcc_lo
	v_add_co_u32 v241, vcc_lo, s22, v6
	v_add_co_ci_u32_e32 v242, vcc_lo, s23, v7, vcc_lo
	s_delay_alu instid0(VALU_DEP_4) | instskip(SKIP_3) | instid1(VALU_DEP_4)
	v_lshlrev_b64 v[6:7], 3, v[8:9]
	v_add3_u32 v11, v11, v16, v12
	v_add_co_u32 v12, vcc_lo, v0, 3
	v_add_co_ci_u32_e32 v13, vcc_lo, 0, v5, vcc_lo
	v_add_co_u32 v243, vcc_lo, s20, v6
	s_delay_alu instid0(VALU_DEP_4)
	v_lshlrev_b64 v[8:9], 3, v[10:11]
	v_add_co_ci_u32_e32 v244, vcc_lo, s21, v7, vcc_lo
	v_mul_lo_u32 v14, s19, v12
	v_mul_lo_u32 v13, s18, v13
	v_mad_u64_u32 v[10:11], null, s18, v12, 0
	v_add_co_u32 v245, vcc_lo, s22, v6
	v_add_co_ci_u32_e32 v246, vcc_lo, s23, v7, vcc_lo
	v_add_co_u32 v247, vcc_lo, s20, v8
	v_add_co_ci_u32_e32 v248, vcc_lo, s21, v9, vcc_lo
	v_add_co_u32 v12, vcc_lo, v0, 2
	v_add3_u32 v11, v11, v13, v14
	v_add_co_ci_u32_e32 v13, vcc_lo, 0, v5, vcc_lo
	v_add_co_u32 v249, vcc_lo, s22, v8
	v_add_co_ci_u32_e32 v250, vcc_lo, s23, v9, vcc_lo
	s_delay_alu instid0(VALU_DEP_4)
	v_lshlrev_b64 v[6:7], 3, v[10:11]
	v_mul_lo_u32 v14, s19, v12
	v_mul_lo_u32 v13, s18, v13
	v_mad_u64_u32 v[8:9], null, s18, v12, 0
	v_mul_lo_u32 v12, s19, v0
	v_mul_lo_u32 v5, s18, v5
	v_mad_u64_u32 v[10:11], null, s18, v0, 0
	v_add_co_u32 v251, vcc_lo, s20, v6
	v_add_co_ci_u32_e32 v252, vcc_lo, s21, v7, vcc_lo
	v_add3_u32 v9, v9, v13, v14
	v_add_co_u32 v253, vcc_lo, s22, v6
	v_add3_u32 v11, v11, v5, v12
	v_add_co_ci_u32_e32 v254, vcc_lo, s23, v7, vcc_lo
	v_add_co_u32 v7, vcc_lo, v10, s18
	v_lshlrev_b64 v[5:6], 3, v[8:9]
	s_delay_alu instid0(VALU_DEP_4) | instskip(NEXT) | instid1(VALU_DEP_2)
	v_add_co_ci_u32_e32 v8, vcc_lo, s19, v11, vcc_lo
	v_add_co_u32 v255, vcc_lo, s20, v5
	s_delay_alu instid0(VALU_DEP_2) | instskip(NEXT) | instid1(VALU_DEP_4)
	v_lshlrev_b64 v[7:8], 3, v[7:8]
	v_add_co_ci_u32_e32 v0, vcc_lo, s21, v6, vcc_lo
	v_add_co_u32 v138, vcc_lo, s22, v5
	v_add_co_ci_u32_e32 v15, vcc_lo, s23, v6, vcc_lo
	s_delay_alu instid0(VALU_DEP_4) | instskip(SKIP_4) | instid1(VALU_DEP_4)
	v_add_co_u32 v16, vcc_lo, s20, v7
	v_lshlrev_b64 v[5:6], 3, v[10:11]
	v_add_co_ci_u32_e32 v17, vcc_lo, s21, v8, vcc_lo
	v_add_co_u32 v18, vcc_lo, s22, v7
	v_add_co_ci_u32_e32 v23, vcc_lo, s23, v8, vcc_lo
	v_add_co_u32 v24, vcc_lo, s20, v5
	;; [unrolled: 2-line block ×3, first 2 shown]
	v_add_co_ci_u32_e32 v31, vcc_lo, s23, v6, vcc_lo
	s_branch .LBB130_5
.LBB130_3:                              ;   in Loop: Header=BB130_5 Depth=1
	s_or_b32 exec_lo, exec_lo, s28
	s_waitcnt vmcnt(0)
	s_delay_alu instid0(VALU_DEP_1)
	v_mul_f64 v[7:8], v[7:8], v[21:22]
	ds_bpermute_b32 v21, v2, v5
	ds_bpermute_b32 v22, v2, v6
	v_mul_f64 v[9:10], v[29:30], v[9:10]
	s_waitcnt lgkmcnt(0)
	v_fma_f64 v[7:8], v[7:8], v[21:22], v[125:126]
	s_clause 0x1
	scratch_load_b64 v[13:14], off, off
	scratch_load_b64 v[21:22], off, off offset:8
	ds_bpermute_b32 v125, v2, v5 offset:4
	ds_bpermute_b32 v126, v2, v6 offset:4
	s_waitcnt vmcnt(0)
	v_mul_f64 v[21:22], v[13:14], v[21:22]
	scratch_load_b64 v[13:14], off, off offset:16 ; 8-byte Folded Reload
	s_waitcnt lgkmcnt(0)
	v_fma_f64 v[7:8], v[21:22], v[125:126], v[7:8]
	ds_bpermute_b32 v21, v2, v5 offset:8
	ds_bpermute_b32 v22, v2, v6 offset:8
	s_waitcnt vmcnt(0)
	v_mul_f64 v[11:12], v[11:12], v[13:14]
	ds_bpermute_b32 v13, v2, v5 offset:12
	ds_bpermute_b32 v14, v2, v6 offset:12
	s_waitcnt lgkmcnt(2)
	v_fma_f64 v[7:8], v[11:12], v[21:22], v[7:8]
	scratch_load_b64 v[11:12], off, off offset:24 ; 8-byte Folded Reload
	s_waitcnt vmcnt(0)
	v_mul_f64 v[11:12], v[11:12], v[135:136]
	s_waitcnt lgkmcnt(0)
	s_delay_alu instid0(VALU_DEP_1)
	v_fma_f64 v[7:8], v[11:12], v[13:14], v[7:8]
	scratch_load_b64 v[11:12], off, off offset:32 ; 8-byte Folded Reload
	ds_bpermute_b32 v13, v2, v5 offset:16
	ds_bpermute_b32 v14, v2, v6 offset:16
	s_waitcnt vmcnt(0)
	v_mul_f64 v[11:12], v[19:20], v[11:12]
	s_waitcnt lgkmcnt(0)
	s_delay_alu instid0(VALU_DEP_1)
	v_fma_f64 v[7:8], v[11:12], v[13:14], v[7:8]
	ds_bpermute_b32 v11, v2, v5 offset:20
	ds_bpermute_b32 v12, v2, v6 offset:20
	;; [unrolled: 1-line block ×4, first 2 shown]
	s_waitcnt lgkmcnt(2)
	v_fma_f64 v[7:8], v[9:10], v[11:12], v[7:8]
	v_mul_f64 v[9:10], v[27:28], v[33:34]
	ds_bpermute_b32 v11, v2, v5 offset:24
	ds_bpermute_b32 v12, v2, v6 offset:24
	s_waitcnt lgkmcnt(0)
	v_fma_f64 v[7:8], v[9:10], v[11:12], v[7:8]
	v_mul_f64 v[9:10], v[37:38], v[39:40]
	ds_bpermute_b32 v11, v2, v5 offset:28
	ds_bpermute_b32 v12, v2, v6 offset:28
	;; [unrolled: 5-line block ×9, first 2 shown]
	s_waitcnt lgkmcnt(0)
	v_fma_f64 v[7:8], v[9:10], v[11:12], v[7:8]
	v_mul_f64 v[9:10], v[69:70], v[71:72]
	v_mul_f64 v[11:12], v[67:68], v[75:76]
	s_delay_alu instid0(VALU_DEP_2)
	v_fma_f64 v[7:8], v[9:10], v[13:14], v[7:8]
	ds_bpermute_b32 v9, v2, v5 offset:64
	ds_bpermute_b32 v10, v2, v6 offset:64
	v_mul_f64 v[13:14], v[79:80], v[81:82]
	s_waitcnt lgkmcnt(0)
	v_fma_f64 v[7:8], v[11:12], v[9:10], v[7:8]
	ds_bpermute_b32 v9, v2, v5 offset:68
	ds_bpermute_b32 v10, v2, v6 offset:68
	v_mul_f64 v[11:12], v[73:74], v[83:84]
	s_waitcnt lgkmcnt(0)
	v_fma_f64 v[7:8], v[13:14], v[9:10], v[7:8]
	ds_bpermute_b32 v9, v2, v5 offset:72
	ds_bpermute_b32 v10, v2, v6 offset:72
	v_mul_f64 v[13:14], v[87:88], v[89:90]
	s_waitcnt lgkmcnt(0)
	v_fma_f64 v[7:8], v[11:12], v[9:10], v[7:8]
	ds_bpermute_b32 v9, v2, v5 offset:76
	ds_bpermute_b32 v10, v2, v6 offset:76
	v_mul_f64 v[11:12], v[85:86], v[91:92]
	s_waitcnt lgkmcnt(0)
	v_fma_f64 v[7:8], v[13:14], v[9:10], v[7:8]
	ds_bpermute_b32 v9, v2, v5 offset:80
	ds_bpermute_b32 v10, v2, v6 offset:80
	v_mul_f64 v[13:14], v[95:96], v[97:98]
	s_waitcnt lgkmcnt(0)
	v_fma_f64 v[7:8], v[11:12], v[9:10], v[7:8]
	ds_bpermute_b32 v9, v2, v5 offset:84
	ds_bpermute_b32 v10, v2, v6 offset:84
	v_mul_f64 v[11:12], v[93:94], v[99:100]
	s_waitcnt lgkmcnt(0)
	v_fma_f64 v[7:8], v[13:14], v[9:10], v[7:8]
	ds_bpermute_b32 v9, v2, v5 offset:88
	ds_bpermute_b32 v10, v2, v6 offset:88
	v_mul_f64 v[13:14], v[103:104], v[105:106]
	s_waitcnt lgkmcnt(0)
	v_fma_f64 v[7:8], v[11:12], v[9:10], v[7:8]
	ds_bpermute_b32 v9, v2, v5 offset:92
	ds_bpermute_b32 v10, v2, v6 offset:92
	v_mul_f64 v[11:12], v[101:102], v[107:108]
	s_waitcnt lgkmcnt(0)
	v_fma_f64 v[7:8], v[13:14], v[9:10], v[7:8]
	ds_bpermute_b32 v9, v2, v5 offset:96
	ds_bpermute_b32 v10, v2, v6 offset:96
	v_mul_f64 v[13:14], v[111:112], v[113:114]
	s_waitcnt lgkmcnt(0)
	v_fma_f64 v[7:8], v[11:12], v[9:10], v[7:8]
	ds_bpermute_b32 v9, v2, v5 offset:100
	ds_bpermute_b32 v10, v2, v6 offset:100
	v_mul_f64 v[11:12], v[109:110], v[115:116]
	s_waitcnt lgkmcnt(0)
	v_fma_f64 v[7:8], v[13:14], v[9:10], v[7:8]
	ds_bpermute_b32 v9, v2, v5 offset:104
	ds_bpermute_b32 v10, v2, v6 offset:104
	v_mul_f64 v[13:14], v[119:120], v[121:122]
	s_waitcnt lgkmcnt(0)
	v_fma_f64 v[7:8], v[11:12], v[9:10], v[7:8]
	ds_bpermute_b32 v9, v2, v5 offset:108
	ds_bpermute_b32 v10, v2, v6 offset:108
	v_mul_f64 v[11:12], v[117:118], v[123:124]
	s_waitcnt lgkmcnt(0)
	v_fma_f64 v[7:8], v[13:14], v[9:10], v[7:8]
	ds_bpermute_b32 v9, v2, v5 offset:112
	ds_bpermute_b32 v10, v2, v6 offset:112
	v_mul_f64 v[13:14], v[129:130], v[131:132]
	s_waitcnt lgkmcnt(0)
	v_fma_f64 v[7:8], v[11:12], v[9:10], v[7:8]
	ds_bpermute_b32 v9, v2, v5 offset:116
	ds_bpermute_b32 v10, v2, v6 offset:116
	;; [unrolled: 1-line block ×4, first 2 shown]
	s_waitcnt lgkmcnt(2)
	v_fma_f64 v[7:8], v[13:14], v[9:10], v[7:8]
	v_mul_f64 v[9:10], v[127:128], v[133:134]
	s_waitcnt lgkmcnt(0)
	s_delay_alu instid0(VALU_DEP_1)
	v_fma_f64 v[9:10], v[9:10], v[11:12], v[7:8]
	ds_bpermute_b32 v7, v2, v5 offset:124
	ds_bpermute_b32 v8, v2, v6 offset:124
.LBB130_4:                              ;   in Loop: Header=BB130_5 Depth=1
	v_add_co_u32 v1, vcc_lo, v1, s12
	v_add_co_ci_u32_e32 v140, vcc_lo, s13, v140, vcc_lo
	v_add_co_u32 v141, vcc_lo, v141, s12
	v_add_co_ci_u32_e32 v142, vcc_lo, s13, v142, vcc_lo
	v_add_co_u32 v143, vcc_lo, v143, s12
	v_add_co_ci_u32_e32 v144, vcc_lo, s13, v144, vcc_lo
	v_add_co_u32 v145, vcc_lo, v145, s12
	v_add_co_ci_u32_e32 v146, vcc_lo, s13, v146, vcc_lo
	v_add_co_u32 v147, vcc_lo, v147, s12
	v_add_co_ci_u32_e32 v148, vcc_lo, s13, v148, vcc_lo
	v_add_co_u32 v149, vcc_lo, v149, s12
	v_add_co_ci_u32_e32 v150, vcc_lo, s13, v150, vcc_lo
	v_add_co_u32 v151, vcc_lo, v151, s12
	v_add_co_ci_u32_e32 v152, vcc_lo, s13, v152, vcc_lo
	v_add_co_u32 v153, vcc_lo, v153, s12
	v_add_co_ci_u32_e32 v154, vcc_lo, s13, v154, vcc_lo
	v_add_co_u32 v155, vcc_lo, v155, s12
	v_add_co_ci_u32_e32 v156, vcc_lo, s13, v156, vcc_lo
	v_add_co_u32 v157, vcc_lo, v157, s12
	v_add_co_ci_u32_e32 v158, vcc_lo, s13, v158, vcc_lo
	v_add_co_u32 v159, vcc_lo, v159, s12
	v_add_co_ci_u32_e32 v160, vcc_lo, s13, v160, vcc_lo
	v_add_co_u32 v161, vcc_lo, v161, s12
	v_add_co_ci_u32_e32 v162, vcc_lo, s13, v162, vcc_lo
	v_add_co_u32 v163, vcc_lo, v163, s12
	v_add_co_ci_u32_e32 v164, vcc_lo, s13, v164, vcc_lo
	v_add_co_u32 v165, vcc_lo, v165, s12
	v_add_co_ci_u32_e32 v166, vcc_lo, s13, v166, vcc_lo
	v_add_co_u32 v167, vcc_lo, v167, s12
	v_add_co_ci_u32_e32 v168, vcc_lo, s13, v168, vcc_lo
	v_add_co_u32 v169, vcc_lo, v169, s12
	v_add_co_ci_u32_e32 v170, vcc_lo, s13, v170, vcc_lo
	v_add_co_u32 v171, vcc_lo, v171, s12
	v_add_co_ci_u32_e32 v172, vcc_lo, s13, v172, vcc_lo
	v_add_co_u32 v173, vcc_lo, v173, s12
	v_add_co_ci_u32_e32 v174, vcc_lo, s13, v174, vcc_lo
	v_add_co_u32 v175, vcc_lo, v175, s12
	v_add_co_ci_u32_e32 v176, vcc_lo, s13, v176, vcc_lo
	v_add_co_u32 v177, vcc_lo, v177, s12
	v_add_co_ci_u32_e32 v178, vcc_lo, s13, v178, vcc_lo
	v_add_co_u32 v179, vcc_lo, v179, s12
	v_add_co_ci_u32_e32 v180, vcc_lo, s13, v180, vcc_lo
	v_add_co_u32 v181, vcc_lo, v181, s12
	v_add_co_ci_u32_e32 v182, vcc_lo, s13, v182, vcc_lo
	v_add_co_u32 v183, vcc_lo, v183, s12
	v_add_co_ci_u32_e32 v184, vcc_lo, s13, v184, vcc_lo
	v_add_co_u32 v185, vcc_lo, v185, s12
	v_add_co_ci_u32_e32 v186, vcc_lo, s13, v186, vcc_lo
	v_add_co_u32 v187, vcc_lo, v187, s12
	v_add_co_ci_u32_e32 v188, vcc_lo, s13, v188, vcc_lo
	v_add_co_u32 v189, vcc_lo, v189, s12
	v_add_co_ci_u32_e32 v190, vcc_lo, s13, v190, vcc_lo
	v_add_co_u32 v191, vcc_lo, v191, s12
	v_add_co_ci_u32_e32 v192, vcc_lo, s13, v192, vcc_lo
	v_add_co_u32 v193, vcc_lo, v193, s12
	v_add_co_ci_u32_e32 v194, vcc_lo, s13, v194, vcc_lo
	v_add_co_u32 v195, vcc_lo, v195, s12
	v_add_co_ci_u32_e32 v196, vcc_lo, s13, v196, vcc_lo
	v_add_co_u32 v197, vcc_lo, v197, s12
	v_add_co_ci_u32_e32 v198, vcc_lo, s13, v198, vcc_lo
	v_add_co_u32 v199, vcc_lo, v199, s12
	v_add_co_ci_u32_e32 v200, vcc_lo, s13, v200, vcc_lo
	v_add_co_u32 v201, vcc_lo, v201, s12
	v_add_co_ci_u32_e32 v202, vcc_lo, s13, v202, vcc_lo
	v_add_co_u32 v203, vcc_lo, v203, s12
	v_add_co_ci_u32_e32 v204, vcc_lo, s13, v204, vcc_lo
	v_add_co_u32 v205, vcc_lo, v205, s12
	v_add_co_ci_u32_e32 v206, vcc_lo, s13, v206, vcc_lo
	v_add_co_u32 v207, vcc_lo, v207, s12
	v_add_co_ci_u32_e32 v208, vcc_lo, s13, v208, vcc_lo
	v_add_co_u32 v209, vcc_lo, v209, s12
	v_add_co_ci_u32_e32 v210, vcc_lo, s13, v210, vcc_lo
	v_add_co_u32 v211, vcc_lo, v211, s12
	v_add_co_ci_u32_e32 v212, vcc_lo, s13, v212, vcc_lo
	v_add_co_u32 v213, vcc_lo, v213, s12
	v_add_co_ci_u32_e32 v214, vcc_lo, s13, v214, vcc_lo
	v_add_co_u32 v215, vcc_lo, v215, s12
	v_add_co_ci_u32_e32 v216, vcc_lo, s13, v216, vcc_lo
	v_add_co_u32 v217, vcc_lo, v217, s12
	v_add_co_ci_u32_e32 v218, vcc_lo, s13, v218, vcc_lo
	v_add_co_u32 v219, vcc_lo, v219, s12
	v_add_co_ci_u32_e32 v220, vcc_lo, s13, v220, vcc_lo
	v_add_co_u32 v221, vcc_lo, v221, s12
	v_add_co_ci_u32_e32 v222, vcc_lo, s13, v222, vcc_lo
	v_add_co_u32 v223, vcc_lo, v223, s12
	v_add_co_ci_u32_e32 v224, vcc_lo, s13, v224, vcc_lo
	v_add_co_u32 v225, vcc_lo, v225, s12
	v_add_co_ci_u32_e32 v226, vcc_lo, s13, v226, vcc_lo
	v_add_co_u32 v227, vcc_lo, v227, s12
	v_add_co_ci_u32_e32 v228, vcc_lo, s13, v228, vcc_lo
	v_add_co_u32 v229, vcc_lo, v229, s12
	v_add_co_ci_u32_e32 v230, vcc_lo, s13, v230, vcc_lo
	v_add_co_u32 v231, vcc_lo, v231, s12
	v_add_co_ci_u32_e32 v232, vcc_lo, s13, v232, vcc_lo
	v_add_co_u32 v233, vcc_lo, v233, s12
	v_add_co_ci_u32_e32 v234, vcc_lo, s13, v234, vcc_lo
	v_add_co_u32 v235, vcc_lo, v235, s12
	v_add_co_ci_u32_e32 v236, vcc_lo, s13, v236, vcc_lo
	v_add_co_u32 v237, vcc_lo, v237, s12
	v_add_co_ci_u32_e32 v238, vcc_lo, s13, v238, vcc_lo
	v_add_co_u32 v239, vcc_lo, v239, s12
	v_add_co_ci_u32_e32 v240, vcc_lo, s13, v240, vcc_lo
	v_add_co_u32 v241, vcc_lo, v241, s12
	v_add_co_ci_u32_e32 v242, vcc_lo, s13, v242, vcc_lo
	v_add_co_u32 v243, vcc_lo, v243, s12
	v_add_co_ci_u32_e32 v244, vcc_lo, s13, v244, vcc_lo
	v_add_co_u32 v245, vcc_lo, v245, s12
	s_waitcnt lgkmcnt(0)
	v_fma_f64 v[125:126], v[77:78], v[7:8], v[9:10]
	v_add_co_ci_u32_e32 v246, vcc_lo, s13, v246, vcc_lo
	v_add_co_u32 v247, vcc_lo, v247, s12
	v_add_co_ci_u32_e32 v248, vcc_lo, s13, v248, vcc_lo
	v_add_co_u32 v249, vcc_lo, v249, s12
	;; [unrolled: 2-line block ×9, first 2 shown]
	s_add_u32 s24, s24, s27
	v_add_co_ci_u32_e32 v25, vcc_lo, s13, v25, vcc_lo
	s_addc_u32 s25, s25, 0
	v_add_co_u32 v26, vcc_lo, v26, s12
	v_add_co_ci_u32_e32 v31, vcc_lo, s13, v31, vcc_lo
	v_cmp_lt_i64_e64 s28, s[24:25], s[16:17]
	v_add_co_u32 v137, vcc_lo, v137, s27
	v_add_co_ci_u32_e32 v139, vcc_lo, 0, v139, vcc_lo
	s_add_u32 s4, s4, s27
	s_addc_u32 s5, s5, 0
	s_delay_alu instid0(VALU_DEP_3)
	s_and_b32 vcc_lo, exec_lo, s28
	s_cbranch_vccz .LBB130_141
.LBB130_5:                              ; =>This Inner Loop Header: Depth=1
	s_add_u32 s28, s8, s4
	s_addc_u32 s29, 0, s5
	v_add_co_u32 v5, vcc_lo, s8, v137
	v_cmp_ge_i64_e64 s28, s[28:29], s[16:17]
	v_add_co_ci_u32_e32 v6, vcc_lo, 0, v139, vcc_lo
	s_delay_alu instid0(VALU_DEP_2)
	s_and_b32 vcc_lo, exec_lo, s28
	s_cbranch_vccz .LBB130_73
; %bb.6:                                ;   in Loop: Header=BB130_5 Depth=1
	s_load_b32 s28, s[10:11], 0xc
	s_clause 0x1
	scratch_load_b32 v7, off, off offset:48
	scratch_load_b32 v8, off, off offset:52
	v_mov_b32_e32 v9, 0
	v_mov_b32_e32 v10, 0
	s_waitcnt lgkmcnt(0)
	s_and_b32 s28, s28, 0xffff
	s_waitcnt vmcnt(0)
	v_mad_u32_u24 v7, v7, s28, v8
	s_mov_b32 s28, exec_lo
	s_delay_alu instid0(VALU_DEP_1) | instskip(NEXT) | instid1(VALU_DEP_1)
	v_and_b32_e32 v7, 31, v7
	v_add_co_u32 v11, vcc_lo, v5, v7
	v_add_co_ci_u32_e32 v12, vcc_lo, 0, v6, vcc_lo
	v_dual_mov_b32 v7, v9 :: v_dual_mov_b32 v8, v10
	s_delay_alu instid0(VALU_DEP_2)
	v_cmpx_gt_i64_e64 s[16:17], v[11:12]
	s_cbranch_execz .LBB130_8
; %bb.7:                                ;   in Loop: Header=BB130_5 Depth=1
	v_lshlrev_b64 v[7:8], 3, v[11:12]
	s_delay_alu instid0(VALU_DEP_1) | instskip(NEXT) | instid1(VALU_DEP_2)
	v_add_co_u32 v7, vcc_lo, s6, v7
	v_add_co_ci_u32_e32 v8, vcc_lo, s7, v8, vcc_lo
	global_load_b64 v[7:8], v[7:8], off
.LBB130_8:                              ;   in Loop: Header=BB130_5 Depth=1
	s_or_b32 exec_lo, exec_lo, s28
	v_cmp_gt_i64_e32 vcc_lo, s[16:17], v[5:6]
	v_dual_mov_b32 v28, v10 :: v_dual_mov_b32 v27, v9
	s_and_b32 s29, s3, vcc_lo
	s_delay_alu instid0(SALU_CYCLE_1)
	s_and_saveexec_b32 s28, s29
	s_cbranch_execz .LBB130_10
; %bb.9:                                ;   in Loop: Header=BB130_5 Depth=1
	v_add_co_u32 v9, vcc_lo, v24, v3
	v_add_co_ci_u32_e32 v10, vcc_lo, v25, v4, vcc_lo
	v_add_co_u32 v11, vcc_lo, v26, v3
	v_add_co_ci_u32_e32 v12, vcc_lo, v31, v4, vcc_lo
	global_load_b64 v[9:10], v[9:10], off
	global_load_b64 v[27:28], v[11:12], off
.LBB130_10:                             ;   in Loop: Header=BB130_5 Depth=1
	s_or_b32 exec_lo, exec_lo, s28
	v_add_co_u32 v11, vcc_lo, v5, 1
	v_add_co_ci_u32_e32 v12, vcc_lo, 0, v6, vcc_lo
	v_mov_b32_e32 v13, 0
	v_mov_b32_e32 v14, 0
	s_clause 0x1
	scratch_store_b64 off, v[13:14], off
	scratch_store_b64 off, v[13:14], off offset:8
	v_cmp_gt_i64_e32 vcc_lo, s[16:17], v[11:12]
	s_and_b32 s29, s3, vcc_lo
	s_delay_alu instid0(SALU_CYCLE_1)
	s_and_saveexec_b32 s28, s29
	s_cbranch_execz .LBB130_12
; %bb.11:                               ;   in Loop: Header=BB130_5 Depth=1
	v_add_co_u32 v11, vcc_lo, v16, v3
	v_add_co_ci_u32_e32 v12, vcc_lo, v17, v4, vcc_lo
	v_add_co_u32 v19, vcc_lo, v18, v3
	v_add_co_ci_u32_e32 v20, vcc_lo, v23, v4, vcc_lo
	global_load_b64 v[11:12], v[11:12], off
	s_waitcnt vmcnt(0)
	scratch_store_b64 off, v[11:12], off    ; 8-byte Folded Spill
	global_load_b64 v[11:12], v[19:20], off
	s_waitcnt vmcnt(0)
	scratch_store_b64 off, v[11:12], off offset:8 ; 8-byte Folded Spill
.LBB130_12:                             ;   in Loop: Header=BB130_5 Depth=1
	s_or_b32 exec_lo, exec_lo, s28
	v_add_co_u32 v11, vcc_lo, v5, 2
	v_add_co_ci_u32_e32 v12, vcc_lo, 0, v6, vcc_lo
	scratch_store_b64 off, v[13:14], off offset:16 ; 8-byte Folded Spill
	v_cmp_gt_i64_e32 vcc_lo, s[16:17], v[11:12]
	s_and_b32 s29, s3, vcc_lo
	s_delay_alu instid0(SALU_CYCLE_1)
	s_and_saveexec_b32 s28, s29
	s_cbranch_execz .LBB130_14
; %bb.13:                               ;   in Loop: Header=BB130_5 Depth=1
	v_add_co_u32 v11, vcc_lo, v255, v3
	v_add_co_ci_u32_e32 v12, vcc_lo, v0, v4, vcc_lo
	v_add_co_u32 v19, vcc_lo, v138, v3
	v_add_co_ci_u32_e32 v20, vcc_lo, v15, v4, vcc_lo
	global_load_b64 v[13:14], v[11:12], off
	global_load_b64 v[11:12], v[19:20], off
	s_waitcnt vmcnt(0)
	scratch_store_b64 off, v[11:12], off offset:16 ; 8-byte Folded Spill
.LBB130_14:                             ;   in Loop: Header=BB130_5 Depth=1
	s_or_b32 exec_lo, exec_lo, s28
	v_add_co_u32 v11, vcc_lo, v5, 3
	v_add_co_ci_u32_e32 v12, vcc_lo, 0, v6, vcc_lo
	v_mov_b32_e32 v21, 0
	v_mov_b32_e32 v22, 0
	s_clause 0x1
	scratch_store_b64 off, v[21:22], off offset:24
	scratch_store_b64 off, v[21:22], off offset:32
	v_cmp_gt_i64_e32 vcc_lo, s[16:17], v[11:12]
	s_and_b32 s29, s3, vcc_lo
	s_delay_alu instid0(SALU_CYCLE_1)
	s_and_saveexec_b32 s28, s29
	s_cbranch_execz .LBB130_16
; %bb.15:                               ;   in Loop: Header=BB130_5 Depth=1
	v_add_co_u32 v11, vcc_lo, v251, v3
	v_add_co_ci_u32_e32 v12, vcc_lo, v252, v4, vcc_lo
	v_add_co_u32 v19, vcc_lo, v253, v3
	v_add_co_ci_u32_e32 v20, vcc_lo, v254, v4, vcc_lo
	global_load_b64 v[11:12], v[11:12], off
	s_waitcnt vmcnt(0)
	scratch_store_b64 off, v[11:12], off offset:24 ; 8-byte Folded Spill
	global_load_b64 v[11:12], v[19:20], off
	s_waitcnt vmcnt(0)
	scratch_store_b64 off, v[11:12], off offset:32 ; 8-byte Folded Spill
.LBB130_16:                             ;   in Loop: Header=BB130_5 Depth=1
	s_or_b32 exec_lo, exec_lo, s28
	v_add_co_u32 v11, vcc_lo, v5, 4
	v_add_co_ci_u32_e32 v12, vcc_lo, 0, v6, vcc_lo
	scratch_store_b64 off, v[21:22], off offset:40 ; 8-byte Folded Spill
	v_cmp_gt_i64_e32 vcc_lo, s[16:17], v[11:12]
	s_and_b32 s29, s3, vcc_lo
	s_delay_alu instid0(SALU_CYCLE_1)
	s_and_saveexec_b32 s28, s29
	s_cbranch_execz .LBB130_18
; %bb.17:                               ;   in Loop: Header=BB130_5 Depth=1
	v_add_co_u32 v11, vcc_lo, v247, v3
	v_add_co_ci_u32_e32 v12, vcc_lo, v248, v4, vcc_lo
	s_waitcnt vmcnt(0)
	v_dual_mov_b32 v19, v27 :: v_dual_mov_b32 v20, v28
	v_add_co_u32 v27, vcc_lo, v249, v3
	v_add_co_ci_u32_e32 v28, vcc_lo, v250, v4, vcc_lo
	global_load_b64 v[21:22], v[11:12], off
	global_load_b64 v[11:12], v[27:28], off
	v_dual_mov_b32 v28, v20 :: v_dual_mov_b32 v27, v19
	s_waitcnt vmcnt(0)
	scratch_store_b64 off, v[11:12], off offset:40 ; 8-byte Folded Spill
.LBB130_18:                             ;   in Loop: Header=BB130_5 Depth=1
	s_or_b32 exec_lo, exec_lo, s28
	v_add_co_u32 v11, vcc_lo, v5, 5
	v_add_co_ci_u32_e32 v12, vcc_lo, 0, v6, vcc_lo
	v_mov_b32_e32 v29, 0
	v_mov_b32_e32 v30, 0
	s_delay_alu instid0(VALU_DEP_3) | instskip(NEXT) | instid1(VALU_DEP_2)
	v_cmp_gt_i64_e32 vcc_lo, s[16:17], v[11:12]
	v_dual_mov_b32 v11, v29 :: v_dual_mov_b32 v12, v30
	v_dual_mov_b32 v34, v30 :: v_dual_mov_b32 v33, v29
	s_and_b32 s29, s3, vcc_lo
	s_delay_alu instid0(SALU_CYCLE_1)
	s_and_saveexec_b32 s28, s29
	s_cbranch_execz .LBB130_20
; %bb.19:                               ;   in Loop: Header=BB130_5 Depth=1
	v_add_co_u32 v11, vcc_lo, v243, v3
	v_add_co_ci_u32_e32 v12, vcc_lo, v244, v4, vcc_lo
	v_add_co_u32 v32, vcc_lo, v245, v3
	v_add_co_ci_u32_e32 v33, vcc_lo, v246, v4, vcc_lo
	global_load_b64 v[11:12], v[11:12], off
	global_load_b64 v[33:34], v[32:33], off
.LBB130_20:                             ;   in Loop: Header=BB130_5 Depth=1
	s_or_b32 exec_lo, exec_lo, s28
	v_add_co_u32 v35, vcc_lo, v5, 6
	v_add_co_ci_u32_e32 v36, vcc_lo, 0, v6, vcc_lo
	s_delay_alu instid0(VALU_DEP_1) | instskip(SKIP_2) | instid1(SALU_CYCLE_1)
	v_cmp_gt_i64_e32 vcc_lo, s[16:17], v[35:36]
	v_dual_mov_b32 v36, v30 :: v_dual_mov_b32 v35, v29
	s_and_b32 s29, s3, vcc_lo
	s_and_saveexec_b32 s28, s29
	s_cbranch_execz .LBB130_22
; %bb.21:                               ;   in Loop: Header=BB130_5 Depth=1
	v_add_co_u32 v29, vcc_lo, v239, v3
	v_add_co_ci_u32_e32 v30, vcc_lo, v240, v4, vcc_lo
	v_add_co_u32 v35, vcc_lo, v241, v3
	v_add_co_ci_u32_e32 v36, vcc_lo, v242, v4, vcc_lo
	global_load_b64 v[29:30], v[29:30], off
	global_load_b64 v[35:36], v[35:36], off
.LBB130_22:                             ;   in Loop: Header=BB130_5 Depth=1
	s_or_b32 exec_lo, exec_lo, s28
	v_add_co_u32 v39, vcc_lo, v5, 7
	v_add_co_ci_u32_e32 v40, vcc_lo, 0, v6, vcc_lo
	v_mov_b32_e32 v37, 0
	v_mov_b32_e32 v38, 0
	s_delay_alu instid0(VALU_DEP_3) | instskip(NEXT) | instid1(VALU_DEP_2)
	v_cmp_gt_i64_e32 vcc_lo, s[16:17], v[39:40]
	v_dual_mov_b32 v40, v38 :: v_dual_mov_b32 v39, v37
	v_dual_mov_b32 v42, v38 :: v_dual_mov_b32 v41, v37
	s_and_b32 s29, s3, vcc_lo
	s_delay_alu instid0(SALU_CYCLE_1)
	s_and_saveexec_b32 s28, s29
	s_cbranch_execz .LBB130_24
; %bb.23:                               ;   in Loop: Header=BB130_5 Depth=1
	v_add_co_u32 v39, vcc_lo, v235, v3
	v_add_co_ci_u32_e32 v40, vcc_lo, v236, v4, vcc_lo
	v_add_co_u32 v41, vcc_lo, v237, v3
	v_add_co_ci_u32_e32 v42, vcc_lo, v238, v4, vcc_lo
	global_load_b64 v[39:40], v[39:40], off
	global_load_b64 v[41:42], v[41:42], off
.LBB130_24:                             ;   in Loop: Header=BB130_5 Depth=1
	s_or_b32 exec_lo, exec_lo, s28
	v_add_co_u32 v43, vcc_lo, v5, 8
	v_add_co_ci_u32_e32 v44, vcc_lo, 0, v6, vcc_lo
	s_delay_alu instid0(VALU_DEP_1) | instskip(SKIP_2) | instid1(SALU_CYCLE_1)
	v_cmp_gt_i64_e32 vcc_lo, s[16:17], v[43:44]
	v_dual_mov_b32 v44, v38 :: v_dual_mov_b32 v43, v37
	s_and_b32 s29, s3, vcc_lo
	s_and_saveexec_b32 s28, s29
	s_cbranch_execz .LBB130_26
; %bb.25:                               ;   in Loop: Header=BB130_5 Depth=1
	v_add_co_u32 v37, vcc_lo, v231, v3
	v_add_co_ci_u32_e32 v38, vcc_lo, v232, v4, vcc_lo
	v_add_co_u32 v43, vcc_lo, v233, v3
	v_add_co_ci_u32_e32 v44, vcc_lo, v234, v4, vcc_lo
	global_load_b64 v[37:38], v[37:38], off
	global_load_b64 v[43:44], v[43:44], off
.LBB130_26:                             ;   in Loop: Header=BB130_5 Depth=1
	;; [unrolled: 38-line block ×6, first 2 shown]
	s_or_b32 exec_lo, exec_lo, s28
	v_add_co_u32 v77, vcc_lo, v5, 17
	v_add_co_ci_u32_e32 v78, vcc_lo, 0, v6, vcc_lo
	v_mov_b32_e32 v79, 0
	v_mov_b32_e32 v80, 0
	s_delay_alu instid0(VALU_DEP_3) | instskip(NEXT) | instid1(VALU_DEP_2)
	v_cmp_gt_i64_e32 vcc_lo, s[16:17], v[77:78]
	v_dual_mov_b32 v82, v80 :: v_dual_mov_b32 v81, v79
	v_dual_mov_b32 v84, v80 :: v_dual_mov_b32 v83, v79
	s_and_b32 s29, s3, vcc_lo
	s_delay_alu instid0(SALU_CYCLE_1)
	s_and_saveexec_b32 s28, s29
	s_cbranch_execz .LBB130_44
; %bb.43:                               ;   in Loop: Header=BB130_5 Depth=1
	v_add_co_u32 v77, vcc_lo, v195, v3
	v_add_co_ci_u32_e32 v78, vcc_lo, v196, v4, vcc_lo
	v_add_co_u32 v83, vcc_lo, v197, v3
	v_add_co_ci_u32_e32 v84, vcc_lo, v198, v4, vcc_lo
	global_load_b64 v[81:82], v[77:78], off
	global_load_b64 v[83:84], v[83:84], off
.LBB130_44:                             ;   in Loop: Header=BB130_5 Depth=1
	s_or_b32 exec_lo, exec_lo, s28
	v_add_co_u32 v77, vcc_lo, v5, 18
	v_add_co_ci_u32_e32 v78, vcc_lo, 0, v6, vcc_lo
	v_dual_mov_b32 v86, v80 :: v_dual_mov_b32 v85, v79
	s_delay_alu instid0(VALU_DEP_2) | instskip(SKIP_1) | instid1(SALU_CYCLE_1)
	v_cmp_gt_i64_e32 vcc_lo, s[16:17], v[77:78]
	s_and_b32 s29, s3, vcc_lo
	s_and_saveexec_b32 s28, s29
	s_cbranch_execz .LBB130_46
; %bb.45:                               ;   in Loop: Header=BB130_5 Depth=1
	v_add_co_u32 v77, vcc_lo, v191, v3
	v_add_co_ci_u32_e32 v78, vcc_lo, v192, v4, vcc_lo
	v_add_co_u32 v85, vcc_lo, v193, v3
	v_add_co_ci_u32_e32 v86, vcc_lo, v194, v4, vcc_lo
	global_load_b64 v[79:80], v[77:78], off
	global_load_b64 v[85:86], v[85:86], off
.LBB130_46:                             ;   in Loop: Header=BB130_5 Depth=1
	s_or_b32 exec_lo, exec_lo, s28
	v_add_co_u32 v77, vcc_lo, v5, 19
	v_add_co_ci_u32_e32 v78, vcc_lo, 0, v6, vcc_lo
	v_mov_b32_e32 v87, 0
	v_mov_b32_e32 v88, 0
	s_delay_alu instid0(VALU_DEP_3) | instskip(NEXT) | instid1(VALU_DEP_2)
	v_cmp_gt_i64_e32 vcc_lo, s[16:17], v[77:78]
	v_dual_mov_b32 v90, v88 :: v_dual_mov_b32 v89, v87
	v_dual_mov_b32 v92, v88 :: v_dual_mov_b32 v91, v87
	s_and_b32 s29, s3, vcc_lo
	s_delay_alu instid0(SALU_CYCLE_1)
	s_and_saveexec_b32 s28, s29
	s_cbranch_execz .LBB130_48
; %bb.47:                               ;   in Loop: Header=BB130_5 Depth=1
	v_add_co_u32 v77, vcc_lo, v187, v3
	v_add_co_ci_u32_e32 v78, vcc_lo, v188, v4, vcc_lo
	v_add_co_u32 v91, vcc_lo, v189, v3
	v_add_co_ci_u32_e32 v92, vcc_lo, v190, v4, vcc_lo
	global_load_b64 v[89:90], v[77:78], off
	global_load_b64 v[91:92], v[91:92], off
.LBB130_48:                             ;   in Loop: Header=BB130_5 Depth=1
	s_or_b32 exec_lo, exec_lo, s28
	v_add_co_u32 v77, vcc_lo, v5, 20
	v_add_co_ci_u32_e32 v78, vcc_lo, 0, v6, vcc_lo
	v_dual_mov_b32 v94, v88 :: v_dual_mov_b32 v93, v87
	s_delay_alu instid0(VALU_DEP_2) | instskip(SKIP_1) | instid1(SALU_CYCLE_1)
	v_cmp_gt_i64_e32 vcc_lo, s[16:17], v[77:78]
	s_and_b32 s29, s3, vcc_lo
	s_and_saveexec_b32 s28, s29
	s_cbranch_execz .LBB130_50
; %bb.49:                               ;   in Loop: Header=BB130_5 Depth=1
	v_add_co_u32 v77, vcc_lo, v183, v3
	v_add_co_ci_u32_e32 v78, vcc_lo, v184, v4, vcc_lo
	v_add_co_u32 v93, vcc_lo, v185, v3
	v_add_co_ci_u32_e32 v94, vcc_lo, v186, v4, vcc_lo
	global_load_b64 v[87:88], v[77:78], off
	global_load_b64 v[93:94], v[93:94], off
.LBB130_50:                             ;   in Loop: Header=BB130_5 Depth=1
	;; [unrolled: 38-line block ×7, first 2 shown]
	s_or_b32 exec_lo, exec_lo, s28
	v_add_co_u32 v77, vcc_lo, v5, 31
	v_add_co_ci_u32_e32 v78, vcc_lo, 0, v6, vcc_lo
	s_delay_alu instid0(VALU_DEP_1) | instskip(SKIP_3) | instid1(SALU_CYCLE_1)
	v_cmp_gt_i64_e32 vcc_lo, s[16:17], v[77:78]
	v_mov_b32_e32 v77, 0
	v_mov_b32_e32 v78, 0
	s_and_b32 s29, s3, vcc_lo
	s_and_saveexec_b32 s28, s29
	s_cbranch_execz .LBB130_72
; %bb.71:                               ;   in Loop: Header=BB130_5 Depth=1
	v_add_co_u32 v77, vcc_lo, v1, v3
	v_add_co_ci_u32_e32 v78, vcc_lo, v140, v4, vcc_lo
	v_add_co_u32 v19, vcc_lo, v141, v3
	v_add_co_ci_u32_e32 v20, vcc_lo, v142, v4, vcc_lo
	global_load_b64 v[77:78], v[77:78], off
	global_load_b64 v[19:20], v[19:20], off
	s_waitcnt vmcnt(0)
	v_mul_f64 v[77:78], v[77:78], v[19:20]
.LBB130_72:                             ;   in Loop: Header=BB130_5 Depth=1
	s_or_b32 exec_lo, exec_lo, s28
	s_waitcnt vmcnt(0)
	v_mul_f64 v[9:10], v[9:10], v[27:28]
	s_clause 0x1
	scratch_load_b64 v[19:20], off, off
	scratch_load_b64 v[27:28], off, off offset:8
	v_mul_f64 v[11:12], v[11:12], v[33:34]
	s_waitcnt vmcnt(0)
	v_mul_f64 v[19:20], v[19:20], v[27:28]
	ds_bpermute_b32 v27, v2, v7
	ds_bpermute_b32 v28, v2, v8
	s_waitcnt lgkmcnt(0)
	v_fma_f64 v[9:10], v[9:10], v[27:28], v[125:126]
	ds_bpermute_b32 v27, v2, v7 offset:4
	ds_bpermute_b32 v28, v2, v8 offset:4
	s_waitcnt lgkmcnt(0)
	v_fma_f64 v[9:10], v[19:20], v[27:28], v[9:10]
	scratch_load_b64 v[19:20], off, off offset:16 ; 8-byte Folded Reload
	s_waitcnt vmcnt(0)
	v_mul_f64 v[13:14], v[13:14], v[19:20]
	ds_bpermute_b32 v19, v2, v7 offset:8
	ds_bpermute_b32 v20, v2, v8 offset:8
	s_waitcnt lgkmcnt(0)
	v_fma_f64 v[9:10], v[13:14], v[19:20], v[9:10]
	s_clause 0x1
	scratch_load_b64 v[13:14], off, off offset:24
	scratch_load_b64 v[19:20], off, off offset:32
	s_waitcnt vmcnt(0)
	v_mul_f64 v[13:14], v[13:14], v[19:20]
	ds_bpermute_b32 v19, v2, v7 offset:12
	ds_bpermute_b32 v20, v2, v8 offset:12
	s_waitcnt lgkmcnt(0)
	v_fma_f64 v[9:10], v[13:14], v[19:20], v[9:10]
	scratch_load_b64 v[13:14], off, off offset:40 ; 8-byte Folded Reload
	ds_bpermute_b32 v19, v2, v7 offset:16
	ds_bpermute_b32 v20, v2, v8 offset:16
	s_waitcnt vmcnt(0)
	v_mul_f64 v[13:14], v[21:22], v[13:14]
	s_waitcnt lgkmcnt(0)
	s_delay_alu instid0(VALU_DEP_1)
	v_fma_f64 v[9:10], v[13:14], v[19:20], v[9:10]
	ds_bpermute_b32 v13, v2, v7 offset:20
	ds_bpermute_b32 v14, v2, v8 offset:20
	v_mul_f64 v[19:20], v[81:82], v[83:84]
	s_waitcnt lgkmcnt(0)
	v_fma_f64 v[9:10], v[11:12], v[13:14], v[9:10]
	v_mul_f64 v[11:12], v[29:30], v[35:36]
	ds_bpermute_b32 v13, v2, v7 offset:24
	ds_bpermute_b32 v14, v2, v8 offset:24
	s_waitcnt lgkmcnt(0)
	v_fma_f64 v[9:10], v[11:12], v[13:14], v[9:10]
	v_mul_f64 v[11:12], v[39:40], v[41:42]
	ds_bpermute_b32 v13, v2, v7 offset:28
	ds_bpermute_b32 v14, v2, v8 offset:28
	;; [unrolled: 5-line block ×11, first 2 shown]
	s_waitcnt lgkmcnt(0)
	v_fma_f64 v[9:10], v[11:12], v[13:14], v[9:10]
	ds_bpermute_b32 v11, v2, v7 offset:68
	ds_bpermute_b32 v12, v2, v8 offset:68
	v_mul_f64 v[13:14], v[79:80], v[85:86]
	s_waitcnt lgkmcnt(0)
	v_fma_f64 v[9:10], v[19:20], v[11:12], v[9:10]
	ds_bpermute_b32 v11, v2, v7 offset:72
	ds_bpermute_b32 v12, v2, v8 offset:72
	v_mul_f64 v[19:20], v[89:90], v[91:92]
	;; [unrolled: 5-line block ×12, first 2 shown]
	s_waitcnt lgkmcnt(0)
	v_fma_f64 v[9:10], v[13:14], v[11:12], v[9:10]
	ds_bpermute_b32 v11, v2, v7 offset:116
	ds_bpermute_b32 v12, v2, v8 offset:116
	;; [unrolled: 1-line block ×6, first 2 shown]
	s_waitcnt lgkmcnt(4)
	v_fma_f64 v[9:10], v[19:20], v[11:12], v[9:10]
	v_mul_f64 v[11:12], v[129:130], v[135:136]
	s_waitcnt lgkmcnt(2)
	s_delay_alu instid0(VALU_DEP_1)
	v_fma_f64 v[9:10], v[11:12], v[13:14], v[9:10]
	s_branch .LBB130_4
.LBB130_73:                             ;   in Loop: Header=BB130_5 Depth=1
                                        ; implicit-def: $vgpr9_vgpr10
                                        ; implicit-def: $vgpr77_vgpr78
                                        ; implicit-def: $vgpr7
	s_cbranch_execz .LBB130_4
; %bb.74:                               ;   in Loop: Header=BB130_5 Depth=1
	s_load_b32 s28, s[10:11], 0x0
	s_waitcnt lgkmcnt(0)
	s_cmp_lt_u32 s14, s28
	s_cselect_b32 s28, 12, 18
	s_delay_alu instid0(SALU_CYCLE_1)
	s_add_u32 s28, s10, s28
	s_addc_u32 s29, s11, 0
	global_load_u16 v7, v2, s[28:29]
	s_clause 0x1
	scratch_load_b32 v8, off, off offset:48
	scratch_load_b32 v9, off, off offset:52
	s_mov_b32 s28, exec_lo
	s_waitcnt vmcnt(0)
	v_mad_u32_u24 v7, v8, v7, v9
	s_delay_alu instid0(VALU_DEP_1) | instskip(NEXT) | instid1(VALU_DEP_1)
	v_and_b32_e32 v7, 31, v7
	v_add_co_u32 v9, vcc_lo, v5, v7
	v_mov_b32_e32 v7, 0
	v_mov_b32_e32 v8, 0
	v_add_co_ci_u32_e32 v10, vcc_lo, 0, v6, vcc_lo
	s_delay_alu instid0(VALU_DEP_2) | instskip(NEXT) | instid1(VALU_DEP_2)
	v_dual_mov_b32 v5, v7 :: v_dual_mov_b32 v6, v8
	v_cmpx_gt_i64_e64 s[16:17], v[9:10]
	s_cbranch_execz .LBB130_76
; %bb.75:                               ;   in Loop: Header=BB130_5 Depth=1
	v_lshlrev_b64 v[5:6], 3, v[9:10]
	s_delay_alu instid0(VALU_DEP_1) | instskip(NEXT) | instid1(VALU_DEP_2)
	v_add_co_u32 v5, vcc_lo, s6, v5
	v_add_co_ci_u32_e32 v6, vcc_lo, s7, v6, vcc_lo
	global_load_b64 v[5:6], v[5:6], off
.LBB130_76:                             ;   in Loop: Header=BB130_5 Depth=1
	s_or_b32 exec_lo, exec_lo, s28
	v_dual_mov_b32 v22, v8 :: v_dual_mov_b32 v21, v7
	s_and_saveexec_b32 s28, s3
	s_cbranch_execz .LBB130_78
; %bb.77:                               ;   in Loop: Header=BB130_5 Depth=1
	v_add_co_u32 v7, vcc_lo, v24, v3
	v_add_co_ci_u32_e32 v8, vcc_lo, v25, v4, vcc_lo
	v_add_co_u32 v9, vcc_lo, v26, v3
	v_add_co_ci_u32_e32 v10, vcc_lo, v31, v4, vcc_lo
	global_load_b64 v[7:8], v[7:8], off
	global_load_b64 v[21:22], v[9:10], off
.LBB130_78:                             ;   in Loop: Header=BB130_5 Depth=1
	s_or_b32 exec_lo, exec_lo, s28
	v_mov_b32_e32 v11, 0
	v_mov_b32_e32 v12, 0
	s_clause 0x1
	scratch_store_b64 off, v[11:12], off
	scratch_store_b64 off, v[11:12], off offset:8
	s_and_saveexec_b32 s28, s3
	s_cbranch_execz .LBB130_80
; %bb.79:                               ;   in Loop: Header=BB130_5 Depth=1
	v_add_co_u32 v9, vcc_lo, v16, v3
	v_add_co_ci_u32_e32 v10, vcc_lo, v17, v4, vcc_lo
	v_add_co_u32 v13, vcc_lo, v18, v3
	v_add_co_ci_u32_e32 v14, vcc_lo, v23, v4, vcc_lo
	global_load_b64 v[9:10], v[9:10], off
	s_waitcnt vmcnt(0)
	scratch_store_b64 off, v[9:10], off     ; 8-byte Folded Spill
	global_load_b64 v[9:10], v[13:14], off
	s_waitcnt vmcnt(0)
	scratch_store_b64 off, v[9:10], off offset:8 ; 8-byte Folded Spill
.LBB130_80:                             ;   in Loop: Header=BB130_5 Depth=1
	s_or_b32 exec_lo, exec_lo, s28
	scratch_store_b64 off, v[11:12], off offset:16 ; 8-byte Folded Spill
	s_and_saveexec_b32 s28, s3
	s_cbranch_execz .LBB130_82
; %bb.81:                               ;   in Loop: Header=BB130_5 Depth=1
	v_add_co_u32 v9, vcc_lo, v255, v3
	v_add_co_ci_u32_e32 v10, vcc_lo, v0, v4, vcc_lo
	v_add_co_u32 v13, vcc_lo, v138, v3
	v_add_co_ci_u32_e32 v14, vcc_lo, v15, v4, vcc_lo
	global_load_b64 v[11:12], v[9:10], off
	global_load_b64 v[9:10], v[13:14], off
	s_waitcnt vmcnt(0)
	scratch_store_b64 off, v[9:10], off offset:16 ; 8-byte Folded Spill
.LBB130_82:                             ;   in Loop: Header=BB130_5 Depth=1
	s_or_b32 exec_lo, exec_lo, s28
	v_mov_b32_e32 v19, 0
	v_mov_b32_e32 v20, 0
	s_delay_alu instid0(VALU_DEP_1)
	v_dual_mov_b32 v136, v20 :: v_dual_mov_b32 v135, v19
	scratch_store_b64 off, v[19:20], off offset:24 ; 8-byte Folded Spill
	s_and_saveexec_b32 s28, s3
	s_cbranch_execz .LBB130_84
; %bb.83:                               ;   in Loop: Header=BB130_5 Depth=1
	v_add_co_u32 v9, vcc_lo, v251, v3
	v_add_co_ci_u32_e32 v10, vcc_lo, v252, v4, vcc_lo
	v_add_co_u32 v13, vcc_lo, v253, v3
	v_add_co_ci_u32_e32 v14, vcc_lo, v254, v4, vcc_lo
	global_load_b64 v[9:10], v[9:10], off
	global_load_b64 v[135:136], v[13:14], off
	s_waitcnt vmcnt(1)
	scratch_store_b64 off, v[9:10], off offset:24 ; 8-byte Folded Spill
.LBB130_84:                             ;   in Loop: Header=BB130_5 Depth=1
	s_or_b32 exec_lo, exec_lo, s28
	scratch_store_b64 off, v[19:20], off offset:32 ; 8-byte Folded Spill
	s_and_saveexec_b32 s28, s3
	s_cbranch_execz .LBB130_86
; %bb.85:                               ;   in Loop: Header=BB130_5 Depth=1
	v_add_co_u32 v9, vcc_lo, v247, v3
	v_add_co_ci_u32_e32 v10, vcc_lo, v248, v4, vcc_lo
	v_add_co_u32 v27, vcc_lo, v249, v3
	v_add_co_ci_u32_e32 v28, vcc_lo, v250, v4, vcc_lo
	global_load_b64 v[19:20], v[9:10], off
	global_load_b64 v[9:10], v[27:28], off
	s_waitcnt vmcnt(0)
	scratch_store_b64 off, v[9:10], off offset:32 ; 8-byte Folded Spill
.LBB130_86:                             ;   in Loop: Header=BB130_5 Depth=1
	s_or_b32 exec_lo, exec_lo, s28
	v_mov_b32_e32 v27, 0
	v_mov_b32_e32 v28, 0
	s_delay_alu instid0(VALU_DEP_1)
	v_dual_mov_b32 v9, v27 :: v_dual_mov_b32 v10, v28
	v_dual_mov_b32 v30, v28 :: v_dual_mov_b32 v29, v27
	s_and_saveexec_b32 s28, s3
	s_cbranch_execz .LBB130_88
; %bb.87:                               ;   in Loop: Header=BB130_5 Depth=1
	v_add_co_u32 v9, vcc_lo, v243, v3
	v_add_co_ci_u32_e32 v10, vcc_lo, v244, v4, vcc_lo
	v_add_co_u32 v32, vcc_lo, v245, v3
	v_add_co_ci_u32_e32 v33, vcc_lo, v246, v4, vcc_lo
	global_load_b64 v[29:30], v[9:10], off
	global_load_b64 v[9:10], v[32:33], off
.LBB130_88:                             ;   in Loop: Header=BB130_5 Depth=1
	s_or_b32 exec_lo, exec_lo, s28
	v_dual_mov_b32 v34, v28 :: v_dual_mov_b32 v33, v27
	s_and_saveexec_b32 s28, s3
	s_cbranch_execz .LBB130_90
; %bb.89:                               ;   in Loop: Header=BB130_5 Depth=1
	v_add_co_u32 v27, vcc_lo, v239, v3
	v_add_co_ci_u32_e32 v28, vcc_lo, v240, v4, vcc_lo
	v_add_co_u32 v32, vcc_lo, v241, v3
	v_add_co_ci_u32_e32 v33, vcc_lo, v242, v4, vcc_lo
	global_load_b64 v[27:28], v[27:28], off
	global_load_b64 v[33:34], v[32:33], off
.LBB130_90:                             ;   in Loop: Header=BB130_5 Depth=1
	s_or_b32 exec_lo, exec_lo, s28
	v_mov_b32_e32 v35, 0
	v_mov_b32_e32 v36, 0
	s_delay_alu instid0(VALU_DEP_1)
	v_dual_mov_b32 v38, v36 :: v_dual_mov_b32 v37, v35
	v_dual_mov_b32 v40, v36 :: v_dual_mov_b32 v39, v35
	s_and_saveexec_b32 s28, s3
	s_cbranch_execz .LBB130_92
; %bb.91:                               ;   in Loop: Header=BB130_5 Depth=1
	v_add_co_u32 v37, vcc_lo, v235, v3
	v_add_co_ci_u32_e32 v38, vcc_lo, v236, v4, vcc_lo
	v_add_co_u32 v39, vcc_lo, v237, v3
	v_add_co_ci_u32_e32 v40, vcc_lo, v238, v4, vcc_lo
	global_load_b64 v[37:38], v[37:38], off
	global_load_b64 v[39:40], v[39:40], off
.LBB130_92:                             ;   in Loop: Header=BB130_5 Depth=1
	s_or_b32 exec_lo, exec_lo, s28
	v_dual_mov_b32 v42, v36 :: v_dual_mov_b32 v41, v35
	s_and_saveexec_b32 s28, s3
	s_cbranch_execz .LBB130_94
; %bb.93:                               ;   in Loop: Header=BB130_5 Depth=1
	v_add_co_u32 v35, vcc_lo, v231, v3
	v_add_co_ci_u32_e32 v36, vcc_lo, v232, v4, vcc_lo
	v_add_co_u32 v41, vcc_lo, v233, v3
	v_add_co_ci_u32_e32 v42, vcc_lo, v234, v4, vcc_lo
	global_load_b64 v[35:36], v[35:36], off
	global_load_b64 v[41:42], v[41:42], off
.LBB130_94:                             ;   in Loop: Header=BB130_5 Depth=1
	;; [unrolled: 28-line block ×3, first 2 shown]
	s_or_b32 exec_lo, exec_lo, s28
	v_mov_b32_e32 v51, 0
	v_mov_b32_e32 v52, 0
	s_delay_alu instid0(VALU_DEP_1)
	v_dual_mov_b32 v54, v52 :: v_dual_mov_b32 v53, v51
	v_dual_mov_b32 v56, v52 :: v_dual_mov_b32 v55, v51
	s_and_saveexec_b32 s28, s3
	s_cbranch_execz .LBB130_100
; %bb.99:                               ;   in Loop: Header=BB130_5 Depth=1
	v_add_co_u32 v53, vcc_lo, v219, v3
	v_add_co_ci_u32_e32 v54, vcc_lo, v220, v4, vcc_lo
	v_add_co_u32 v55, vcc_lo, v221, v3
	v_add_co_ci_u32_e32 v56, vcc_lo, v222, v4, vcc_lo
	global_load_b64 v[53:54], v[53:54], off
	global_load_b64 v[55:56], v[55:56], off
.LBB130_100:                            ;   in Loop: Header=BB130_5 Depth=1
	s_or_b32 exec_lo, exec_lo, s28
	v_dual_mov_b32 v58, v52 :: v_dual_mov_b32 v57, v51
	s_and_saveexec_b32 s28, s3
	s_cbranch_execz .LBB130_102
; %bb.101:                              ;   in Loop: Header=BB130_5 Depth=1
	v_add_co_u32 v51, vcc_lo, v215, v3
	v_add_co_ci_u32_e32 v52, vcc_lo, v216, v4, vcc_lo
	v_add_co_u32 v57, vcc_lo, v217, v3
	v_add_co_ci_u32_e32 v58, vcc_lo, v218, v4, vcc_lo
	global_load_b64 v[51:52], v[51:52], off
	global_load_b64 v[57:58], v[57:58], off
.LBB130_102:                            ;   in Loop: Header=BB130_5 Depth=1
	s_or_b32 exec_lo, exec_lo, s28
	v_mov_b32_e32 v59, 0
	v_mov_b32_e32 v60, 0
	s_delay_alu instid0(VALU_DEP_1)
	v_dual_mov_b32 v62, v60 :: v_dual_mov_b32 v61, v59
	v_dual_mov_b32 v64, v60 :: v_dual_mov_b32 v63, v59
	s_and_saveexec_b32 s28, s3
	s_cbranch_execz .LBB130_104
; %bb.103:                              ;   in Loop: Header=BB130_5 Depth=1
	v_add_co_u32 v61, vcc_lo, v211, v3
	v_add_co_ci_u32_e32 v62, vcc_lo, v212, v4, vcc_lo
	v_add_co_u32 v63, vcc_lo, v213, v3
	v_add_co_ci_u32_e32 v64, vcc_lo, v214, v4, vcc_lo
	global_load_b64 v[61:62], v[61:62], off
	global_load_b64 v[63:64], v[63:64], off
.LBB130_104:                            ;   in Loop: Header=BB130_5 Depth=1
	s_or_b32 exec_lo, exec_lo, s28
	v_dual_mov_b32 v66, v60 :: v_dual_mov_b32 v65, v59
	s_and_saveexec_b32 s28, s3
	s_cbranch_execz .LBB130_106
; %bb.105:                              ;   in Loop: Header=BB130_5 Depth=1
	v_add_co_u32 v59, vcc_lo, v207, v3
	v_add_co_ci_u32_e32 v60, vcc_lo, v208, v4, vcc_lo
	v_add_co_u32 v65, vcc_lo, v209, v3
	v_add_co_ci_u32_e32 v66, vcc_lo, v210, v4, vcc_lo
	global_load_b64 v[59:60], v[59:60], off
	global_load_b64 v[65:66], v[65:66], off
.LBB130_106:                            ;   in Loop: Header=BB130_5 Depth=1
	s_or_b32 exec_lo, exec_lo, s28
	v_mov_b32_e32 v67, 0
	v_mov_b32_e32 v68, 0
	s_delay_alu instid0(VALU_DEP_1)
	v_dual_mov_b32 v70, v68 :: v_dual_mov_b32 v69, v67
	v_dual_mov_b32 v72, v68 :: v_dual_mov_b32 v71, v67
	s_and_saveexec_b32 s28, s3
	s_cbranch_execz .LBB130_108
; %bb.107:                              ;   in Loop: Header=BB130_5 Depth=1
	v_add_co_u32 v69, vcc_lo, v203, v3
	v_add_co_ci_u32_e32 v70, vcc_lo, v204, v4, vcc_lo
	v_add_co_u32 v71, vcc_lo, v205, v3
	v_add_co_ci_u32_e32 v72, vcc_lo, v206, v4, vcc_lo
	global_load_b64 v[69:70], v[69:70], off
	global_load_b64 v[71:72], v[71:72], off
.LBB130_108:                            ;   in Loop: Header=BB130_5 Depth=1
	;; [unrolled: 28-line block ×9, first 2 shown]
	s_or_b32 exec_lo, exec_lo, s28
	v_dual_mov_b32 v134, v128 :: v_dual_mov_b32 v133, v127
	s_and_saveexec_b32 s28, s3
	s_cbranch_execz .LBB130_138
; %bb.137:                              ;   in Loop: Header=BB130_5 Depth=1
	v_add_co_u32 v77, vcc_lo, v143, v3
	v_add_co_ci_u32_e32 v78, vcc_lo, v144, v4, vcc_lo
	v_add_co_u32 v133, vcc_lo, v145, v3
	v_add_co_ci_u32_e32 v134, vcc_lo, v146, v4, vcc_lo
	global_load_b64 v[127:128], v[77:78], off
	global_load_b64 v[133:134], v[133:134], off
.LBB130_138:                            ;   in Loop: Header=BB130_5 Depth=1
	s_or_b32 exec_lo, exec_lo, s28
	v_mov_b32_e32 v77, 0
	v_mov_b32_e32 v78, 0
	s_and_saveexec_b32 s28, s3
	s_cbranch_execz .LBB130_3
; %bb.139:                              ;   in Loop: Header=BB130_5 Depth=1
	v_add_co_u32 v77, vcc_lo, v1, v3
	v_add_co_ci_u32_e32 v78, vcc_lo, v140, v4, vcc_lo
	s_waitcnt vmcnt(0)
	v_dual_mov_b32 v13, v21 :: v_dual_mov_b32 v14, v22
	v_add_co_u32 v21, vcc_lo, v141, v3
	v_add_co_ci_u32_e32 v22, vcc_lo, v142, v4, vcc_lo
	global_load_b64 v[77:78], v[77:78], off
	global_load_b64 v[21:22], v[21:22], off
	s_waitcnt vmcnt(0)
	v_mul_f64 v[77:78], v[77:78], v[21:22]
	v_dual_mov_b32 v22, v14 :: v_dual_mov_b32 v21, v13
	s_branch .LBB130_3
.LBB130_140:
                                        ; implicit-def: $vgpr125_vgpr126
	s_load_b64 s[4:5], s[0:1], 0x30
	s_branch .LBB130_143
.LBB130_141:
	scratch_load_b32 v0, off, off offset:572 ; 4-byte Folded Reload
.LBB130_142:
	s_load_b64 s[4:5], s[0:1], 0x30
	s_cbranch_execnz .LBB130_219
.LBB130_143:
	v_mov_b32_e32 v125, 0
	v_mov_b32_e32 v126, 0
	s_and_not1_b32 vcc_lo, exec_lo, s26
	s_cbranch_vccnz .LBB130_219
; %bb.144:
	s_waitcnt vmcnt(0)
	v_bfe_u32 v7, v0, 10, 10
	s_add_u32 s10, s0, 64
	s_addc_u32 s11, s1, 0
	s_lshl_b64 s[12:13], s[8:9], 3
	s_delay_alu instid0(VALU_DEP_1) | instskip(SKIP_2) | instid1(VALU_DEP_1)
	v_dual_mov_b32 v194, v0 :: v_dual_lshlrev_b32 v1, 8, v7
	scratch_store_b32 off, v194, off offset:572 ; 4-byte Folded Spill
	v_add_co_u32 v121, s3, v1, s12
	v_add_co_ci_u32_e64 v122, null, 0, s13, s3
	s_delay_alu instid0(VALU_DEP_2) | instskip(NEXT) | instid1(VALU_DEP_2)
	v_add_co_u32 v11, vcc_lo, v121, 8
	v_add_co_ci_u32_e32 v6, vcc_lo, 0, v122, vcc_lo
	v_add_co_u32 v15, vcc_lo, v121, 16
	v_add_co_ci_u32_e32 v5, vcc_lo, 0, v122, vcc_lo
	;; [unrolled: 2-line block ×4, first 2 shown]
	s_delay_alu instid0(VALU_DEP_3)
	v_mul_lo_u32 v22, s18, v0
	v_lshlrev_b32_e32 v0, 5, v7
	scratch_store_b32 off, v7, off offset:564 ; 4-byte Folded Spill
	v_add_co_u32 v25, vcc_lo, v121, 40
	v_mad_u64_u32 v[1:2], null, s18, v11, s[20:21]
	scratch_store_b32 off, v0, off          ; 4-byte Folded Spill
	v_add_co_u32 v0, s3, v0, s8
	s_delay_alu instid0(VALU_DEP_1) | instskip(SKIP_1) | instid1(VALU_DEP_3)
	v_add_co_ci_u32_e64 v133, null, 0, 0, s3
	v_mul_lo_u32 v17, s19, v11
	v_mul_lo_u32 v14, s19, v0
	v_mad_u64_u32 v[125:126], null, s18, v0, 0
	s_delay_alu instid0(VALU_DEP_4)
	v_mul_lo_u32 v16, s18, v133
	v_mul_lo_u32 v18, s18, v6
	v_add_co_ci_u32_e32 v13, vcc_lo, 0, v122, vcc_lo
	v_mul_lo_u32 v26, s18, v9
	v_mad_u64_u32 v[9:10], null, s18, v11, s[22:23]
	v_mad_u64_u32 v[3:4], null, s18, v15, s[20:21]
	v_mul_lo_u32 v20, s18, v5
	v_mul_lo_u32 v21, s19, v15
	v_mad_u64_u32 v[5:6], null, s18, v19, s[20:21]
	v_mul_lo_u32 v23, s19, v19
	v_mul_lo_u32 v28, s18, v13
	v_add3_u32 v126, v126, v16, v14
	v_mad_u64_u32 v[13:14], null, s18, v15, s[22:23]
	v_mad_u64_u32 v[15:16], null, s18, v19, s[22:23]
	v_add3_u32 v2, v17, v2, v18
	v_mad_u64_u32 v[7:8], null, s18, v24, s[20:21]
	v_mul_lo_u32 v27, s19, v24
	v_add3_u32 v10, v17, v10, v18
	v_mad_u64_u32 v[17:18], null, s18, v24, s[22:23]
	v_add_co_u32 v30, vcc_lo, v121, 48
	v_add3_u32 v4, v21, v4, v20
	v_add3_u32 v6, v23, v6, v22
	v_mad_u64_u32 v[11:12], null, s18, v25, s[20:21]
	v_mul_lo_u32 v29, s19, v25
	v_add_co_ci_u32_e32 v31, vcc_lo, 0, v122, vcc_lo
	v_add3_u32 v14, v21, v14, v20
	v_add3_u32 v16, v23, v16, v22
	v_mad_u64_u32 v[21:22], null, s18, v25, s[22:23]
	v_mad_u64_u32 v[19:20], null, s18, v30, s[20:21]
	v_mul_lo_u32 v32, s19, v30
	v_mad_u64_u32 v[23:24], null, s18, v30, s[22:23]
	v_add_co_u32 v30, vcc_lo, v121, 56
	v_add3_u32 v8, v27, v8, v26
	v_add3_u32 v18, v27, v18, v26
	v_add_co_ci_u32_e32 v27, vcc_lo, 0, v122, vcc_lo
	v_add3_u32 v12, v29, v12, v28
	v_add3_u32 v22, v29, v22, v28
	v_mad_u64_u32 v[25:26], null, s18, v30, s[20:21]
	s_delay_alu instid0(VALU_DEP_4)
	v_mul_lo_u32 v29, s18, v27
	v_mul_lo_u32 v33, s19, v30
	v_mad_u64_u32 v[27:28], null, s18, v30, s[22:23]
	v_add_co_u32 v34, vcc_lo, v121, 64
	v_mul_lo_u32 v31, s18, v31
	v_add_co_ci_u32_e32 v30, vcc_lo, 0, v122, vcc_lo
	v_add_co_u32 v39, vcc_lo, 0x48, v121
	v_add3_u32 v26, v33, v26, v29
	v_add3_u32 v28, v33, v28, v29
	v_add_co_ci_u32_e32 v33, vcc_lo, 0, v122, vcc_lo
	v_add3_u32 v20, v32, v20, v31
	v_add3_u32 v24, v32, v24, v31
	v_mul_lo_u32 v37, s18, v30
	v_mul_lo_u32 v38, s19, v34
	v_mad_u64_u32 v[29:30], null, s18, v34, s[20:21]
	v_mad_u64_u32 v[31:32], null, s18, v34, s[22:23]
	v_mul_lo_u32 v40, s18, v33
	v_mul_lo_u32 v41, s19, v39
	v_mad_u64_u32 v[33:34], null, s18, v39, s[20:21]
	v_mad_u64_u32 v[35:36], null, s18, v39, s[22:23]
	v_add_co_u32 v42, vcc_lo, 0x50, v121
	v_add_co_ci_u32_e32 v39, vcc_lo, 0, v122, vcc_lo
	v_add_co_u32 v47, vcc_lo, 0x58, v121
	v_add3_u32 v34, v41, v34, v40
	v_add3_u32 v36, v41, v36, v40
	v_add_co_ci_u32_e32 v41, vcc_lo, 0, v122, vcc_lo
	v_add3_u32 v30, v38, v30, v37
	v_add3_u32 v32, v38, v32, v37
	v_mul_lo_u32 v45, s18, v39
	v_mul_lo_u32 v46, s19, v42
	v_mad_u64_u32 v[37:38], null, s18, v42, s[20:21]
	v_mad_u64_u32 v[39:40], null, s18, v42, s[22:23]
	v_mul_lo_u32 v48, s18, v41
	v_mul_lo_u32 v49, s19, v47
	v_mad_u64_u32 v[41:42], null, s18, v47, s[20:21]
	v_mad_u64_u32 v[43:44], null, s18, v47, s[22:23]
	v_add_co_u32 v50, vcc_lo, 0x60, v121
	;; [unrolled: 16-line block ×3, first 2 shown]
	v_add_co_ci_u32_e32 v55, vcc_lo, 0, v122, vcc_lo
	v_add3_u32 v46, v54, v46, v53
	v_add3_u32 v48, v54, v48, v53
	;; [unrolled: 1-line block ×4, first 2 shown]
	v_mul_lo_u32 v57, s18, v55
	v_mul_lo_u32 v59, s19, v58
	v_mad_u64_u32 v[53:54], null, s18, v58, s[20:21]
	v_mad_u64_u32 v[55:56], null, s18, v58, s[22:23]
	v_add_co_u32 v61, vcc_lo, 0x78, v121
	s_load_b32 s3, s[0:1], 0x44
	s_delay_alu instid0(VALU_DEP_3) | instskip(NEXT) | instid1(VALU_DEP_2)
	v_add3_u32 v54, v59, v54, v57
	v_mul_lo_u32 v63, s19, v61
	s_delay_alu instid0(VALU_DEP_4) | instskip(SKIP_3) | instid1(VALU_DEP_3)
	v_add3_u32 v56, v59, v56, v57
	v_add_co_ci_u32_e32 v57, vcc_lo, 0, v122, vcc_lo
	v_mad_u64_u32 v[59:60], null, s18, v61, s[22:23]
	v_add_co_u32 v65, vcc_lo, 0x80, v121
	v_mul_lo_u32 v62, s18, v57
	v_mad_u64_u32 v[57:58], null, s18, v61, s[20:21]
	v_add_co_ci_u32_e32 v61, vcc_lo, 0, v122, vcc_lo
	s_delay_alu instid0(VALU_DEP_4)
	v_mul_lo_u32 v67, s19, v65
	v_add_co_u32 v69, vcc_lo, 0x88, v121
	v_add3_u32 v60, v63, v60, v62
	v_add3_u32 v58, v63, v58, v62
	v_mul_lo_u32 v66, s18, v61
	v_mad_u64_u32 v[61:62], null, s18, v65, s[20:21]
	v_mad_u64_u32 v[63:64], null, s18, v65, s[22:23]
	v_add_co_ci_u32_e32 v65, vcc_lo, 0, v122, vcc_lo
	v_mul_lo_u32 v71, s19, v69
	v_add_co_u32 v73, vcc_lo, 0x90, v121
	v_add3_u32 v62, v67, v62, v66
	v_add3_u32 v64, v67, v64, v66
	v_mul_lo_u32 v70, s18, v65
	v_mad_u64_u32 v[65:66], null, s18, v69, s[20:21]
	v_mad_u64_u32 v[67:68], null, s18, v69, s[22:23]
	v_add_co_ci_u32_e32 v69, vcc_lo, 0, v122, vcc_lo
	;; [unrolled: 8-line block ×14, first 2 shown]
	v_mul_lo_u32 v127, s19, v123
	s_waitcnt lgkmcnt(0)
	s_lshl_b32 s3, s3, 5
	s_delay_alu instid0(VALU_DEP_4)
	v_add3_u32 v114, v119, v114, v118
	v_mul_lo_u32 v124, s18, v117
	v_add3_u32 v116, v119, v116, v118
	v_mad_u64_u32 v[117:118], null, s18, v123, s[20:21]
	v_mad_u64_u32 v[119:120], null, s18, v123, s[22:23]
	s_mul_i32 s12, s19, s3
	s_mul_hi_u32 s13, s18, s3
	s_delay_alu instid0(SALU_CYCLE_1) | instskip(NEXT) | instid1(VALU_DEP_2)
	s_add_i32 s13, s13, s12
	v_add3_u32 v118, v127, v118, v124
	s_mul_i32 s12, s18, s3
	s_delay_alu instid0(VALU_DEP_2) | instskip(SKIP_3) | instid1(VALU_DEP_2)
	v_add3_u32 v120, v127, v120, v124
	v_add_co_u32 v127, vcc_lo, 0xf8, v121
	v_add_co_ci_u32_e32 v121, vcc_lo, 0, v122, vcc_lo
	s_lshl_b64 s[12:13], s[12:13], 3
	v_mul_lo_u32 v129, s19, v127
	v_mad_u64_u32 v[123:124], null, s18, v127, s[22:23]
	s_delay_alu instid0(VALU_DEP_3) | instskip(SKIP_1) | instid1(VALU_DEP_2)
	v_mul_lo_u32 v128, s18, v121
	v_mad_u64_u32 v[121:122], null, s18, v127, s[20:21]
	v_add3_u32 v124, v129, v124, v128
	s_delay_alu instid0(VALU_DEP_2) | instskip(SKIP_2) | instid1(VALU_DEP_2)
	v_add3_u32 v122, v129, v122, v128
	v_add_co_u32 v129, vcc_lo, v0, 31
	v_add_co_ci_u32_e32 v127, vcc_lo, 0, v133, vcc_lo
	v_mul_lo_u32 v131, s19, v129
	s_delay_alu instid0(VALU_DEP_2) | instskip(SKIP_1) | instid1(VALU_DEP_1)
	v_mul_lo_u32 v130, s18, v127
	v_mad_u64_u32 v[127:128], null, s18, v129, 0
	v_add3_u32 v128, v128, v130, v131
	v_add_co_u32 v131, vcc_lo, v0, 30
	v_add_co_ci_u32_e32 v129, vcc_lo, 0, v133, vcc_lo
	s_delay_alu instid0(VALU_DEP_2) | instskip(NEXT) | instid1(VALU_DEP_2)
	v_mul_lo_u32 v134, s19, v131
	v_mul_lo_u32 v132, s18, v129
	v_mad_u64_u32 v[129:130], null, s18, v131, 0
	s_delay_alu instid0(VALU_DEP_1) | instskip(SKIP_2) | instid1(VALU_DEP_2)
	v_add3_u32 v130, v130, v132, v134
	v_add_co_u32 v134, vcc_lo, v0, 29
	v_add_co_ci_u32_e32 v131, vcc_lo, 0, v133, vcc_lo
	v_mul_lo_u32 v136, s19, v134
	s_delay_alu instid0(VALU_DEP_2) | instskip(SKIP_1) | instid1(VALU_DEP_1)
	v_mul_lo_u32 v135, s18, v131
	v_mad_u64_u32 v[131:132], null, s18, v134, 0
	v_add3_u32 v132, v132, v135, v136
	v_add_co_u32 v136, vcc_lo, v0, 28
	v_add_co_ci_u32_e32 v134, vcc_lo, 0, v133, vcc_lo
	s_delay_alu instid0(VALU_DEP_2) | instskip(NEXT) | instid1(VALU_DEP_2)
	v_mul_lo_u32 v138, s19, v136
	v_mul_lo_u32 v137, s18, v134
	v_mad_u64_u32 v[134:135], null, s18, v136, 0
	s_delay_alu instid0(VALU_DEP_1) | instskip(SKIP_2) | instid1(VALU_DEP_2)
	v_add3_u32 v135, v135, v137, v138
	v_add_co_u32 v138, vcc_lo, v0, 27
	v_add_co_ci_u32_e32 v136, vcc_lo, 0, v133, vcc_lo
	v_mul_lo_u32 v140, s19, v138
	s_delay_alu instid0(VALU_DEP_2) | instskip(SKIP_1) | instid1(VALU_DEP_1)
	v_mul_lo_u32 v139, s18, v136
	v_mad_u64_u32 v[136:137], null, s18, v138, 0
	v_add3_u32 v137, v137, v139, v140
	v_add_co_u32 v140, vcc_lo, v0, 26
	v_add_co_ci_u32_e32 v138, vcc_lo, 0, v133, vcc_lo
	s_delay_alu instid0(VALU_DEP_2) | instskip(NEXT) | instid1(VALU_DEP_2)
	v_mul_lo_u32 v142, s19, v140
	v_mul_lo_u32 v141, s18, v138
	v_mad_u64_u32 v[138:139], null, s18, v140, 0
	v_add_co_u32 v140, vcc_lo, v0, 25
	s_delay_alu instid0(VALU_DEP_1) | instskip(NEXT) | instid1(VALU_DEP_3)
	v_mad_u64_u32 v[144:145], null, s18, v140, 0
	v_add3_u32 v139, v139, v141, v142
	v_add_co_ci_u32_e32 v141, vcc_lo, 0, v133, vcc_lo
	v_mul_lo_u32 v142, s19, v140
	v_add_co_u32 v140, vcc_lo, v0, 24
	s_delay_alu instid0(VALU_DEP_3) | instskip(NEXT) | instid1(VALU_DEP_2)
	v_mul_lo_u32 v141, s18, v141
	v_mad_u64_u32 v[146:147], null, s18, v140, 0
	s_delay_alu instid0(VALU_DEP_2) | instskip(SKIP_3) | instid1(VALU_DEP_3)
	v_add3_u32 v145, v145, v141, v142
	v_add_co_ci_u32_e32 v141, vcc_lo, 0, v133, vcc_lo
	v_mul_lo_u32 v142, s19, v140
	v_add_co_u32 v140, vcc_lo, v0, 23
	v_mul_lo_u32 v141, s18, v141
	s_delay_alu instid0(VALU_DEP_2) | instskip(NEXT) | instid1(VALU_DEP_2)
	v_mad_u64_u32 v[148:149], null, s18, v140, 0
	v_add3_u32 v147, v147, v141, v142
	v_add_co_ci_u32_e32 v141, vcc_lo, 0, v133, vcc_lo
	v_mul_lo_u32 v142, s19, v140
	v_add_co_u32 v140, vcc_lo, v0, 22
	s_delay_alu instid0(VALU_DEP_3) | instskip(NEXT) | instid1(VALU_DEP_2)
	v_mul_lo_u32 v141, s18, v141
	v_mad_u64_u32 v[150:151], null, s18, v140, 0
	s_delay_alu instid0(VALU_DEP_2) | instskip(SKIP_3) | instid1(VALU_DEP_3)
	v_add3_u32 v149, v149, v141, v142
	v_add_co_ci_u32_e32 v141, vcc_lo, 0, v133, vcc_lo
	v_mul_lo_u32 v142, s19, v140
	v_add_co_u32 v140, vcc_lo, v0, 21
	v_mul_lo_u32 v141, s18, v141
	s_delay_alu instid0(VALU_DEP_2) | instskip(NEXT) | instid1(VALU_DEP_2)
	;; [unrolled: 15-line block ×11, first 2 shown]
	v_mad_u64_u32 v[188:189], null, s18, v140, 0
	v_add3_u32 v187, v187, v141, v142
	v_add_co_ci_u32_e32 v141, vcc_lo, 0, v133, vcc_lo
	v_add_co_u32 v0, vcc_lo, v0, 2
	v_add_co_ci_u32_e32 v133, vcc_lo, 0, v133, vcc_lo
	v_mul_lo_u32 v142, s19, v140
	s_delay_alu instid0(VALU_DEP_3) | instskip(SKIP_1) | instid1(VALU_DEP_4)
	v_mul_lo_u32 v140, s19, v0
	v_mad_u64_u32 v[190:191], null, s18, v0, 0
	v_mul_lo_u32 v133, s18, v133
	v_add_co_u32 v192, vcc_lo, v125, s18
	v_mul_lo_u32 v141, s18, v141
	v_add_co_ci_u32_e32 v193, vcc_lo, s19, v126, vcc_lo
	v_lshlrev_b64 v[125:126], 3, v[125:126]
	v_add3_u32 v191, v191, v133, v140
	s_delay_alu instid0(VALU_DEP_4) | instskip(NEXT) | instid1(VALU_DEP_3)
	v_add3_u32 v189, v189, v141, v142
	v_add_co_u32 v140, vcc_lo, s20, v125
	s_delay_alu instid0(VALU_DEP_4) | instskip(SKIP_4) | instid1(VALU_DEP_2)
	v_add_co_ci_u32_e32 v141, vcc_lo, s21, v126, vcc_lo
	v_add_co_u32 v142, vcc_lo, s22, v125
	v_add_co_ci_u32_e32 v143, vcc_lo, s23, v126, vcc_lo
	v_lshlrev_b64 v[125:126], 3, v[127:128]
	v_mov_b32_e32 v127, 0
	v_add_co_u32 v0, vcc_lo, s20, v125
	scratch_store_b32 off, v0, off offset:8 ; 4-byte Folded Spill
	v_add_co_ci_u32_e32 v0, vcc_lo, s21, v126, vcc_lo
	scratch_store_b32 off, v0, off offset:16 ; 4-byte Folded Spill
	v_add_co_u32 v0, vcc_lo, s22, v125
	scratch_store_b32 off, v0, off offset:24 ; 4-byte Folded Spill
	v_add_co_ci_u32_e32 v0, vcc_lo, s23, v126, vcc_lo
	v_lshlrev_b64 v[125:126], 3, v[129:130]
	scratch_store_b32 off, v0, off offset:32 ; 4-byte Folded Spill
	v_add_co_u32 v0, vcc_lo, s20, v125
	scratch_store_b32 off, v0, off offset:40 ; 4-byte Folded Spill
	v_add_co_ci_u32_e32 v0, vcc_lo, s21, v126, vcc_lo
	scratch_store_b32 off, v0, off offset:48 ; 4-byte Folded Spill
	v_add_co_u32 v0, vcc_lo, s22, v125
	scratch_store_b32 off, v0, off offset:52 ; 4-byte Folded Spill
	v_add_co_ci_u32_e32 v0, vcc_lo, s23, v126, vcc_lo
	v_lshlrev_b64 v[125:126], 3, v[131:132]
	scratch_store_b32 off, v0, off offset:56 ; 4-byte Folded Spill
	;; [unrolled: 9-line block ×22, first 2 shown]
	v_add_co_u32 v196, vcc_lo, s20, v125
	v_add_co_ci_u32_e32 v152, vcc_lo, s21, v126, vcc_lo
	v_add_co_u32 v153, vcc_lo, s22, v125
	v_add_co_ci_u32_e32 v156, vcc_lo, s23, v126, vcc_lo
	v_lshlrev_b64 v[125:126], 3, v[178:179]
	s_delay_alu instid0(VALU_DEP_1) | instskip(NEXT) | instid1(VALU_DEP_2)
	v_add_co_u32 v157, vcc_lo, s20, v125
	v_add_co_ci_u32_e32 v158, vcc_lo, s21, v126, vcc_lo
	v_add_co_u32 v159, vcc_lo, s22, v125
	v_add_co_ci_u32_e32 v160, vcc_lo, s23, v126, vcc_lo
	v_lshlrev_b64 v[125:126], 3, v[180:181]
	s_delay_alu instid0(VALU_DEP_1) | instskip(NEXT) | instid1(VALU_DEP_2)
	;; [unrolled: 6-line block ×7, first 2 shown]
	v_add_co_u32 v183, vcc_lo, s20, v125
	v_add_co_ci_u32_e32 v184, vcc_lo, s21, v126, vcc_lo
	v_add_co_u32 v185, vcc_lo, s22, v125
	v_add_co_ci_u32_e32 v188, vcc_lo, s23, v126, vcc_lo
	v_lshlrev_b64 v[125:126], 3, v[192:193]
	v_mov_b32_e32 v193, v127
	s_delay_alu instid0(VALU_DEP_2) | instskip(NEXT) | instid1(VALU_DEP_3)
	v_add_co_u32 v189, vcc_lo, s20, v125
	v_add_co_ci_u32_e32 v190, vcc_lo, s21, v126, vcc_lo
	v_add_co_u32 v191, vcc_lo, s22, v125
	v_and_b32_e32 v125, 0x3ff, v194
	v_add_co_ci_u32_e32 v192, vcc_lo, s23, v126, vcc_lo
	s_mov_b64 s[20:21], 31
	s_mov_b64 s[22:23], s[8:9]
	s_delay_alu instid0(VALU_DEP_2)
	v_add_nc_u32_e32 v126, s15, v125
	scratch_store_b32 off, v125, off offset:568 ; 4-byte Folded Spill
	v_lshlrev_b64 v[128:129], 3, v[126:127]
	v_mov_b32_e32 v125, 0
	v_mov_b32_e32 v126, 0
	s_branch .LBB130_147
.LBB130_145:                            ;   in Loop: Header=BB130_147 Depth=1
	s_or_b32 exec_lo, exec_lo, s9
	v_add_co_u32 v130, vcc_lo, v140, v128
	v_add_co_ci_u32_e32 v131, vcc_lo, v141, v129, vcc_lo
	v_add_co_u32 v132, vcc_lo, v142, v128
	v_add_co_ci_u32_e32 v133, vcc_lo, v143, v129, vcc_lo
	global_load_b64 v[130:131], v[130:131], off
	global_load_b64 v[132:133], v[132:133], off
	scratch_load_b64 v[134:135], off, off offset:380 ; 8-byte Folded Reload
	s_waitcnt vmcnt(1)
	v_mul_f64 v[130:131], v[130:131], v[132:133]
	ds_bpermute_b32 v132, v127, v125
	ds_bpermute_b32 v133, v127, v126
	s_waitcnt vmcnt(0) lgkmcnt(0)
	v_fma_f64 v[130:131], v[130:131], v[132:133], v[134:135]
	v_add_co_u32 v132, vcc_lo, v1, v128
	v_add_co_ci_u32_e32 v133, vcc_lo, v2, v129, vcc_lo
	v_add_co_u32 v134, vcc_lo, v9, v128
	v_add_co_ci_u32_e32 v135, vcc_lo, v10, v129, vcc_lo
	global_load_b64 v[132:133], v[132:133], off
	global_load_b64 v[134:135], v[134:135], off
	s_waitcnt vmcnt(0)
	v_mul_f64 v[132:133], v[132:133], v[134:135]
	ds_bpermute_b32 v134, v127, v125 offset:4
	ds_bpermute_b32 v135, v127, v126 offset:4
	s_waitcnt lgkmcnt(0)
	v_fma_f64 v[130:131], v[132:133], v[134:135], v[130:131]
	v_add_co_u32 v132, vcc_lo, v3, v128
	v_add_co_ci_u32_e32 v133, vcc_lo, v4, v129, vcc_lo
	v_add_co_u32 v134, vcc_lo, v13, v128
	v_add_co_ci_u32_e32 v135, vcc_lo, v14, v129, vcc_lo
	global_load_b64 v[132:133], v[132:133], off
	global_load_b64 v[134:135], v[134:135], off
	s_waitcnt vmcnt(0)
	v_mul_f64 v[132:133], v[132:133], v[134:135]
	ds_bpermute_b32 v134, v127, v125 offset:8
	ds_bpermute_b32 v135, v127, v126 offset:8
	s_waitcnt lgkmcnt(0)
	;; [unrolled: 12-line block ×29, first 2 shown]
	v_fma_f64 v[130:131], v[132:133], v[134:135], v[130:131]
	v_add_co_u32 v132, vcc_lo, v117, v128
	v_add_co_ci_u32_e32 v133, vcc_lo, v118, v129, vcc_lo
	v_add_co_u32 v134, vcc_lo, v119, v128
	v_add_co_ci_u32_e32 v135, vcc_lo, v120, v129, vcc_lo
	global_load_b64 v[132:133], v[132:133], off
	global_load_b64 v[134:135], v[134:135], off
	s_waitcnt vmcnt(0)
	v_mul_f64 v[132:133], v[132:133], v[134:135]
	ds_bpermute_b32 v134, v127, v125 offset:120
	ds_bpermute_b32 v135, v127, v126 offset:120
	;; [unrolled: 1-line block ×4, first 2 shown]
	s_waitcnt lgkmcnt(2)
	v_fma_f64 v[130:131], v[132:133], v[134:135], v[130:131]
	v_add_co_u32 v132, vcc_lo, v121, v128
	v_add_co_ci_u32_e32 v133, vcc_lo, v122, v129, vcc_lo
	v_add_co_u32 v134, vcc_lo, v123, v128
	v_add_co_ci_u32_e32 v135, vcc_lo, v124, v129, vcc_lo
	global_load_b64 v[132:133], v[132:133], off
	global_load_b64 v[134:135], v[134:135], off
	s_waitcnt vmcnt(0)
	v_mul_f64 v[132:133], v[132:133], v[134:135]
	s_waitcnt lgkmcnt(0)
	s_delay_alu instid0(VALU_DEP_1)
	v_fma_f64 v[125:126], v[132:133], v[125:126], v[130:131]
.LBB130_146:                            ;   in Loop: Header=BB130_147 Depth=1
	scratch_load_b32 v130, off, off         ; 4-byte Folded Reload
	v_add_co_u32 v1, vcc_lo, v1, s12
	v_add_co_ci_u32_e32 v2, vcc_lo, s13, v2, vcc_lo
	v_add_co_u32 v3, vcc_lo, v3, s12
	v_add_co_ci_u32_e32 v4, vcc_lo, s13, v4, vcc_lo
	;; [unrolled: 2-line block ×64, first 2 shown]
	s_add_u32 s22, s22, s3
	s_addc_u32 s23, s23, 0
	s_add_u32 s20, s20, s3
	v_cmp_ge_i64_e64 s9, s[22:23], s[16:17]
	s_addc_u32 s21, s21, 0
	s_waitcnt vmcnt(0)
	v_add_co_u32 v130, vcc_lo, v130, s3
	v_add_co_ci_u32_e32 v193, vcc_lo, 0, v193, vcc_lo
	scratch_store_b32 off, v130, off        ; 4-byte Folded Spill
	scratch_load_b32 v130, off, off offset:8 ; 4-byte Folded Reload
	s_waitcnt vmcnt(0)
	v_add_co_u32 v130, vcc_lo, v130, s12
	scratch_store_b32 off, v130, off offset:8 ; 4-byte Folded Spill
	scratch_load_b32 v130, off, off offset:16 ; 4-byte Folded Reload
	s_waitcnt vmcnt(0)
	v_add_co_ci_u32_e32 v130, vcc_lo, s13, v130, vcc_lo
	scratch_store_b32 off, v130, off offset:16 ; 4-byte Folded Spill
	scratch_load_b32 v130, off, off offset:24 ; 4-byte Folded Reload
	s_waitcnt vmcnt(0)
	v_add_co_u32 v130, vcc_lo, v130, s12
	scratch_store_b32 off, v130, off offset:24 ; 4-byte Folded Spill
	scratch_load_b32 v130, off, off offset:32 ; 4-byte Folded Reload
	s_waitcnt vmcnt(0)
	v_add_co_ci_u32_e32 v130, vcc_lo, s13, v130, vcc_lo
	scratch_store_b32 off, v130, off offset:32 ; 4-byte Folded Spill
	;; [unrolled: 8-line block ×43, first 2 shown]
	scratch_load_b32 v130, off, off offset:372 ; 4-byte Folded Reload
	s_waitcnt vmcnt(0)
	v_add_co_u32 v130, vcc_lo, v130, s12
	scratch_store_b32 off, v130, off offset:372 ; 4-byte Folded Spill
	scratch_load_b32 v130, off, off offset:376 ; 4-byte Folded Reload
	s_waitcnt vmcnt(0)
	v_add_co_ci_u32_e32 v130, vcc_lo, s13, v130, vcc_lo
	v_add_co_u32 v196, vcc_lo, v196, s12
	v_add_co_ci_u32_e32 v152, vcc_lo, s13, v152, vcc_lo
	v_add_co_u32 v153, vcc_lo, v153, s12
	;; [unrolled: 2-line block ×18, first 2 shown]
	v_add_co_ci_u32_e32 v192, vcc_lo, s13, v192, vcc_lo
	s_and_b32 vcc_lo, exec_lo, s9
	scratch_store_b32 off, v130, off offset:376 ; 4-byte Folded Spill
	s_cbranch_vccnz .LBB130_218
.LBB130_147:                            ; =>This Inner Loop Header: Depth=1
	scratch_store_b64 off, v[125:126], off offset:380 ; 8-byte Folded Spill
	scratch_load_b32 v125, off, off         ; 4-byte Folded Reload
	s_add_u32 s24, s8, s20
	s_addc_u32 s25, 0, s21
	s_delay_alu instid0(SALU_CYCLE_1) | instskip(SKIP_3) | instid1(VALU_DEP_3)
	v_cmp_ge_i64_e64 s9, s[24:25], s[16:17]
	s_waitcnt vmcnt(0)
	v_add_co_u32 v132, vcc_lo, s8, v125
	v_add_co_ci_u32_e32 v133, vcc_lo, 0, v193, vcc_lo
	s_and_b32 vcc_lo, exec_lo, s9
	s_cbranch_vccz .LBB130_215
; %bb.148:                              ;   in Loop: Header=BB130_147 Depth=1
	s_load_b32 s9, s[10:11], 0xc
	s_clause 0x1
	scratch_load_b32 v125, off, off offset:564
	scratch_load_b32 v126, off, off offset:568
	v_mov_b32_e32 v134, 0
	v_mov_b32_e32 v135, 0
	s_waitcnt lgkmcnt(0)
	s_and_b32 s9, s9, 0xffff
	s_waitcnt vmcnt(0)
	v_mad_u32_u24 v125, v125, s9, v126
	s_mov_b32 s9, exec_lo
	s_delay_alu instid0(VALU_DEP_1) | instskip(NEXT) | instid1(VALU_DEP_1)
	v_and_b32_e32 v125, 31, v125
	v_add_co_u32 v130, vcc_lo, v132, v125
	v_add_co_ci_u32_e32 v131, vcc_lo, 0, v133, vcc_lo
	v_dual_mov_b32 v125, v134 :: v_dual_mov_b32 v126, v135
	s_delay_alu instid0(VALU_DEP_2)
	v_cmpx_gt_i64_e64 s[16:17], v[130:131]
	s_cbranch_execz .LBB130_150
; %bb.149:                              ;   in Loop: Header=BB130_147 Depth=1
	v_lshlrev_b64 v[125:126], 3, v[130:131]
	s_delay_alu instid0(VALU_DEP_1) | instskip(NEXT) | instid1(VALU_DEP_2)
	v_add_co_u32 v125, vcc_lo, s6, v125
	v_add_co_ci_u32_e32 v126, vcc_lo, s7, v126, vcc_lo
	global_load_b64 v[125:126], v[125:126], off
.LBB130_150:                            ;   in Loop: Header=BB130_147 Depth=1
	s_or_b32 exec_lo, exec_lo, s9
	v_dual_mov_b32 v149, v135 :: v_dual_mov_b32 v148, v134
	s_mov_b32 s9, exec_lo
	v_cmpx_gt_i64_e64 s[16:17], v[132:133]
	s_cbranch_execz .LBB130_152
; %bb.151:                              ;   in Loop: Header=BB130_147 Depth=1
	v_add_co_u32 v130, vcc_lo, v140, v128
	v_add_co_ci_u32_e32 v131, vcc_lo, v141, v129, vcc_lo
	v_add_co_u32 v136, vcc_lo, v142, v128
	v_add_co_ci_u32_e32 v137, vcc_lo, v143, v129, vcc_lo
	global_load_b64 v[134:135], v[130:131], off
	global_load_b64 v[148:149], v[136:137], off
.LBB130_152:                            ;   in Loop: Header=BB130_147 Depth=1
	s_or_b32 exec_lo, exec_lo, s9
	v_mov_b32_e32 v138, 0
	v_mov_b32_e32 v139, 0
	v_add_co_u32 v130, vcc_lo, v132, 1
	v_add_co_ci_u32_e32 v131, vcc_lo, 0, v133, vcc_lo
	s_delay_alu instid0(VALU_DEP_3) | instskip(SKIP_2) | instid1(VALU_DEP_3)
	v_dual_mov_b32 v151, v139 :: v_dual_mov_b32 v150, v138
	v_dual_mov_b32 v145, v139 :: v_dual_mov_b32 v144, v138
	s_mov_b32 s9, exec_lo
	v_cmpx_gt_i64_e64 s[16:17], v[130:131]
	s_cbranch_execz .LBB130_154
; %bb.153:                              ;   in Loop: Header=BB130_147 Depth=1
	v_add_co_u32 v130, vcc_lo, v189, v128
	v_add_co_ci_u32_e32 v131, vcc_lo, v190, v129, vcc_lo
	v_add_co_u32 v136, vcc_lo, v191, v128
	v_add_co_ci_u32_e32 v137, vcc_lo, v192, v129, vcc_lo
	global_load_b64 v[150:151], v[130:131], off
	global_load_b64 v[144:145], v[136:137], off
.LBB130_154:                            ;   in Loop: Header=BB130_147 Depth=1
	s_or_b32 exec_lo, exec_lo, s9
	v_add_co_u32 v130, vcc_lo, v132, 2
	v_add_co_ci_u32_e32 v131, vcc_lo, 0, v133, vcc_lo
	s_mov_b32 s9, exec_lo
	scratch_store_b64 off, v[138:139], off offset:388 ; 8-byte Folded Spill
	v_cmpx_gt_i64_e64 s[16:17], v[130:131]
	s_cbranch_execz .LBB130_156
; %bb.155:                              ;   in Loop: Header=BB130_147 Depth=1
	v_add_co_u32 v130, vcc_lo, v183, v128
	v_add_co_ci_u32_e32 v131, vcc_lo, v184, v129, vcc_lo
	v_add_co_u32 v136, vcc_lo, v185, v128
	v_add_co_ci_u32_e32 v137, vcc_lo, v188, v129, vcc_lo
	global_load_b64 v[138:139], v[130:131], off
	global_load_b64 v[130:131], v[136:137], off
	s_waitcnt vmcnt(0)
	scratch_store_b64 off, v[130:131], off offset:388 ; 8-byte Folded Spill
.LBB130_156:                            ;   in Loop: Header=BB130_147 Depth=1
	s_or_b32 exec_lo, exec_lo, s9
	v_add_co_u32 v130, vcc_lo, v132, 3
	v_mov_b32_e32 v146, 0
	v_mov_b32_e32 v147, 0
	v_add_co_ci_u32_e32 v131, vcc_lo, 0, v133, vcc_lo
	s_mov_b32 s9, exec_lo
	s_clause 0x1
	scratch_store_b64 off, v[146:147], off offset:396
	scratch_store_b64 off, v[146:147], off offset:404
	v_cmpx_gt_i64_e64 s[16:17], v[130:131]
	s_cbranch_execz .LBB130_158
; %bb.157:                              ;   in Loop: Header=BB130_147 Depth=1
	v_add_co_u32 v130, vcc_lo, v177, v128
	v_add_co_ci_u32_e32 v131, vcc_lo, v180, v129, vcc_lo
	v_add_co_u32 v136, vcc_lo, v181, v128
	v_add_co_ci_u32_e32 v137, vcc_lo, v182, v129, vcc_lo
	global_load_b64 v[130:131], v[130:131], off
	s_waitcnt vmcnt(0)
	scratch_store_b64 off, v[130:131], off offset:396 ; 8-byte Folded Spill
	global_load_b64 v[130:131], v[136:137], off
	s_waitcnt vmcnt(0)
	scratch_store_b64 off, v[130:131], off offset:404 ; 8-byte Folded Spill
.LBB130_158:                            ;   in Loop: Header=BB130_147 Depth=1
	s_or_b32 exec_lo, exec_lo, s9
	v_add_co_u32 v130, vcc_lo, v132, 4
	v_add_co_ci_u32_e32 v131, vcc_lo, 0, v133, vcc_lo
	s_mov_b32 s9, exec_lo
	scratch_store_b64 off, v[146:147], off offset:412 ; 8-byte Folded Spill
	v_cmpx_gt_i64_e64 s[16:17], v[130:131]
	s_cbranch_execz .LBB130_160
; %bb.159:                              ;   in Loop: Header=BB130_147 Depth=1
	v_add_co_u32 v130, vcc_lo, v199, v128
	v_add_co_ci_u32_e32 v131, vcc_lo, v174, v129, vcc_lo
	v_add_co_u32 v136, vcc_lo, v175, v128
	v_add_co_ci_u32_e32 v137, vcc_lo, v176, v129, vcc_lo
	global_load_b64 v[146:147], v[130:131], off
	global_load_b64 v[130:131], v[136:137], off
	s_waitcnt vmcnt(0)
	scratch_store_b64 off, v[130:131], off offset:412 ; 8-byte Folded Spill
.LBB130_160:                            ;   in Loop: Header=BB130_147 Depth=1
	s_or_b32 exec_lo, exec_lo, s9
	v_add_co_u32 v130, vcc_lo, v132, 5
	v_mov_b32_e32 v154, 0
	v_mov_b32_e32 v155, 0
	v_add_co_ci_u32_e32 v131, vcc_lo, 0, v133, vcc_lo
	s_mov_b32 s9, exec_lo
	s_clause 0x1
	scratch_store_b64 off, v[154:155], off offset:420
	scratch_store_b64 off, v[154:155], off offset:428
	v_cmpx_gt_i64_e64 s[16:17], v[130:131]
	s_cbranch_execz .LBB130_162
; %bb.161:                              ;   in Loop: Header=BB130_147 Depth=1
	v_add_co_u32 v130, vcc_lo, v0, v128
	v_add_co_ci_u32_e32 v131, vcc_lo, v172, v129, vcc_lo
	v_add_co_u32 v136, vcc_lo, v173, v128
	v_add_co_ci_u32_e32 v137, vcc_lo, v198, v129, vcc_lo
	global_load_b64 v[130:131], v[130:131], off
	s_waitcnt vmcnt(0)
	scratch_store_b64 off, v[130:131], off offset:420 ; 8-byte Folded Spill
	global_load_b64 v[130:131], v[136:137], off
	s_waitcnt vmcnt(0)
	scratch_store_b64 off, v[130:131], off offset:428 ; 8-byte Folded Spill
.LBB130_162:                            ;   in Loop: Header=BB130_147 Depth=1
	s_or_b32 exec_lo, exec_lo, s9
	v_add_co_u32 v130, vcc_lo, v132, 6
	v_add_co_ci_u32_e32 v131, vcc_lo, 0, v133, vcc_lo
	s_mov_b32 s9, exec_lo
	scratch_store_b64 off, v[154:155], off offset:436 ; 8-byte Folded Spill
	v_cmpx_gt_i64_e64 s[16:17], v[130:131]
	s_cbranch_execz .LBB130_164
; %bb.163:                              ;   in Loop: Header=BB130_147 Depth=1
	v_add_co_u32 v130, vcc_lo, v167, v128
	v_add_co_ci_u32_e32 v131, vcc_lo, v200, v129, vcc_lo
	v_add_co_u32 v136, vcc_lo, v201, v128
	v_add_co_ci_u32_e32 v137, vcc_lo, v169, v129, vcc_lo
	global_load_b64 v[154:155], v[130:131], off
	global_load_b64 v[130:131], v[136:137], off
	s_waitcnt vmcnt(0)
	scratch_store_b64 off, v[130:131], off offset:436 ; 8-byte Folded Spill
.LBB130_164:                            ;   in Loop: Header=BB130_147 Depth=1
	s_or_b32 exec_lo, exec_lo, s9
	v_add_co_u32 v130, vcc_lo, v132, 7
	v_mov_b32_e32 v162, 0
	v_mov_b32_e32 v163, 0
	v_add_co_ci_u32_e32 v131, vcc_lo, 0, v133, vcc_lo
	s_mov_b32 s9, exec_lo
	s_clause 0x1
	scratch_store_b64 off, v[162:163], off offset:444
	scratch_store_b64 off, v[162:163], off offset:452
	v_cmpx_gt_i64_e64 s[16:17], v[130:131]
	s_cbranch_execz .LBB130_166
; %bb.165:                              ;   in Loop: Header=BB130_147 Depth=1
	v_add_co_u32 v130, vcc_lo, v161, v128
	v_add_co_ci_u32_e32 v131, vcc_lo, v164, v129, vcc_lo
	v_add_co_u32 v136, vcc_lo, v165, v128
	v_add_co_ci_u32_e32 v137, vcc_lo, v166, v129, vcc_lo
	global_load_b64 v[130:131], v[130:131], off
	s_waitcnt vmcnt(0)
	scratch_store_b64 off, v[130:131], off offset:444 ; 8-byte Folded Spill
	global_load_b64 v[130:131], v[136:137], off
	s_waitcnt vmcnt(0)
	scratch_store_b64 off, v[130:131], off offset:452 ; 8-byte Folded Spill
.LBB130_166:                            ;   in Loop: Header=BB130_147 Depth=1
	s_or_b32 exec_lo, exec_lo, s9
	v_add_co_u32 v130, vcc_lo, v132, 8
	v_add_co_ci_u32_e32 v131, vcc_lo, 0, v133, vcc_lo
	s_mov_b32 s9, exec_lo
	scratch_store_b64 off, v[162:163], off offset:460 ; 8-byte Folded Spill
	v_cmpx_gt_i64_e64 s[16:17], v[130:131]
	s_cbranch_execz .LBB130_168
; %bb.167:                              ;   in Loop: Header=BB130_147 Depth=1
	v_add_co_u32 v130, vcc_lo, v157, v128
	v_add_co_ci_u32_e32 v131, vcc_lo, v158, v129, vcc_lo
	v_add_co_u32 v136, vcc_lo, v159, v128
	v_add_co_ci_u32_e32 v137, vcc_lo, v160, v129, vcc_lo
	global_load_b64 v[162:163], v[130:131], off
	global_load_b64 v[130:131], v[136:137], off
	s_waitcnt vmcnt(0)
	scratch_store_b64 off, v[130:131], off offset:460 ; 8-byte Folded Spill
.LBB130_168:                            ;   in Loop: Header=BB130_147 Depth=1
	s_or_b32 exec_lo, exec_lo, s9
	v_add_co_u32 v130, vcc_lo, v132, 9
	v_mov_b32_e32 v170, 0
	v_mov_b32_e32 v171, 0
	v_add_co_ci_u32_e32 v131, vcc_lo, 0, v133, vcc_lo
	s_mov_b32 s9, exec_lo
	s_clause 0x1
	scratch_store_b64 off, v[170:171], off offset:468
	scratch_store_b64 off, v[170:171], off offset:476
	v_cmpx_gt_i64_e64 s[16:17], v[130:131]
	s_cbranch_execz .LBB130_170
; %bb.169:                              ;   in Loop: Header=BB130_147 Depth=1
	v_add_co_u32 v130, vcc_lo, v196, v128
	v_add_co_ci_u32_e32 v131, vcc_lo, v152, v129, vcc_lo
	v_add_co_u32 v136, vcc_lo, v153, v128
	v_add_co_ci_u32_e32 v137, vcc_lo, v156, v129, vcc_lo
	global_load_b64 v[130:131], v[130:131], off
	s_waitcnt vmcnt(0)
	scratch_store_b64 off, v[130:131], off offset:468 ; 8-byte Folded Spill
	global_load_b64 v[130:131], v[136:137], off
	s_waitcnt vmcnt(0)
	scratch_store_b64 off, v[130:131], off offset:476 ; 8-byte Folded Spill
.LBB130_170:                            ;   in Loop: Header=BB130_147 Depth=1
	s_or_b32 exec_lo, exec_lo, s9
	v_add_co_u32 v130, vcc_lo, v132, 10
	v_add_co_ci_u32_e32 v131, vcc_lo, 0, v133, vcc_lo
	s_mov_b32 s9, exec_lo
	scratch_store_b64 off, v[170:171], off offset:484 ; 8-byte Folded Spill
	v_cmpx_gt_i64_e64 s[16:17], v[130:131]
	s_cbranch_execz .LBB130_172
; %bb.171:                              ;   in Loop: Header=BB130_147 Depth=1
	s_clause 0x3
	scratch_load_b32 v130, off, off offset:364
	scratch_load_b32 v131, off, off offset:368
	scratch_load_b32 v136, off, off offset:372
	scratch_load_b32 v137, off, off offset:376
	s_waitcnt vmcnt(3)
	v_add_co_u32 v130, vcc_lo, v130, v128
	s_waitcnt vmcnt(2)
	v_add_co_ci_u32_e32 v131, vcc_lo, v131, v129, vcc_lo
	s_waitcnt vmcnt(1)
	v_add_co_u32 v136, vcc_lo, v136, v128
	s_waitcnt vmcnt(0)
	v_add_co_ci_u32_e32 v137, vcc_lo, v137, v129, vcc_lo
	global_load_b64 v[170:171], v[130:131], off
	global_load_b64 v[130:131], v[136:137], off
	s_waitcnt vmcnt(0)
	scratch_store_b64 off, v[130:131], off offset:484 ; 8-byte Folded Spill
.LBB130_172:                            ;   in Loop: Header=BB130_147 Depth=1
	s_or_b32 exec_lo, exec_lo, s9
	v_add_co_u32 v130, vcc_lo, v132, 11
	v_mov_b32_e32 v178, 0
	v_mov_b32_e32 v179, 0
	v_add_co_ci_u32_e32 v131, vcc_lo, 0, v133, vcc_lo
	s_mov_b32 s9, exec_lo
	s_clause 0x1
	scratch_store_b64 off, v[178:179], off offset:492
	scratch_store_b64 off, v[178:179], off offset:500
	v_cmpx_gt_i64_e64 s[16:17], v[130:131]
	s_cbranch_execz .LBB130_174
; %bb.173:                              ;   in Loop: Header=BB130_147 Depth=1
	s_clause 0x3
	scratch_load_b32 v130, off, off offset:348
	scratch_load_b32 v131, off, off offset:352
	scratch_load_b32 v136, off, off offset:356
	scratch_load_b32 v137, off, off offset:360
	s_waitcnt vmcnt(3)
	v_add_co_u32 v130, vcc_lo, v130, v128
	s_waitcnt vmcnt(2)
	v_add_co_ci_u32_e32 v131, vcc_lo, v131, v129, vcc_lo
	s_waitcnt vmcnt(1)
	v_add_co_u32 v136, vcc_lo, v136, v128
	s_waitcnt vmcnt(0)
	v_add_co_ci_u32_e32 v137, vcc_lo, v137, v129, vcc_lo
	global_load_b64 v[130:131], v[130:131], off
	s_waitcnt vmcnt(0)
	scratch_store_b64 off, v[130:131], off offset:492 ; 8-byte Folded Spill
	global_load_b64 v[130:131], v[136:137], off
	s_waitcnt vmcnt(0)
	scratch_store_b64 off, v[130:131], off offset:500 ; 8-byte Folded Spill
.LBB130_174:                            ;   in Loop: Header=BB130_147 Depth=1
	s_or_b32 exec_lo, exec_lo, s9
	v_add_co_u32 v130, vcc_lo, v132, 12
	v_add_co_ci_u32_e32 v131, vcc_lo, 0, v133, vcc_lo
	s_mov_b32 s9, exec_lo
	scratch_store_b64 off, v[178:179], off offset:508 ; 8-byte Folded Spill
	v_cmpx_gt_i64_e64 s[16:17], v[130:131]
	s_cbranch_execz .LBB130_176
; %bb.175:                              ;   in Loop: Header=BB130_147 Depth=1
	s_clause 0x3
	scratch_load_b32 v130, off, off offset:332
	scratch_load_b32 v131, off, off offset:336
	scratch_load_b32 v136, off, off offset:340
	scratch_load_b32 v137, off, off offset:344
	s_waitcnt vmcnt(3)
	v_add_co_u32 v130, vcc_lo, v130, v128
	s_waitcnt vmcnt(2)
	v_add_co_ci_u32_e32 v131, vcc_lo, v131, v129, vcc_lo
	s_waitcnt vmcnt(1)
	v_add_co_u32 v136, vcc_lo, v136, v128
	s_waitcnt vmcnt(0)
	v_add_co_ci_u32_e32 v137, vcc_lo, v137, v129, vcc_lo
	global_load_b64 v[178:179], v[130:131], off
	global_load_b64 v[130:131], v[136:137], off
	s_waitcnt vmcnt(0)
	scratch_store_b64 off, v[130:131], off offset:508 ; 8-byte Folded Spill
.LBB130_176:                            ;   in Loop: Header=BB130_147 Depth=1
	s_or_b32 exec_lo, exec_lo, s9
	v_add_co_u32 v130, vcc_lo, v132, 13
	v_mov_b32_e32 v186, 0
	v_mov_b32_e32 v187, 0
	v_add_co_ci_u32_e32 v131, vcc_lo, 0, v133, vcc_lo
	s_mov_b32 s9, exec_lo
	s_clause 0x1
	scratch_store_b64 off, v[186:187], off offset:516
	scratch_store_b64 off, v[186:187], off offset:524
	v_cmpx_gt_i64_e64 s[16:17], v[130:131]
	s_cbranch_execz .LBB130_178
; %bb.177:                              ;   in Loop: Header=BB130_147 Depth=1
	s_clause 0x3
	scratch_load_b32 v130, off, off offset:316
	scratch_load_b32 v131, off, off offset:320
	scratch_load_b32 v136, off, off offset:324
	scratch_load_b32 v137, off, off offset:328
	s_waitcnt vmcnt(3)
	v_add_co_u32 v130, vcc_lo, v130, v128
	s_waitcnt vmcnt(2)
	v_add_co_ci_u32_e32 v131, vcc_lo, v131, v129, vcc_lo
	s_waitcnt vmcnt(1)
	v_add_co_u32 v136, vcc_lo, v136, v128
	s_waitcnt vmcnt(0)
	v_add_co_ci_u32_e32 v137, vcc_lo, v137, v129, vcc_lo
	global_load_b64 v[130:131], v[130:131], off
	s_waitcnt vmcnt(0)
	scratch_store_b64 off, v[130:131], off offset:516 ; 8-byte Folded Spill
	global_load_b64 v[130:131], v[136:137], off
	s_waitcnt vmcnt(0)
	scratch_store_b64 off, v[130:131], off offset:524 ; 8-byte Folded Spill
.LBB130_178:                            ;   in Loop: Header=BB130_147 Depth=1
	;; [unrolled: 58-line block ×3, first 2 shown]
	s_or_b32 exec_lo, exec_lo, s9
	v_add_co_u32 v130, vcc_lo, v132, 16
	v_add_co_ci_u32_e32 v131, vcc_lo, 0, v133, vcc_lo
	s_mov_b32 s9, exec_lo
	scratch_store_b64 off, v[194:195], off offset:556 ; 8-byte Folded Spill
	v_cmpx_gt_i64_e64 s[16:17], v[130:131]
	s_cbranch_execz .LBB130_184
; %bb.183:                              ;   in Loop: Header=BB130_147 Depth=1
	s_clause 0x3
	scratch_load_b32 v130, off, off offset:268
	scratch_load_b32 v131, off, off offset:272
	;; [unrolled: 1-line block ×4, first 2 shown]
	s_waitcnt vmcnt(3)
	v_add_co_u32 v130, vcc_lo, v130, v128
	s_waitcnt vmcnt(2)
	v_add_co_ci_u32_e32 v131, vcc_lo, v131, v129, vcc_lo
	s_waitcnt vmcnt(1)
	v_add_co_u32 v136, vcc_lo, v136, v128
	s_waitcnt vmcnt(0)
	v_add_co_ci_u32_e32 v137, vcc_lo, v137, v129, vcc_lo
	global_load_b64 v[194:195], v[130:131], off
	global_load_b64 v[130:131], v[136:137], off
	s_waitcnt vmcnt(0)
	scratch_store_b64 off, v[130:131], off offset:556 ; 8-byte Folded Spill
.LBB130_184:                            ;   in Loop: Header=BB130_147 Depth=1
	s_or_b32 exec_lo, exec_lo, s9
	v_mov_b32_e32 v202, 0
	v_mov_b32_e32 v203, 0
	v_add_co_u32 v130, vcc_lo, v132, 17
	v_add_co_ci_u32_e32 v131, vcc_lo, 0, v133, vcc_lo
	s_delay_alu instid0(VALU_DEP_3) | instskip(SKIP_2) | instid1(VALU_DEP_3)
	v_dual_mov_b32 v205, v203 :: v_dual_mov_b32 v204, v202
	v_dual_mov_b32 v207, v203 :: v_dual_mov_b32 v206, v202
	s_mov_b32 s9, exec_lo
	v_cmpx_gt_i64_e64 s[16:17], v[130:131]
	s_cbranch_execz .LBB130_186
; %bb.185:                              ;   in Loop: Header=BB130_147 Depth=1
	s_clause 0x3
	scratch_load_b32 v130, off, off offset:252
	scratch_load_b32 v131, off, off offset:256
	scratch_load_b32 v136, off, off offset:260
	scratch_load_b32 v137, off, off offset:264
	s_waitcnt vmcnt(3)
	v_add_co_u32 v130, vcc_lo, v130, v128
	s_waitcnt vmcnt(2)
	v_add_co_ci_u32_e32 v131, vcc_lo, v131, v129, vcc_lo
	s_waitcnt vmcnt(1)
	v_add_co_u32 v136, vcc_lo, v136, v128
	s_waitcnt vmcnt(0)
	v_add_co_ci_u32_e32 v137, vcc_lo, v137, v129, vcc_lo
	global_load_b64 v[204:205], v[130:131], off
	global_load_b64 v[206:207], v[136:137], off
.LBB130_186:                            ;   in Loop: Header=BB130_147 Depth=1
	s_or_b32 exec_lo, exec_lo, s9
	v_add_co_u32 v130, vcc_lo, v132, 18
	v_add_co_ci_u32_e32 v131, vcc_lo, 0, v133, vcc_lo
	v_dual_mov_b32 v209, v203 :: v_dual_mov_b32 v208, v202
	s_mov_b32 s9, exec_lo
	s_delay_alu instid0(VALU_DEP_2)
	v_cmpx_gt_i64_e64 s[16:17], v[130:131]
	s_cbranch_execz .LBB130_188
; %bb.187:                              ;   in Loop: Header=BB130_147 Depth=1
	s_clause 0x3
	scratch_load_b32 v130, off, off offset:236
	scratch_load_b32 v131, off, off offset:240
	scratch_load_b32 v136, off, off offset:244
	scratch_load_b32 v137, off, off offset:248
	s_waitcnt vmcnt(3)
	v_add_co_u32 v130, vcc_lo, v130, v128
	s_waitcnt vmcnt(2)
	v_add_co_ci_u32_e32 v131, vcc_lo, v131, v129, vcc_lo
	s_waitcnt vmcnt(1)
	v_add_co_u32 v136, vcc_lo, v136, v128
	s_waitcnt vmcnt(0)
	v_add_co_ci_u32_e32 v137, vcc_lo, v137, v129, vcc_lo
	global_load_b64 v[202:203], v[130:131], off
	global_load_b64 v[208:209], v[136:137], off
.LBB130_188:                            ;   in Loop: Header=BB130_147 Depth=1
	s_or_b32 exec_lo, exec_lo, s9
	v_mov_b32_e32 v210, 0
	v_mov_b32_e32 v211, 0
	v_add_co_u32 v130, vcc_lo, v132, 19
	v_add_co_ci_u32_e32 v131, vcc_lo, 0, v133, vcc_lo
	s_delay_alu instid0(VALU_DEP_3) | instskip(SKIP_2) | instid1(VALU_DEP_3)
	v_dual_mov_b32 v213, v211 :: v_dual_mov_b32 v212, v210
	v_dual_mov_b32 v215, v211 :: v_dual_mov_b32 v214, v210
	s_mov_b32 s9, exec_lo
	v_cmpx_gt_i64_e64 s[16:17], v[130:131]
	s_cbranch_execz .LBB130_190
; %bb.189:                              ;   in Loop: Header=BB130_147 Depth=1
	s_clause 0x3
	scratch_load_b32 v130, off, off offset:220
	scratch_load_b32 v131, off, off offset:224
	scratch_load_b32 v136, off, off offset:228
	scratch_load_b32 v137, off, off offset:232
	s_waitcnt vmcnt(3)
	v_add_co_u32 v130, vcc_lo, v130, v128
	s_waitcnt vmcnt(2)
	v_add_co_ci_u32_e32 v131, vcc_lo, v131, v129, vcc_lo
	s_waitcnt vmcnt(1)
	v_add_co_u32 v136, vcc_lo, v136, v128
	s_waitcnt vmcnt(0)
	v_add_co_ci_u32_e32 v137, vcc_lo, v137, v129, vcc_lo
	global_load_b64 v[212:213], v[130:131], off
	global_load_b64 v[214:215], v[136:137], off
.LBB130_190:                            ;   in Loop: Header=BB130_147 Depth=1
	s_or_b32 exec_lo, exec_lo, s9
	v_add_co_u32 v130, vcc_lo, v132, 20
	v_add_co_ci_u32_e32 v131, vcc_lo, 0, v133, vcc_lo
	v_dual_mov_b32 v217, v211 :: v_dual_mov_b32 v216, v210
	s_mov_b32 s9, exec_lo
	s_delay_alu instid0(VALU_DEP_2)
	v_cmpx_gt_i64_e64 s[16:17], v[130:131]
	s_cbranch_execz .LBB130_192
; %bb.191:                              ;   in Loop: Header=BB130_147 Depth=1
	s_clause 0x3
	scratch_load_b32 v130, off, off offset:204
	scratch_load_b32 v131, off, off offset:208
	scratch_load_b32 v136, off, off offset:212
	scratch_load_b32 v137, off, off offset:216
	s_waitcnt vmcnt(3)
	v_add_co_u32 v130, vcc_lo, v130, v128
	s_waitcnt vmcnt(2)
	v_add_co_ci_u32_e32 v131, vcc_lo, v131, v129, vcc_lo
	s_waitcnt vmcnt(1)
	v_add_co_u32 v136, vcc_lo, v136, v128
	s_waitcnt vmcnt(0)
	v_add_co_ci_u32_e32 v137, vcc_lo, v137, v129, vcc_lo
	global_load_b64 v[210:211], v[130:131], off
	global_load_b64 v[216:217], v[136:137], off
.LBB130_192:                            ;   in Loop: Header=BB130_147 Depth=1
	;; [unrolled: 53-line block ×6, first 2 shown]
	s_or_b32 exec_lo, exec_lo, s9
	v_mov_b32_e32 v250, 0
	v_mov_b32_e32 v251, 0
	v_add_co_u32 v130, vcc_lo, v132, 29
	v_add_co_ci_u32_e32 v131, vcc_lo, 0, v133, vcc_lo
	s_delay_alu instid0(VALU_DEP_3) | instskip(SKIP_2) | instid1(VALU_DEP_3)
	v_dual_mov_b32 v253, v251 :: v_dual_mov_b32 v252, v250
	v_dual_mov_b32 v255, v251 :: v_dual_mov_b32 v254, v250
	s_mov_b32 s9, exec_lo
	v_cmpx_gt_i64_e64 s[16:17], v[130:131]
	s_cbranch_execz .LBB130_210
; %bb.209:                              ;   in Loop: Header=BB130_147 Depth=1
	s_clause 0x3
	scratch_load_b32 v130, off, off offset:60
	scratch_load_b32 v131, off, off offset:64
	;; [unrolled: 1-line block ×4, first 2 shown]
	s_waitcnt vmcnt(3)
	v_add_co_u32 v130, vcc_lo, v130, v128
	s_waitcnt vmcnt(2)
	v_add_co_ci_u32_e32 v131, vcc_lo, v131, v129, vcc_lo
	s_waitcnt vmcnt(1)
	v_add_co_u32 v136, vcc_lo, v136, v128
	s_waitcnt vmcnt(0)
	v_add_co_ci_u32_e32 v137, vcc_lo, v137, v129, vcc_lo
	global_load_b64 v[252:253], v[130:131], off
	global_load_b64 v[254:255], v[136:137], off
.LBB130_210:                            ;   in Loop: Header=BB130_147 Depth=1
	s_or_b32 exec_lo, exec_lo, s9
	v_add_co_u32 v130, vcc_lo, v132, 30
	v_add_co_ci_u32_e32 v131, vcc_lo, 0, v133, vcc_lo
	s_delay_alu instid0(VALU_DEP_1)
	v_cmp_gt_i64_e32 vcc_lo, s[16:17], v[130:131]
	v_dual_mov_b32 v130, v250 :: v_dual_mov_b32 v131, v251
	s_and_saveexec_b32 s9, vcc_lo
	s_cbranch_execz .LBB130_212
; %bb.211:                              ;   in Loop: Header=BB130_147 Depth=1
	s_clause 0x3
	scratch_load_b32 v130, off, off offset:40
	scratch_load_b32 v131, off, off offset:48
	;; [unrolled: 1-line block ×4, first 2 shown]
	s_waitcnt vmcnt(3)
	v_add_co_u32 v130, vcc_lo, v130, v128
	s_waitcnt vmcnt(2)
	v_add_co_ci_u32_e32 v131, vcc_lo, v131, v129, vcc_lo
	s_waitcnt vmcnt(1)
	v_add_co_u32 v136, vcc_lo, v136, v128
	s_waitcnt vmcnt(0)
	v_add_co_ci_u32_e32 v137, vcc_lo, v137, v129, vcc_lo
	global_load_b64 v[250:251], v[130:131], off
	global_load_b64 v[130:131], v[136:137], off
.LBB130_212:                            ;   in Loop: Header=BB130_147 Depth=1
	s_or_b32 exec_lo, exec_lo, s9
	v_add_co_u32 v136, vcc_lo, v132, 31
	v_add_co_ci_u32_e32 v137, vcc_lo, 0, v133, vcc_lo
	s_delay_alu instid0(VALU_DEP_1)
	v_cmp_gt_i64_e32 vcc_lo, s[16:17], v[136:137]
	v_mov_b32_e32 v136, 0
	v_mov_b32_e32 v137, 0
	s_and_saveexec_b32 s9, vcc_lo
	s_cbranch_execz .LBB130_214
; %bb.213:                              ;   in Loop: Header=BB130_147 Depth=1
	s_clause 0x1
	scratch_load_b32 v136, off, off offset:8
	scratch_load_b32 v137, off, off offset:16
	v_dual_mov_b32 v168, v167 :: v_dual_mov_b32 v167, v166
	v_dual_mov_b32 v166, v165 :: v_dual_mov_b32 v165, v164
	;; [unrolled: 1-line block ×6, first 2 shown]
	s_waitcnt vmcnt(3)
	v_dual_mov_b32 v152, v196 :: v_dual_mov_b32 v197, v151
	s_waitcnt vmcnt(2)
	v_dual_mov_b32 v196, v150 :: v_dual_mov_b32 v151, v149
	v_dual_mov_b32 v150, v148 :: v_dual_mov_b32 v149, v145
	v_mov_b32_e32 v148, v144
	s_clause 0x1
	scratch_load_b32 v144, off, off offset:24
	scratch_load_b32 v145, off, off offset:32
	s_waitcnt vmcnt(3)
	v_add_co_u32 v136, vcc_lo, v136, v128
	s_waitcnt vmcnt(2)
	v_add_co_ci_u32_e32 v137, vcc_lo, v137, v129, vcc_lo
	s_waitcnt vmcnt(1)
	v_add_co_u32 v144, vcc_lo, v144, v128
	s_waitcnt vmcnt(0)
	v_add_co_ci_u32_e32 v145, vcc_lo, v145, v129, vcc_lo
	global_load_b64 v[136:137], v[136:137], off
	global_load_b64 v[144:145], v[144:145], off
	s_waitcnt vmcnt(0)
	v_mul_f64 v[136:137], v[136:137], v[144:145]
	v_dual_mov_b32 v144, v148 :: v_dual_mov_b32 v145, v149
	v_dual_mov_b32 v148, v150 :: v_dual_mov_b32 v149, v151
	;; [unrolled: 1-line block ×3, first 2 shown]
	v_mov_b32_e32 v196, v152
	v_dual_mov_b32 v152, v153 :: v_dual_mov_b32 v153, v156
	v_dual_mov_b32 v156, v157 :: v_dual_mov_b32 v157, v158
	;; [unrolled: 1-line block ×6, first 2 shown]
.LBB130_214:                            ;   in Loop: Header=BB130_147 Depth=1
	s_or_b32 exec_lo, exec_lo, s9
	s_waitcnt vmcnt(0)
	v_mul_f64 v[144:145], v[150:151], v[144:145]
	scratch_load_b64 v[150:151], off, off offset:380 ; 8-byte Folded Reload
	v_mul_f64 v[134:135], v[134:135], v[148:149]
	ds_bpermute_b32 v148, v127, v125
	ds_bpermute_b32 v149, v127, v126
	v_mul_f64 v[130:131], v[250:251], v[130:131]
	s_waitcnt vmcnt(0) lgkmcnt(0)
	v_fma_f64 v[134:135], v[134:135], v[148:149], v[150:151]
	ds_bpermute_b32 v148, v127, v125 offset:4
	ds_bpermute_b32 v149, v127, v126 offset:4
	s_waitcnt lgkmcnt(0)
	v_fma_f64 v[134:135], v[144:145], v[148:149], v[134:135]
	scratch_load_b64 v[144:145], off, off offset:388 ; 8-byte Folded Reload
	s_waitcnt vmcnt(0)
	v_mul_f64 v[138:139], v[138:139], v[144:145]
	ds_bpermute_b32 v144, v127, v125 offset:8
	ds_bpermute_b32 v145, v127, v126 offset:8
	s_waitcnt lgkmcnt(0)
	v_fma_f64 v[134:135], v[138:139], v[144:145], v[134:135]
	s_clause 0x1
	scratch_load_b64 v[138:139], off, off offset:396
	scratch_load_b64 v[144:145], off, off offset:404
	s_waitcnt vmcnt(0)
	v_mul_f64 v[138:139], v[138:139], v[144:145]
	ds_bpermute_b32 v144, v127, v125 offset:12
	ds_bpermute_b32 v145, v127, v126 offset:12
	s_waitcnt lgkmcnt(0)
	v_fma_f64 v[134:135], v[138:139], v[144:145], v[134:135]
	scratch_load_b64 v[138:139], off, off offset:412 ; 8-byte Folded Reload
	ds_bpermute_b32 v144, v127, v125 offset:16
	ds_bpermute_b32 v145, v127, v126 offset:16
	s_waitcnt vmcnt(0)
	v_mul_f64 v[138:139], v[146:147], v[138:139]
	ds_bpermute_b32 v146, v127, v125 offset:64
	ds_bpermute_b32 v147, v127, v126 offset:64
	s_waitcnt lgkmcnt(2)
	v_fma_f64 v[134:135], v[138:139], v[144:145], v[134:135]
	s_clause 0x1
	scratch_load_b64 v[138:139], off, off offset:420
	scratch_load_b64 v[144:145], off, off offset:428
	s_waitcnt vmcnt(0)
	v_mul_f64 v[138:139], v[138:139], v[144:145]
	ds_bpermute_b32 v144, v127, v125 offset:20
	ds_bpermute_b32 v145, v127, v126 offset:20
	s_waitcnt lgkmcnt(0)
	v_fma_f64 v[134:135], v[138:139], v[144:145], v[134:135]
	scratch_load_b64 v[138:139], off, off offset:436 ; 8-byte Folded Reload
	ds_bpermute_b32 v144, v127, v125 offset:24
	ds_bpermute_b32 v145, v127, v126 offset:24
	s_waitcnt vmcnt(0)
	v_mul_f64 v[138:139], v[154:155], v[138:139]
	s_waitcnt lgkmcnt(0)
	s_delay_alu instid0(VALU_DEP_1)
	v_fma_f64 v[134:135], v[138:139], v[144:145], v[134:135]
	s_clause 0x1
	scratch_load_b64 v[138:139], off, off offset:444
	scratch_load_b64 v[144:145], off, off offset:452
	s_waitcnt vmcnt(0)
	v_mul_f64 v[138:139], v[138:139], v[144:145]
	ds_bpermute_b32 v144, v127, v125 offset:28
	ds_bpermute_b32 v145, v127, v126 offset:28
	s_waitcnt lgkmcnt(0)
	v_fma_f64 v[134:135], v[138:139], v[144:145], v[134:135]
	scratch_load_b64 v[138:139], off, off offset:460 ; 8-byte Folded Reload
	ds_bpermute_b32 v144, v127, v125 offset:32
	ds_bpermute_b32 v145, v127, v126 offset:32
	s_waitcnt vmcnt(0)
	v_mul_f64 v[138:139], v[162:163], v[138:139]
	s_waitcnt lgkmcnt(0)
	s_delay_alu instid0(VALU_DEP_1)
	;; [unrolled: 17-line block ×5, first 2 shown]
	v_fma_f64 v[134:135], v[138:139], v[144:145], v[134:135]
	s_clause 0x1
	scratch_load_b64 v[138:139], off, off offset:540
	scratch_load_b64 v[144:145], off, off offset:548
	s_waitcnt vmcnt(0)
	v_mul_f64 v[138:139], v[138:139], v[144:145]
	ds_bpermute_b32 v144, v127, v125 offset:60
	ds_bpermute_b32 v145, v127, v126 offset:60
	s_waitcnt lgkmcnt(0)
	v_fma_f64 v[134:135], v[138:139], v[144:145], v[134:135]
	scratch_load_b64 v[138:139], off, off offset:556 ; 8-byte Folded Reload
	v_mul_f64 v[144:145], v[204:205], v[206:207]
	s_waitcnt vmcnt(0)
	v_mul_f64 v[138:139], v[194:195], v[138:139]
	s_delay_alu instid0(VALU_DEP_1)
	v_fma_f64 v[134:135], v[138:139], v[146:147], v[134:135]
	ds_bpermute_b32 v138, v127, v125 offset:68
	ds_bpermute_b32 v139, v127, v126 offset:68
	v_mul_f64 v[146:147], v[202:203], v[208:209]
	s_waitcnt lgkmcnt(0)
	v_fma_f64 v[134:135], v[144:145], v[138:139], v[134:135]
	ds_bpermute_b32 v138, v127, v125 offset:72
	ds_bpermute_b32 v139, v127, v126 offset:72
	v_mul_f64 v[144:145], v[212:213], v[214:215]
	s_waitcnt lgkmcnt(0)
	;; [unrolled: 5-line block ×12, first 2 shown]
	v_fma_f64 v[134:135], v[146:147], v[138:139], v[134:135]
	ds_bpermute_b32 v138, v127, v125 offset:116
	ds_bpermute_b32 v139, v127, v126 offset:116
	s_waitcnt lgkmcnt(0)
	v_fma_f64 v[134:135], v[144:145], v[138:139], v[134:135]
	ds_bpermute_b32 v138, v127, v125 offset:120
	ds_bpermute_b32 v139, v127, v126 offset:120
	ds_bpermute_b32 v125, v127, v125 offset:124
	ds_bpermute_b32 v126, v127, v126 offset:124
	s_waitcnt lgkmcnt(2)
	v_fma_f64 v[130:131], v[130:131], v[138:139], v[134:135]
	s_waitcnt lgkmcnt(0)
	s_delay_alu instid0(VALU_DEP_1)
	v_fma_f64 v[125:126], v[136:137], v[125:126], v[130:131]
	s_branch .LBB130_146
.LBB130_215:                            ;   in Loop: Header=BB130_147 Depth=1
                                        ; implicit-def: $vgpr125_vgpr126
	s_cbranch_execz .LBB130_146
; %bb.216:                              ;   in Loop: Header=BB130_147 Depth=1
	s_load_b32 s9, s[10:11], 0x0
	s_waitcnt lgkmcnt(0)
	s_cmp_lt_u32 s14, s9
	s_cselect_b32 s9, 12, 18
	s_delay_alu instid0(SALU_CYCLE_1)
	s_add_u32 s24, s10, s9
	s_addc_u32 s25, s11, 0
	s_mov_b32 s9, exec_lo
	global_load_u16 v125, v127, s[24:25]
	s_clause 0x1
	scratch_load_b32 v126, off, off offset:564
	scratch_load_b32 v130, off, off offset:568
	s_waitcnt vmcnt(0)
	v_mad_u32_u24 v125, v126, v125, v130
	s_delay_alu instid0(VALU_DEP_1) | instskip(NEXT) | instid1(VALU_DEP_1)
	v_and_b32_e32 v125, 31, v125
	v_add_co_u32 v130, vcc_lo, v132, v125
	v_mov_b32_e32 v125, 0
	v_add_co_ci_u32_e32 v131, vcc_lo, 0, v133, vcc_lo
	v_mov_b32_e32 v126, 0
	s_delay_alu instid0(VALU_DEP_2)
	v_cmpx_gt_i64_e64 s[16:17], v[130:131]
	s_cbranch_execz .LBB130_145
; %bb.217:                              ;   in Loop: Header=BB130_147 Depth=1
	v_lshlrev_b64 v[125:126], 3, v[130:131]
	s_delay_alu instid0(VALU_DEP_1) | instskip(NEXT) | instid1(VALU_DEP_2)
	v_add_co_u32 v125, vcc_lo, s6, v125
	v_add_co_ci_u32_e32 v126, vcc_lo, s7, v126, vcc_lo
	global_load_b64 v[125:126], v[125:126], off
	s_branch .LBB130_145
.LBB130_218:
	scratch_load_b32 v0, off, off offset:572 ; 4-byte Folded Reload
.LBB130_219:
	s_mov_b32 s15, 0
	s_delay_alu instid0(SALU_CYCLE_1)
	s_lshl_b64 s[6:7], s[14:15], 5
	s_waitcnt vmcnt(0)
	v_dual_mov_b32 v2, s7 :: v_dual_and_b32 v1, 0x3ff, v0
	s_waitcnt lgkmcnt(0)
	s_cmp_lg_u64 s[4:5], 0
	s_cselect_b32 s3, -1, 0
	s_delay_alu instid0(VALU_DEP_1) | instskip(NEXT) | instid1(VALU_DEP_1)
	v_or_b32_e32 v1, s6, v1
	v_cmp_gt_i64_e32 vcc_lo, s[18:19], v[1:2]
	s_and_b32 s3, vcc_lo, s3
	s_delay_alu instid0(SALU_CYCLE_1)
	s_and_saveexec_b32 s6, s3
	s_cbranch_execz .LBB130_221
; %bb.220:
	s_load_b32 s0, s[0:1], 0x4c
	v_bfe_u32 v3, v0, 10, 10
	v_mov_b32_e32 v4, 0
	s_waitcnt lgkmcnt(0)
	s_lshr_b32 s0, s0, 16
	s_delay_alu instid0(VALU_DEP_1) | instid1(SALU_CYCLE_1)
	v_mad_u64_u32 v[5:6], null, s0, s2, v[3:4]
	s_delay_alu instid0(VALU_DEP_1) | instskip(NEXT) | instid1(VALU_DEP_2)
	v_mul_lo_u32 v0, v6, s18
	v_mul_lo_u32 v6, v5, s19
	v_mad_u64_u32 v[3:4], null, v5, s18, 0
	s_delay_alu instid0(VALU_DEP_1) | instskip(SKIP_1) | instid1(VALU_DEP_2)
	v_add3_u32 v4, v4, v6, v0
	v_lshlrev_b64 v[0:1], 3, v[1:2]
	v_lshlrev_b64 v[3:4], 3, v[3:4]
	s_delay_alu instid0(VALU_DEP_1) | instskip(NEXT) | instid1(VALU_DEP_2)
	v_add_co_u32 v2, vcc_lo, s4, v3
	v_add_co_ci_u32_e32 v3, vcc_lo, s5, v4, vcc_lo
	s_delay_alu instid0(VALU_DEP_2) | instskip(NEXT) | instid1(VALU_DEP_2)
	v_add_co_u32 v0, vcc_lo, v2, v0
	v_add_co_ci_u32_e32 v1, vcc_lo, v3, v1, vcc_lo
	global_store_b64 v[0:1], v[125:126], off
.LBB130_221:
	s_endpgm
	.section	.rodata,"a",@progbits
	.p2align	6, 0x0
	.amdhsa_kernel _ZN2at6native12_GLOBAL__N_135GammaBetaBackwardCUDAKernelTemplateIddLj32ELj1ELj32ELb1ELb0ELb1EEEvllPKT_S5_PKT0_S8_PS3_S9_
		.amdhsa_group_segment_fixed_size 0
		.amdhsa_private_segment_fixed_size 580
		.amdhsa_kernarg_size 320
		.amdhsa_user_sgpr_count 14
		.amdhsa_user_sgpr_dispatch_ptr 0
		.amdhsa_user_sgpr_queue_ptr 0
		.amdhsa_user_sgpr_kernarg_segment_ptr 1
		.amdhsa_user_sgpr_dispatch_id 0
		.amdhsa_user_sgpr_private_segment_size 0
		.amdhsa_wavefront_size32 1
		.amdhsa_uses_dynamic_stack 0
		.amdhsa_enable_private_segment 1
		.amdhsa_system_sgpr_workgroup_id_x 1
		.amdhsa_system_sgpr_workgroup_id_y 1
		.amdhsa_system_sgpr_workgroup_id_z 0
		.amdhsa_system_sgpr_workgroup_info 0
		.amdhsa_system_vgpr_workitem_id 1
		.amdhsa_next_free_vgpr 256
		.amdhsa_next_free_sgpr 30
		.amdhsa_reserve_vcc 1
		.amdhsa_float_round_mode_32 0
		.amdhsa_float_round_mode_16_64 0
		.amdhsa_float_denorm_mode_32 3
		.amdhsa_float_denorm_mode_16_64 3
		.amdhsa_dx10_clamp 1
		.amdhsa_ieee_mode 1
		.amdhsa_fp16_overflow 0
		.amdhsa_workgroup_processor_mode 1
		.amdhsa_memory_ordered 1
		.amdhsa_forward_progress 0
		.amdhsa_shared_vgpr_count 0
		.amdhsa_exception_fp_ieee_invalid_op 0
		.amdhsa_exception_fp_denorm_src 0
		.amdhsa_exception_fp_ieee_div_zero 0
		.amdhsa_exception_fp_ieee_overflow 0
		.amdhsa_exception_fp_ieee_underflow 0
		.amdhsa_exception_fp_ieee_inexact 0
		.amdhsa_exception_int_div_zero 0
	.end_amdhsa_kernel
	.section	.text._ZN2at6native12_GLOBAL__N_135GammaBetaBackwardCUDAKernelTemplateIddLj32ELj1ELj32ELb1ELb0ELb1EEEvllPKT_S5_PKT0_S8_PS3_S9_,"axG",@progbits,_ZN2at6native12_GLOBAL__N_135GammaBetaBackwardCUDAKernelTemplateIddLj32ELj1ELj32ELb1ELb0ELb1EEEvllPKT_S5_PKT0_S8_PS3_S9_,comdat
.Lfunc_end130:
	.size	_ZN2at6native12_GLOBAL__N_135GammaBetaBackwardCUDAKernelTemplateIddLj32ELj1ELj32ELb1ELb0ELb1EEEvllPKT_S5_PKT0_S8_PS3_S9_, .Lfunc_end130-_ZN2at6native12_GLOBAL__N_135GammaBetaBackwardCUDAKernelTemplateIddLj32ELj1ELj32ELb1ELb0ELb1EEEvllPKT_S5_PKT0_S8_PS3_S9_
                                        ; -- End function
	.section	.AMDGPU.csdata,"",@progbits
; Kernel info:
; codeLenInByte = 29784
; NumSgprs: 32
; NumVgprs: 256
; ScratchSize: 580
; MemoryBound: 1
; FloatMode: 240
; IeeeMode: 1
; LDSByteSize: 0 bytes/workgroup (compile time only)
; SGPRBlocks: 3
; VGPRBlocks: 31
; NumSGPRsForWavesPerEU: 32
; NumVGPRsForWavesPerEU: 256
; Occupancy: 5
; WaveLimiterHint : 0
; COMPUTE_PGM_RSRC2:SCRATCH_EN: 1
; COMPUTE_PGM_RSRC2:USER_SGPR: 14
; COMPUTE_PGM_RSRC2:TRAP_HANDLER: 0
; COMPUTE_PGM_RSRC2:TGID_X_EN: 1
; COMPUTE_PGM_RSRC2:TGID_Y_EN: 1
; COMPUTE_PGM_RSRC2:TGID_Z_EN: 0
; COMPUTE_PGM_RSRC2:TIDIG_COMP_CNT: 1
	.section	.text._ZN2at6native12_GLOBAL__N_135GammaBetaBackwardCUDAKernelTemplateIddLj32ELj1ELj8ELb1ELb1ELb1EEEvllPKT_S5_PKT0_S8_PS3_S9_,"axG",@progbits,_ZN2at6native12_GLOBAL__N_135GammaBetaBackwardCUDAKernelTemplateIddLj32ELj1ELj8ELb1ELb1ELb1EEEvllPKT_S5_PKT0_S8_PS3_S9_,comdat
	.globl	_ZN2at6native12_GLOBAL__N_135GammaBetaBackwardCUDAKernelTemplateIddLj32ELj1ELj8ELb1ELb1ELb1EEEvllPKT_S5_PKT0_S8_PS3_S9_ ; -- Begin function _ZN2at6native12_GLOBAL__N_135GammaBetaBackwardCUDAKernelTemplateIddLj32ELj1ELj8ELb1ELb1ELb1EEEvllPKT_S5_PKT0_S8_PS3_S9_
	.p2align	8
	.type	_ZN2at6native12_GLOBAL__N_135GammaBetaBackwardCUDAKernelTemplateIddLj32ELj1ELj8ELb1ELb1ELb1EEEvllPKT_S5_PKT0_S8_PS3_S9_,@function
_ZN2at6native12_GLOBAL__N_135GammaBetaBackwardCUDAKernelTemplateIddLj32ELj1ELj8ELb1ELb1ELb1EEEvllPKT_S5_PKT0_S8_PS3_S9_: ; @_ZN2at6native12_GLOBAL__N_135GammaBetaBackwardCUDAKernelTemplateIddLj32ELj1ELj8ELb1ELb1ELb1EEEvllPKT_S5_PKT0_S8_PS3_S9_
; %bb.0:
	s_clause 0x1
	s_load_b128 s[4:7], s[0:1], 0x0
	s_load_b64 s[12:13], s[0:1], 0x30
	s_mov_b32 s17, 0
	s_lshl_b32 s16, s15, 3
	v_mov_b32_e32 v10, 0
	v_mov_b32_e32 v11, 0
	v_bfe_u32 v1, v0, 10, 10
	v_and_b32_e32 v0, 0x3ff, v0
	s_waitcnt lgkmcnt(0)
	v_cmp_ge_i64_e64 s2, s[16:17], s[4:5]
	s_delay_alu instid0(VALU_DEP_1)
	s_and_b32 vcc_lo, exec_lo, s2
	s_cbranch_vccnz .LBB131_7
; %bb.1:
	s_clause 0x3
	s_load_b32 s2, s[0:1], 0x4c
	s_load_b32 s3, s[0:1], 0x44
	s_load_b128 s[8:11], s[0:1], 0x10
	s_load_b64 s[20:21], s[0:1], 0x28
	v_dual_mov_b32 v15, 4 :: v_dual_lshlrev_b32 v4, 3, v1
	v_dual_mov_b32 v14, 8 :: v_dual_mov_b32 v3, 0
	v_lshl_or_b32 v2, s14, 5, v0
	s_delay_alu instid0(VALU_DEP_3) | instskip(NEXT) | instid1(VALU_DEP_1)
	v_add_co_u32 v4, s18, v4, s16
	v_add_co_ci_u32_e64 v5, null, 0, 0, s18
	s_delay_alu instid0(VALU_DEP_3) | instskip(NEXT) | instid1(VALU_DEP_3)
	v_lshlrev_b64 v[10:11], 3, v[2:3]
	v_mul_lo_u32 v12, s7, v4
	v_mad_u64_u32 v[8:9], null, s6, v4, 0
	s_delay_alu instid0(VALU_DEP_4)
	v_mul_lo_u32 v13, s6, v5
	v_dual_mov_b32 v16, 12 :: v_dual_mov_b32 v17, 16
	s_waitcnt lgkmcnt(0)
	s_and_b32 s2, s2, 0xffff
	s_lshl_b32 s18, s3, 3
	v_mad_u32_u24 v6, v1, s2, v0
	v_mov_b32_e32 v20, 28
	s_mul_i32 s3, s7, s18
	v_add3_u32 v9, v9, v13, v12
	s_mul_hi_u32 s22, s6, s18
	v_dual_mov_b32 v6, 0 :: v_dual_and_b32 v23, 31, v6
	v_mov_b32_e32 v7, 0
	s_delay_alu instid0(VALU_DEP_3) | instskip(SKIP_1) | instid1(VALU_DEP_4)
	v_lshlrev_b64 v[21:22], 3, v[8:9]
	v_dual_mov_b32 v18, 20 :: v_dual_mov_b32 v19, 24
	v_add_co_u32 v4, vcc_lo, v4, v23
	v_add_co_ci_u32_e32 v5, vcc_lo, 0, v5, vcc_lo
	v_cmp_gt_u32_e64 s2, 8, v23
	s_mov_b32 s19, s17
	s_add_i32 s23, s22, s3
	s_delay_alu instid0(VALU_DEP_2) | instskip(SKIP_3) | instid1(VALU_DEP_1)
	v_lshlrev_b64 v[12:13], 3, v[4:5]
	s_mul_i32 s22, s6, s18
	s_lshl_b64 s[24:25], s[6:7], 3
	s_lshl_b64 s[22:23], s[22:23], 3
	v_add_co_u32 v8, vcc_lo, s20, v12
	s_delay_alu instid0(VALU_DEP_2)
	v_add_co_ci_u32_e32 v9, vcc_lo, s21, v13, vcc_lo
	v_add_co_u32 v2, vcc_lo, v21, v10
	v_add_co_ci_u32_e32 v21, vcc_lo, v22, v11, vcc_lo
	v_dual_mov_b32 v11, v7 :: v_dual_mov_b32 v10, v6
	s_lshl_b64 s[20:21], s[18:19], 3
	s_branch .LBB131_4
.LBB131_2:                              ;   in Loop: Header=BB131_4 Depth=1
	s_or_b32 exec_lo, exec_lo, s19
.LBB131_3:                              ;   in Loop: Header=BB131_4 Depth=1
	s_delay_alu instid0(SALU_CYCLE_1)
	s_or_b32 exec_lo, exec_lo, s3
	v_add_co_u32 v22, vcc_lo, s8, v2
	v_add_co_ci_u32_e32 v23, vcc_lo, s9, v21, vcc_lo
	v_add_co_u32 v24, vcc_lo, s10, v2
	v_add_co_ci_u32_e32 v25, vcc_lo, s11, v21, vcc_lo
	s_add_u32 s16, s16, s18
	global_load_b64 v[26:27], v[22:23], off
	global_load_b64 v[28:29], v[24:25], off
	v_add_co_u32 v22, vcc_lo, v22, s24
	v_add_co_ci_u32_e32 v23, vcc_lo, s25, v23, vcc_lo
	v_add_co_u32 v24, vcc_lo, v24, s24
	v_add_co_ci_u32_e32 v25, vcc_lo, s25, v25, vcc_lo
	global_load_b64 v[30:31], v[22:23], off
	global_load_b64 v[32:33], v[24:25], off
	v_add_co_u32 v22, vcc_lo, v22, s24
	v_add_co_ci_u32_e32 v23, vcc_lo, s25, v23, vcc_lo
	v_add_co_u32 v24, vcc_lo, v24, s24
	v_add_co_ci_u32_e32 v25, vcc_lo, s25, v25, vcc_lo
	;; [unrolled: 6-line block ×7, first 2 shown]
	global_load_b64 v[22:23], v[22:23], off
	global_load_b64 v[24:25], v[24:25], off
	v_add_co_u32 v8, vcc_lo, v8, s20
	v_add_co_ci_u32_e32 v9, vcc_lo, s21, v9, vcc_lo
	s_addc_u32 s17, s17, 0
	v_add_co_u32 v4, vcc_lo, v4, s18
	v_cmp_lt_i64_e64 s3, s[16:17], s[4:5]
	v_add_co_ci_u32_e32 v5, vcc_lo, 0, v5, vcc_lo
	v_add_co_u32 v2, vcc_lo, v2, s22
	v_add_co_ci_u32_e32 v21, vcc_lo, s23, v21, vcc_lo
	s_delay_alu instid0(VALU_DEP_4)
	s_and_b32 vcc_lo, exec_lo, s3
	s_waitcnt vmcnt(14)
	v_mul_f64 v[26:27], v[26:27], v[28:29]
	ds_bpermute_b32 v28, v3, v12
	ds_bpermute_b32 v29, v3, v13
	s_waitcnt vmcnt(12)
	v_mul_f64 v[30:31], v[30:31], v[32:33]
	s_waitcnt lgkmcnt(0)
	v_fma_f64 v[10:11], v[26:27], v[28:29], v[10:11]
	ds_bpermute_b32 v26, v15, v12
	ds_bpermute_b32 v27, v15, v13
	s_waitcnt vmcnt(10)
	v_mul_f64 v[28:29], v[34:35], v[36:37]
	s_waitcnt lgkmcnt(0)
	v_fma_f64 v[10:11], v[30:31], v[26:27], v[10:11]
	ds_bpermute_b32 v26, v14, v12
	ds_bpermute_b32 v27, v14, v13
	s_waitcnt vmcnt(8)
	v_mul_f64 v[30:31], v[38:39], v[40:41]
	s_waitcnt vmcnt(0)
	v_mul_f64 v[22:23], v[22:23], v[24:25]
	s_waitcnt lgkmcnt(0)
	v_fma_f64 v[10:11], v[28:29], v[26:27], v[10:11]
	ds_bpermute_b32 v26, v16, v12
	ds_bpermute_b32 v27, v16, v13
	v_mul_f64 v[28:29], v[42:43], v[44:45]
	s_waitcnt lgkmcnt(0)
	v_fma_f64 v[10:11], v[30:31], v[26:27], v[10:11]
	ds_bpermute_b32 v26, v17, v12
	ds_bpermute_b32 v27, v17, v13
	;; [unrolled: 5-line block ×4, first 2 shown]
	ds_bpermute_b32 v12, v20, v12
	ds_bpermute_b32 v13, v20, v13
	s_waitcnt lgkmcnt(2)
	v_fma_f64 v[10:11], v[28:29], v[26:27], v[10:11]
	s_waitcnt lgkmcnt(0)
	s_delay_alu instid0(VALU_DEP_1)
	v_fma_f64 v[10:11], v[22:23], v[12:13], v[10:11]
	s_cbranch_vccz .LBB131_7
.LBB131_4:                              ; =>This Inner Loop Header: Depth=1
	v_dual_mov_b32 v13, v7 :: v_dual_mov_b32 v12, v6
	s_and_saveexec_b32 s3, s2
	s_cbranch_execz .LBB131_3
; %bb.5:                                ;   in Loop: Header=BB131_4 Depth=1
	v_mov_b32_e32 v12, 0
	v_mov_b32_e32 v13, 0
	s_mov_b32 s19, exec_lo
	v_cmpx_gt_i64_e64 s[4:5], v[4:5]
	s_cbranch_execz .LBB131_2
; %bb.6:                                ;   in Loop: Header=BB131_4 Depth=1
	global_load_b64 v[12:13], v[8:9], off
	s_branch .LBB131_2
.LBB131_7:
	s_cmp_eq_u64 s[12:13], 0
	s_cbranch_scc1 .LBB131_9
; %bb.8:
	s_load_b32 s0, s[0:1], 0x4c
	v_mov_b32_e32 v2, 0
	v_lshlrev_b32_e32 v0, 3, v0
	s_waitcnt lgkmcnt(0)
	s_lshr_b32 s0, s0, 16
	s_delay_alu instid0(VALU_DEP_2) | instid1(SALU_CYCLE_1)
	v_mad_u64_u32 v[3:4], null, s0, s15, v[1:2]
	s_mov_b32 s15, 0
	s_delay_alu instid0(SALU_CYCLE_1) | instskip(NEXT) | instid1(SALU_CYCLE_1)
	s_lshl_b64 s[0:1], s[14:15], 8
	s_add_u32 s0, s0, s12
	s_addc_u32 s1, s1, s13
	s_delay_alu instid0(VALU_DEP_1) | instskip(NEXT) | instid1(VALU_DEP_2)
	v_mul_lo_u32 v4, v4, s6
	v_mul_lo_u32 v5, v3, s7
	v_mad_u64_u32 v[1:2], null, v3, s6, 0
	s_delay_alu instid0(VALU_DEP_1) | instskip(NEXT) | instid1(VALU_DEP_1)
	v_add3_u32 v2, v2, v5, v4
	v_lshlrev_b64 v[1:2], 3, v[1:2]
	s_delay_alu instid0(VALU_DEP_1) | instskip(NEXT) | instid1(VALU_DEP_2)
	v_add_co_u32 v1, vcc_lo, s0, v1
	v_add_co_ci_u32_e32 v2, vcc_lo, s1, v2, vcc_lo
	s_delay_alu instid0(VALU_DEP_2) | instskip(NEXT) | instid1(VALU_DEP_2)
	v_add_co_u32 v0, vcc_lo, v1, v0
	v_add_co_ci_u32_e32 v1, vcc_lo, 0, v2, vcc_lo
	global_store_b64 v[0:1], v[10:11], off
.LBB131_9:
	s_nop 0
	s_sendmsg sendmsg(MSG_DEALLOC_VGPRS)
	s_endpgm
	.section	.rodata,"a",@progbits
	.p2align	6, 0x0
	.amdhsa_kernel _ZN2at6native12_GLOBAL__N_135GammaBetaBackwardCUDAKernelTemplateIddLj32ELj1ELj8ELb1ELb1ELb1EEEvllPKT_S5_PKT0_S8_PS3_S9_
		.amdhsa_group_segment_fixed_size 0
		.amdhsa_private_segment_fixed_size 0
		.amdhsa_kernarg_size 320
		.amdhsa_user_sgpr_count 14
		.amdhsa_user_sgpr_dispatch_ptr 0
		.amdhsa_user_sgpr_queue_ptr 0
		.amdhsa_user_sgpr_kernarg_segment_ptr 1
		.amdhsa_user_sgpr_dispatch_id 0
		.amdhsa_user_sgpr_private_segment_size 0
		.amdhsa_wavefront_size32 1
		.amdhsa_uses_dynamic_stack 0
		.amdhsa_enable_private_segment 0
		.amdhsa_system_sgpr_workgroup_id_x 1
		.amdhsa_system_sgpr_workgroup_id_y 1
		.amdhsa_system_sgpr_workgroup_id_z 0
		.amdhsa_system_sgpr_workgroup_info 0
		.amdhsa_system_vgpr_workitem_id 1
		.amdhsa_next_free_vgpr 54
		.amdhsa_next_free_sgpr 26
		.amdhsa_reserve_vcc 1
		.amdhsa_float_round_mode_32 0
		.amdhsa_float_round_mode_16_64 0
		.amdhsa_float_denorm_mode_32 3
		.amdhsa_float_denorm_mode_16_64 3
		.amdhsa_dx10_clamp 1
		.amdhsa_ieee_mode 1
		.amdhsa_fp16_overflow 0
		.amdhsa_workgroup_processor_mode 1
		.amdhsa_memory_ordered 1
		.amdhsa_forward_progress 0
		.amdhsa_shared_vgpr_count 0
		.amdhsa_exception_fp_ieee_invalid_op 0
		.amdhsa_exception_fp_denorm_src 0
		.amdhsa_exception_fp_ieee_div_zero 0
		.amdhsa_exception_fp_ieee_overflow 0
		.amdhsa_exception_fp_ieee_underflow 0
		.amdhsa_exception_fp_ieee_inexact 0
		.amdhsa_exception_int_div_zero 0
	.end_amdhsa_kernel
	.section	.text._ZN2at6native12_GLOBAL__N_135GammaBetaBackwardCUDAKernelTemplateIddLj32ELj1ELj8ELb1ELb1ELb1EEEvllPKT_S5_PKT0_S8_PS3_S9_,"axG",@progbits,_ZN2at6native12_GLOBAL__N_135GammaBetaBackwardCUDAKernelTemplateIddLj32ELj1ELj8ELb1ELb1ELb1EEEvllPKT_S5_PKT0_S8_PS3_S9_,comdat
.Lfunc_end131:
	.size	_ZN2at6native12_GLOBAL__N_135GammaBetaBackwardCUDAKernelTemplateIddLj32ELj1ELj8ELb1ELb1ELb1EEEvllPKT_S5_PKT0_S8_PS3_S9_, .Lfunc_end131-_ZN2at6native12_GLOBAL__N_135GammaBetaBackwardCUDAKernelTemplateIddLj32ELj1ELj8ELb1ELb1ELb1EEEvllPKT_S5_PKT0_S8_PS3_S9_
                                        ; -- End function
	.section	.AMDGPU.csdata,"",@progbits
; Kernel info:
; codeLenInByte = 1300
; NumSgprs: 28
; NumVgprs: 54
; ScratchSize: 0
; MemoryBound: 0
; FloatMode: 240
; IeeeMode: 1
; LDSByteSize: 0 bytes/workgroup (compile time only)
; SGPRBlocks: 3
; VGPRBlocks: 6
; NumSGPRsForWavesPerEU: 28
; NumVGPRsForWavesPerEU: 54
; Occupancy: 16
; WaveLimiterHint : 0
; COMPUTE_PGM_RSRC2:SCRATCH_EN: 0
; COMPUTE_PGM_RSRC2:USER_SGPR: 14
; COMPUTE_PGM_RSRC2:TRAP_HANDLER: 0
; COMPUTE_PGM_RSRC2:TGID_X_EN: 1
; COMPUTE_PGM_RSRC2:TGID_Y_EN: 1
; COMPUTE_PGM_RSRC2:TGID_Z_EN: 0
; COMPUTE_PGM_RSRC2:TIDIG_COMP_CNT: 1
	.section	.text._ZN2at6native12_GLOBAL__N_135GammaBetaBackwardCUDAKernelTemplateIddLj32ELj1ELj8ELb1ELb0ELb1EEEvllPKT_S5_PKT0_S8_PS3_S9_,"axG",@progbits,_ZN2at6native12_GLOBAL__N_135GammaBetaBackwardCUDAKernelTemplateIddLj32ELj1ELj8ELb1ELb0ELb1EEEvllPKT_S5_PKT0_S8_PS3_S9_,comdat
	.globl	_ZN2at6native12_GLOBAL__N_135GammaBetaBackwardCUDAKernelTemplateIddLj32ELj1ELj8ELb1ELb0ELb1EEEvllPKT_S5_PKT0_S8_PS3_S9_ ; -- Begin function _ZN2at6native12_GLOBAL__N_135GammaBetaBackwardCUDAKernelTemplateIddLj32ELj1ELj8ELb1ELb0ELb1EEEvllPKT_S5_PKT0_S8_PS3_S9_
	.p2align	8
	.type	_ZN2at6native12_GLOBAL__N_135GammaBetaBackwardCUDAKernelTemplateIddLj32ELj1ELj8ELb1ELb0ELb1EEEvllPKT_S5_PKT0_S8_PS3_S9_,@function
_ZN2at6native12_GLOBAL__N_135GammaBetaBackwardCUDAKernelTemplateIddLj32ELj1ELj8ELb1ELb0ELb1EEEvllPKT_S5_PKT0_S8_PS3_S9_: ; @_ZN2at6native12_GLOBAL__N_135GammaBetaBackwardCUDAKernelTemplateIddLj32ELj1ELj8ELb1ELb0ELb1EEEvllPKT_S5_PKT0_S8_PS3_S9_
; %bb.0:
	s_clause 0x1
	s_load_b256 s[36:43], s[0:1], 0x0
	s_load_b64 s[6:7], s[0:1], 0x28
	s_mov_b32 s2, s15
	s_lshl_b32 s15, s14, 5
	s_mov_b32 s9, 0
	s_or_b32 s8, s15, 31
	s_waitcnt lgkmcnt(0)
	v_cmp_ge_i64_e64 s3, s[8:9], s[38:39]
	s_lshl_b32 s8, s2, 3
	s_delay_alu instid0(SALU_CYCLE_1) | instskip(NEXT) | instid1(VALU_DEP_2)
	v_cmp_lt_i64_e64 s33, s[8:9], s[36:37]
	s_and_b32 vcc_lo, exec_lo, s3
	s_delay_alu instid0(VALU_DEP_1) | instskip(NEXT) | instid1(VALU_DEP_1)
	v_cndmask_b32_e64 v1, 0, 1, s33
	v_cmp_ne_u32_e64 s3, 1, v1
	s_cbranch_vccz .LBB132_48
; %bb.1:
	v_mov_b32_e32 v51, 0
	v_mov_b32_e32 v52, 0
	s_delay_alu instid0(VALU_DEP_3)
	s_and_b32 vcc_lo, exec_lo, s3
	s_cbranch_vccnz .LBB132_49
; %bb.2:
	v_bfe_u32 v57, v0, 10, 10
	s_load_b32 s4, s[0:1], 0x44
	s_add_u32 s10, s0, 64
	s_addc_u32 s11, s1, 0
	s_mov_b32 s16, 0
	v_dual_mov_b32 v3, 0 :: v_dual_lshlrev_b32 v58, 3, v57
	v_and_b32_e32 v59, 0x3ff, v0
	s_mov_b64 s[34:35], s[8:9]
	v_mov_b32_e32 v51, 0
	s_delay_alu instid0(VALU_DEP_3) | instskip(SKIP_2) | instid1(VALU_DEP_3)
	v_add_co_u32 v8, s3, v58, s8
	v_mov_b32_e32 v60, v3
	v_add_co_ci_u32_e64 v9, null, 0, 0, s3
	v_add_co_u32 v1, vcc_lo, v8, 7
	v_add_nc_u32_e32 v2, s15, v59
	s_delay_alu instid0(VALU_DEP_3) | instskip(NEXT) | instid1(VALU_DEP_3)
	v_add_co_ci_u32_e32 v4, vcc_lo, 0, v9, vcc_lo
	v_mul_lo_u32 v6, s39, v1
	v_add_co_u32 v10, vcc_lo, v8, 6
	s_delay_alu instid0(VALU_DEP_3)
	v_mul_lo_u32 v7, s38, v4
	v_mad_u64_u32 v[4:5], null, s38, v1, 0
	v_add_co_ci_u32_e32 v1, vcc_lo, 0, v9, vcc_lo
	v_cmp_gt_i64_e64 s3, s[38:39], v[2:3]
	v_lshlrev_b64 v[49:50], 3, v[2:3]
	s_waitcnt lgkmcnt(0)
	s_lshl_b32 s44, s4, 3
	v_mov_b32_e32 v52, 0
	v_add3_u32 v5, v5, v7, v6
	v_mul_lo_u32 v6, s39, v10
	v_mul_lo_u32 v7, s38, v1
	s_mul_i32 s4, s39, s44
	s_mul_hi_u32 s5, s38, s44
	v_lshlrev_b64 v[1:2], 3, v[4:5]
	v_mad_u64_u32 v[4:5], null, s38, v10, 0
	s_add_i32 s13, s5, s4
	s_mul_i32 s12, s38, s44
	s_delay_alu instid0(VALU_DEP_2) | instskip(NEXT) | instid1(VALU_DEP_3)
	v_add_co_u32 v61, vcc_lo, s40, v1
	v_add_co_ci_u32_e32 v62, vcc_lo, s41, v2, vcc_lo
	s_delay_alu instid0(VALU_DEP_3) | instskip(SKIP_2) | instid1(VALU_DEP_1)
	v_add3_u32 v5, v5, v7, v6
	v_add_co_u32 v6, vcc_lo, v8, 5
	v_add_co_u32 v63, s4, s42, v1
	v_add_co_ci_u32_e64 v64, s4, s43, v2, s4
	s_delay_alu instid0(VALU_DEP_4) | instskip(SKIP_3) | instid1(VALU_DEP_3)
	v_lshlrev_b64 v[1:2], 3, v[4:5]
	v_add_co_ci_u32_e32 v4, vcc_lo, 0, v9, vcc_lo
	v_add_co_u32 v11, vcc_lo, v8, 4
	v_mul_lo_u32 v10, s39, v6
	v_mul_lo_u32 v12, s38, v4
	v_mad_u64_u32 v[4:5], null, s38, v6, 0
	v_add_co_ci_u32_e32 v7, vcc_lo, 0, v9, vcc_lo
	v_mul_lo_u32 v13, s39, v11
	v_add_co_u32 v65, vcc_lo, s40, v1
	s_delay_alu instid0(VALU_DEP_3)
	v_mul_lo_u32 v14, s38, v7
	v_mad_u64_u32 v[6:7], null, s38, v11, 0
	v_add3_u32 v5, v5, v12, v10
	v_add_co_ci_u32_e32 v66, vcc_lo, s41, v2, vcc_lo
	v_add_co_u32 v67, vcc_lo, s42, v1
	v_add_co_ci_u32_e32 v68, vcc_lo, s43, v2, vcc_lo
	s_delay_alu instid0(VALU_DEP_4) | instskip(SKIP_3) | instid1(VALU_DEP_4)
	v_lshlrev_b64 v[1:2], 3, v[4:5]
	v_add3_u32 v7, v7, v14, v13
	v_add_co_u32 v10, vcc_lo, v8, 3
	v_add_co_ci_u32_e32 v11, vcc_lo, 0, v9, vcc_lo
	v_add_co_u32 v69, vcc_lo, s40, v1
	s_delay_alu instid0(VALU_DEP_4)
	v_lshlrev_b64 v[4:5], 3, v[6:7]
	v_add_co_ci_u32_e32 v70, vcc_lo, s41, v2, vcc_lo
	v_mul_lo_u32 v12, s39, v10
	v_mul_lo_u32 v11, s38, v11
	v_mad_u64_u32 v[6:7], null, s38, v10, 0
	v_add_co_u32 v71, vcc_lo, s42, v1
	v_add_co_ci_u32_e32 v72, vcc_lo, s43, v2, vcc_lo
	v_add_co_u32 v73, vcc_lo, s40, v4
	v_add_co_ci_u32_e32 v74, vcc_lo, s41, v5, vcc_lo
	v_add_co_u32 v10, vcc_lo, v8, 2
	v_add3_u32 v7, v7, v11, v12
	v_add_co_ci_u32_e32 v11, vcc_lo, 0, v9, vcc_lo
	v_add_co_u32 v75, vcc_lo, s42, v4
	v_add_co_ci_u32_e32 v76, vcc_lo, s43, v5, vcc_lo
	v_mul_lo_u32 v12, s39, v10
	s_delay_alu instid0(VALU_DEP_4)
	v_mul_lo_u32 v11, s38, v11
	v_mad_u64_u32 v[4:5], null, s38, v10, 0
	v_lshlrev_b64 v[1:2], 3, v[6:7]
	v_mul_lo_u32 v10, s39, v8
	v_mul_lo_u32 v9, s38, v9
	v_mad_u64_u32 v[6:7], null, s38, v8, 0
	s_mov_b64 s[4:5], 7
	s_delay_alu instid0(VALU_DEP_4)
	v_add_co_u32 v77, vcc_lo, s40, v1
	v_add3_u32 v5, v5, v11, v12
	v_add_co_ci_u32_e32 v78, vcc_lo, s41, v2, vcc_lo
	v_add_co_u32 v79, vcc_lo, s42, v1
	v_add3_u32 v7, v7, v9, v10
	v_add_co_ci_u32_e32 v80, vcc_lo, s43, v2, vcc_lo
	v_lshlrev_b64 v[1:2], 3, v[4:5]
	v_add_co_u32 v4, vcc_lo, v6, s38
	s_delay_alu instid0(VALU_DEP_4) | instskip(SKIP_1) | instid1(VALU_DEP_3)
	v_add_co_ci_u32_e32 v5, vcc_lo, s39, v7, vcc_lo
	s_lshl_b64 s[12:13], s[12:13], 3
	v_add_co_u32 v81, vcc_lo, s40, v1
	s_delay_alu instid0(VALU_DEP_2) | instskip(SKIP_3) | instid1(VALU_DEP_4)
	v_lshlrev_b64 v[4:5], 3, v[4:5]
	v_add_co_ci_u32_e32 v82, vcc_lo, s41, v2, vcc_lo
	v_add_co_u32 v83, vcc_lo, s42, v1
	v_add_co_ci_u32_e32 v84, vcc_lo, s43, v2, vcc_lo
	v_add_co_u32 v85, vcc_lo, s40, v4
	v_lshlrev_b64 v[1:2], 3, v[6:7]
	v_add_co_ci_u32_e32 v86, vcc_lo, s41, v5, vcc_lo
	v_add_co_u32 v87, vcc_lo, s42, v4
	v_add_co_ci_u32_e32 v88, vcc_lo, s43, v5, vcc_lo
	s_delay_alu instid0(VALU_DEP_4)
	v_add_co_u32 v89, vcc_lo, s40, v1
	v_add_co_ci_u32_e32 v90, vcc_lo, s41, v2, vcc_lo
	v_add_co_u32 v91, vcc_lo, s42, v1
	v_add_co_ci_u32_e32 v92, vcc_lo, s43, v2, vcc_lo
	s_branch .LBB132_5
.LBB132_3:                              ;   in Loop: Header=BB132_5 Depth=1
	s_or_b32 exec_lo, exec_lo, s17
	s_waitcnt vmcnt(0)
	v_mul_f64 v[1:2], v[17:18], v[33:34]
	ds_bpermute_b32 v4, v3, v55
	ds_bpermute_b32 v5, v3, v56
	v_mul_f64 v[6:7], v[19:20], v[35:36]
	v_mul_f64 v[8:9], v[21:22], v[37:38]
	s_waitcnt lgkmcnt(0)
	v_fma_f64 v[1:2], v[1:2], v[4:5], v[51:52]
	ds_bpermute_b32 v4, v3, v55 offset:4
	ds_bpermute_b32 v5, v3, v56 offset:4
	s_waitcnt lgkmcnt(0)
	v_fma_f64 v[1:2], v[6:7], v[4:5], v[1:2]
	ds_bpermute_b32 v4, v3, v55 offset:8
	ds_bpermute_b32 v5, v3, v56 offset:8
	v_mul_f64 v[6:7], v[23:24], v[39:40]
	s_waitcnt lgkmcnt(0)
	v_fma_f64 v[1:2], v[8:9], v[4:5], v[1:2]
	ds_bpermute_b32 v4, v3, v55 offset:12
	ds_bpermute_b32 v5, v3, v56 offset:12
	v_mul_f64 v[8:9], v[25:26], v[41:42]
	;; [unrolled: 5-line block ×3, first 2 shown]
	s_waitcnt lgkmcnt(0)
	v_fma_f64 v[1:2], v[8:9], v[4:5], v[1:2]
	ds_bpermute_b32 v4, v3, v55 offset:20
	ds_bpermute_b32 v5, v3, v56 offset:20
	s_waitcnt lgkmcnt(0)
	v_fma_f64 v[1:2], v[6:7], v[4:5], v[1:2]
	v_mul_f64 v[4:5], v[29:30], v[45:46]
	ds_bpermute_b32 v6, v3, v55 offset:24
	ds_bpermute_b32 v7, v3, v56 offset:24
	s_waitcnt lgkmcnt(0)
	v_fma_f64 v[1:2], v[4:5], v[6:7], v[1:2]
	ds_bpermute_b32 v4, v3, v55 offset:28
	ds_bpermute_b32 v5, v3, v56 offset:28
.LBB132_4:                              ;   in Loop: Header=BB132_5 Depth=1
	v_mul_f64 v[6:7], v[47:48], v[31:32]
	v_add_co_u32 v61, vcc_lo, v61, s12
	v_add_co_ci_u32_e32 v62, vcc_lo, s13, v62, vcc_lo
	v_add_co_u32 v63, vcc_lo, v63, s12
	v_add_co_ci_u32_e32 v64, vcc_lo, s13, v64, vcc_lo
	v_add_co_u32 v65, vcc_lo, v65, s12
	v_add_co_ci_u32_e32 v66, vcc_lo, s13, v66, vcc_lo
	v_add_co_u32 v67, vcc_lo, v67, s12
	v_add_co_ci_u32_e32 v68, vcc_lo, s13, v68, vcc_lo
	v_add_co_u32 v69, vcc_lo, v69, s12
	v_add_co_ci_u32_e32 v70, vcc_lo, s13, v70, vcc_lo
	v_add_co_u32 v71, vcc_lo, v71, s12
	v_add_co_ci_u32_e32 v72, vcc_lo, s13, v72, vcc_lo
	v_add_co_u32 v73, vcc_lo, v73, s12
	v_add_co_ci_u32_e32 v74, vcc_lo, s13, v74, vcc_lo
	v_add_co_u32 v75, vcc_lo, v75, s12
	v_add_co_ci_u32_e32 v76, vcc_lo, s13, v76, vcc_lo
	v_add_co_u32 v77, vcc_lo, v77, s12
	v_add_co_ci_u32_e32 v78, vcc_lo, s13, v78, vcc_lo
	v_add_co_u32 v79, vcc_lo, v79, s12
	s_waitcnt lgkmcnt(0)
	v_fma_f64 v[51:52], v[6:7], v[4:5], v[1:2]
	v_add_co_ci_u32_e32 v80, vcc_lo, s13, v80, vcc_lo
	v_add_co_u32 v81, vcc_lo, v81, s12
	v_add_co_ci_u32_e32 v82, vcc_lo, s13, v82, vcc_lo
	v_add_co_u32 v83, vcc_lo, v83, s12
	;; [unrolled: 2-line block ×5, first 2 shown]
	s_add_u32 s34, s34, s44
	v_add_co_ci_u32_e32 v60, vcc_lo, 0, v60, vcc_lo
	s_addc_u32 s35, s35, 0
	v_add_co_u32 v89, vcc_lo, v89, s12
	v_add_co_ci_u32_e32 v90, vcc_lo, s13, v90, vcc_lo
	v_cmp_lt_i64_e64 s17, s[34:35], s[36:37]
	v_add_co_u32 v91, vcc_lo, v91, s12
	v_add_co_ci_u32_e32 v92, vcc_lo, s13, v92, vcc_lo
	s_add_u32 s4, s4, s44
	s_addc_u32 s5, s5, 0
	s_delay_alu instid0(VALU_DEP_3)
	s_and_b32 vcc_lo, exec_lo, s17
	s_cbranch_vccz .LBB132_49
.LBB132_5:                              ; =>This Inner Loop Header: Depth=1
	s_add_u32 s18, s8, s4
	s_addc_u32 s19, 0, s5
	v_add_co_u32 v53, vcc_lo, s8, v58
	v_cmp_ge_i64_e64 s17, s[18:19], s[36:37]
	v_add_co_ci_u32_e32 v54, vcc_lo, 0, v60, vcc_lo
	s_delay_alu instid0(VALU_DEP_2)
	s_and_b32 vcc_lo, exec_lo, s17
	s_cbranch_vccz .LBB132_27
; %bb.6:                                ;   in Loop: Header=BB132_5 Depth=1
	s_load_b32 s17, s[10:11], 0xc
	v_mov_b32_e32 v55, 0
	v_mov_b32_e32 v56, 0
	s_waitcnt lgkmcnt(0)
	s_and_b32 s17, s17, 0xffff
	s_delay_alu instid0(SALU_CYCLE_1) | instskip(SKIP_1) | instid1(VALU_DEP_1)
	v_mad_u32_u24 v1, v57, s17, v59
	s_mov_b32 s17, exec_lo
	v_and_b32_e32 v1, 31, v1
	s_delay_alu instid0(VALU_DEP_1)
	v_cmpx_gt_u32_e32 8, v1
	s_cbranch_execz .LBB132_10
; %bb.7:                                ;   in Loop: Header=BB132_5 Depth=1
	v_add_co_u32 v1, vcc_lo, v53, v1
	v_mov_b32_e32 v55, 0
	v_add_co_ci_u32_e32 v2, vcc_lo, 0, v54, vcc_lo
	v_mov_b32_e32 v56, 0
	s_mov_b32 s18, exec_lo
	s_delay_alu instid0(VALU_DEP_2)
	v_cmpx_gt_i64_e64 s[36:37], v[1:2]
	s_cbranch_execz .LBB132_9
; %bb.8:                                ;   in Loop: Header=BB132_5 Depth=1
	v_lshlrev_b64 v[1:2], 3, v[1:2]
	s_delay_alu instid0(VALU_DEP_1) | instskip(NEXT) | instid1(VALU_DEP_2)
	v_add_co_u32 v1, vcc_lo, s6, v1
	v_add_co_ci_u32_e32 v2, vcc_lo, s7, v2, vcc_lo
	global_load_b64 v[55:56], v[1:2], off
.LBB132_9:                              ;   in Loop: Header=BB132_5 Depth=1
	s_or_b32 exec_lo, exec_lo, s18
.LBB132_10:                             ;   in Loop: Header=BB132_5 Depth=1
	s_delay_alu instid0(SALU_CYCLE_1)
	s_or_b32 exec_lo, exec_lo, s17
	s_mov_b32 s31, s16
	s_mov_b32 s17, s16
	;; [unrolled: 1-line block ×15, first 2 shown]
	s_delay_alu instid0(SALU_CYCLE_1)
	v_dual_mov_b32 v32, s31 :: v_dual_mov_b32 v31, s30
	v_dual_mov_b32 v30, s29 :: v_dual_mov_b32 v29, s28
	;; [unrolled: 1-line block ×8, first 2 shown]
	v_cmp_gt_i64_e32 vcc_lo, s[36:37], v[53:54]
	v_dual_mov_b32 v48, v32 :: v_dual_mov_b32 v47, v31
	v_dual_mov_b32 v46, v30 :: v_dual_mov_b32 v45, v29
	;; [unrolled: 1-line block ×8, first 2 shown]
	s_and_b32 s18, s3, vcc_lo
	s_delay_alu instid0(SALU_CYCLE_1)
	s_and_saveexec_b32 s17, s18
	s_cbranch_execz .LBB132_12
; %bb.11:                               ;   in Loop: Header=BB132_5 Depth=1
	v_add_co_u32 v1, vcc_lo, v89, v49
	v_add_co_ci_u32_e32 v2, vcc_lo, v90, v50, vcc_lo
	v_add_co_u32 v4, vcc_lo, v91, v49
	v_add_co_ci_u32_e32 v5, vcc_lo, v92, v50, vcc_lo
	global_load_b64 v[1:2], v[1:2], off
	v_mov_b32_e32 v16, v3
	v_mov_b32_e32 v6, v3
	global_load_b64 v[17:18], v[4:5], off
	v_mov_b32_e32 v4, v3
	v_mov_b32_e32 v5, v3
	;; [unrolled: 1-line block ×11, first 2 shown]
	s_waitcnt vmcnt(1)
	v_dual_mov_b32 v19, v3 :: v_dual_mov_b32 v48, v16
	v_dual_mov_b32 v20, v3 :: v_dual_mov_b32 v45, v13
	;; [unrolled: 1-line block ×7, first 2 shown]
	v_mov_b32_e32 v26, v3
	v_dual_mov_b32 v27, v3 :: v_dual_mov_b32 v40, v8
	v_mov_b32_e32 v28, v3
	v_dual_mov_b32 v29, v3 :: v_dual_mov_b32 v38, v6
	;; [unrolled: 2-line block ×3, first 2 shown]
	v_mov_b32_e32 v47, v15
	v_mov_b32_e32 v43, v11
	;; [unrolled: 1-line block ×5, first 2 shown]
	v_dual_mov_b32 v34, v2 :: v_dual_mov_b32 v33, v1
.LBB132_12:                             ;   in Loop: Header=BB132_5 Depth=1
	s_or_b32 exec_lo, exec_lo, s17
	v_add_co_u32 v1, vcc_lo, v53, 1
	v_add_co_ci_u32_e32 v2, vcc_lo, 0, v54, vcc_lo
	s_delay_alu instid0(VALU_DEP_1) | instskip(SKIP_1) | instid1(SALU_CYCLE_1)
	v_cmp_gt_i64_e32 vcc_lo, s[36:37], v[1:2]
	s_and_b32 s18, s3, vcc_lo
	s_and_saveexec_b32 s17, s18
	s_cbranch_execz .LBB132_14
; %bb.13:                               ;   in Loop: Header=BB132_5 Depth=1
	v_add_co_u32 v1, vcc_lo, v85, v49
	v_add_co_ci_u32_e32 v2, vcc_lo, v86, v50, vcc_lo
	v_add_co_u32 v4, vcc_lo, v87, v49
	v_add_co_ci_u32_e32 v5, vcc_lo, v88, v50, vcc_lo
	global_load_b64 v[35:36], v[1:2], off
	global_load_b64 v[19:20], v[4:5], off
.LBB132_14:                             ;   in Loop: Header=BB132_5 Depth=1
	s_or_b32 exec_lo, exec_lo, s17
	v_add_co_u32 v1, vcc_lo, v53, 2
	v_add_co_ci_u32_e32 v2, vcc_lo, 0, v54, vcc_lo
	s_delay_alu instid0(VALU_DEP_1) | instskip(SKIP_1) | instid1(SALU_CYCLE_1)
	v_cmp_gt_i64_e32 vcc_lo, s[36:37], v[1:2]
	s_and_b32 s18, s3, vcc_lo
	s_and_saveexec_b32 s17, s18
	s_cbranch_execz .LBB132_16
; %bb.15:                               ;   in Loop: Header=BB132_5 Depth=1
	v_add_co_u32 v1, vcc_lo, v81, v49
	v_add_co_ci_u32_e32 v2, vcc_lo, v82, v50, vcc_lo
	v_add_co_u32 v4, vcc_lo, v83, v49
	v_add_co_ci_u32_e32 v5, vcc_lo, v84, v50, vcc_lo
	global_load_b64 v[37:38], v[1:2], off
	global_load_b64 v[21:22], v[4:5], off
.LBB132_16:                             ;   in Loop: Header=BB132_5 Depth=1
	;; [unrolled: 16-line block ×7, first 2 shown]
	s_or_b32 exec_lo, exec_lo, s17
	s_waitcnt vmcnt(0)
	v_mul_f64 v[1:2], v[17:18], v[33:34]
	ds_bpermute_b32 v4, v3, v55
	ds_bpermute_b32 v5, v3, v56
	v_mul_f64 v[6:7], v[19:20], v[35:36]
	v_mul_f64 v[8:9], v[21:22], v[37:38]
	s_waitcnt lgkmcnt(0)
	v_fma_f64 v[1:2], v[1:2], v[4:5], v[51:52]
	ds_bpermute_b32 v4, v3, v55 offset:4
	ds_bpermute_b32 v5, v3, v56 offset:4
	s_waitcnt lgkmcnt(0)
	v_fma_f64 v[1:2], v[6:7], v[4:5], v[1:2]
	ds_bpermute_b32 v4, v3, v55 offset:8
	ds_bpermute_b32 v5, v3, v56 offset:8
	v_mul_f64 v[6:7], v[23:24], v[39:40]
	s_waitcnt lgkmcnt(0)
	v_fma_f64 v[1:2], v[8:9], v[4:5], v[1:2]
	ds_bpermute_b32 v4, v3, v55 offset:12
	ds_bpermute_b32 v5, v3, v56 offset:12
	v_mul_f64 v[8:9], v[25:26], v[41:42]
	;; [unrolled: 5-line block ×3, first 2 shown]
	s_waitcnt lgkmcnt(0)
	v_fma_f64 v[1:2], v[8:9], v[4:5], v[1:2]
	ds_bpermute_b32 v4, v3, v55 offset:20
	ds_bpermute_b32 v5, v3, v56 offset:20
	s_waitcnt lgkmcnt(0)
	v_fma_f64 v[1:2], v[6:7], v[4:5], v[1:2]
	v_mul_f64 v[4:5], v[29:30], v[45:46]
	ds_bpermute_b32 v6, v3, v55 offset:24
	ds_bpermute_b32 v7, v3, v56 offset:24
	s_waitcnt lgkmcnt(0)
	v_fma_f64 v[1:2], v[4:5], v[6:7], v[1:2]
	ds_bpermute_b32 v4, v3, v55 offset:28
	ds_bpermute_b32 v5, v3, v56 offset:28
	s_branch .LBB132_4
.LBB132_27:                             ;   in Loop: Header=BB132_5 Depth=1
                                        ; implicit-def: $vgpr1_vgpr2
                                        ; implicit-def: $vgpr17_vgpr18_vgpr19_vgpr20_vgpr21_vgpr22_vgpr23_vgpr24_vgpr25_vgpr26_vgpr27_vgpr28_vgpr29_vgpr30_vgpr31_vgpr32
                                        ; implicit-def: $vgpr33_vgpr34_vgpr35_vgpr36_vgpr37_vgpr38_vgpr39_vgpr40_vgpr41_vgpr42_vgpr43_vgpr44_vgpr45_vgpr46_vgpr47_vgpr48
                                        ; implicit-def: $vgpr4
	s_cbranch_execz .LBB132_4
; %bb.28:                               ;   in Loop: Header=BB132_5 Depth=1
	s_load_b32 s17, s[10:11], 0x0
	v_mov_b32_e32 v55, 0
	v_mov_b32_e32 v56, 0
	s_waitcnt lgkmcnt(0)
	s_cmp_lt_u32 s14, s17
	s_cselect_b32 s17, 12, 18
	s_delay_alu instid0(SALU_CYCLE_1)
	s_add_u32 s18, s10, s17
	s_addc_u32 s19, s11, 0
	s_mov_b32 s17, exec_lo
	global_load_u16 v1, v3, s[18:19]
	s_waitcnt vmcnt(0)
	v_mad_u32_u24 v1, v57, v1, v59
	s_delay_alu instid0(VALU_DEP_1) | instskip(NEXT) | instid1(VALU_DEP_1)
	v_and_b32_e32 v1, 31, v1
	v_cmpx_gt_u32_e32 8, v1
	s_cbranch_execz .LBB132_32
; %bb.29:                               ;   in Loop: Header=BB132_5 Depth=1
	v_add_co_u32 v1, vcc_lo, v53, v1
	v_mov_b32_e32 v55, 0
	v_add_co_ci_u32_e32 v2, vcc_lo, 0, v54, vcc_lo
	v_mov_b32_e32 v56, 0
	s_mov_b32 s18, exec_lo
	s_delay_alu instid0(VALU_DEP_2)
	v_cmpx_gt_i64_e64 s[36:37], v[1:2]
	s_cbranch_execz .LBB132_31
; %bb.30:                               ;   in Loop: Header=BB132_5 Depth=1
	v_lshlrev_b64 v[1:2], 3, v[1:2]
	s_delay_alu instid0(VALU_DEP_1) | instskip(NEXT) | instid1(VALU_DEP_2)
	v_add_co_u32 v1, vcc_lo, s6, v1
	v_add_co_ci_u32_e32 v2, vcc_lo, s7, v2, vcc_lo
	global_load_b64 v[55:56], v[1:2], off
.LBB132_31:                             ;   in Loop: Header=BB132_5 Depth=1
	s_or_b32 exec_lo, exec_lo, s18
.LBB132_32:                             ;   in Loop: Header=BB132_5 Depth=1
	s_delay_alu instid0(SALU_CYCLE_1)
	s_or_b32 exec_lo, exec_lo, s17
	s_mov_b32 s31, s16
	s_mov_b32 s17, s16
	s_mov_b32 s18, s16
	s_mov_b32 s19, s16
	s_mov_b32 s20, s16
	s_mov_b32 s21, s16
	s_mov_b32 s22, s16
	s_mov_b32 s23, s16
	s_mov_b32 s24, s16
	s_mov_b32 s25, s16
	s_mov_b32 s26, s16
	s_mov_b32 s27, s16
	s_mov_b32 s28, s16
	s_mov_b32 s29, s16
	s_mov_b32 s30, s16
	s_delay_alu instid0(SALU_CYCLE_1)
	v_dual_mov_b32 v32, s31 :: v_dual_mov_b32 v31, s30
	v_dual_mov_b32 v30, s29 :: v_dual_mov_b32 v29, s28
	;; [unrolled: 1-line block ×16, first 2 shown]
	s_and_saveexec_b32 s17, s3
	s_cbranch_execnz .LBB132_40
; %bb.33:                               ;   in Loop: Header=BB132_5 Depth=1
	s_or_b32 exec_lo, exec_lo, s17
	s_and_saveexec_b32 s17, s3
	s_cbranch_execnz .LBB132_41
.LBB132_34:                             ;   in Loop: Header=BB132_5 Depth=1
	s_or_b32 exec_lo, exec_lo, s17
	s_and_saveexec_b32 s17, s3
	s_cbranch_execnz .LBB132_42
.LBB132_35:                             ;   in Loop: Header=BB132_5 Depth=1
	s_or_b32 exec_lo, exec_lo, s17
	s_and_saveexec_b32 s17, s3
	s_cbranch_execnz .LBB132_43
.LBB132_36:                             ;   in Loop: Header=BB132_5 Depth=1
	s_or_b32 exec_lo, exec_lo, s17
	s_and_saveexec_b32 s17, s3
	s_cbranch_execnz .LBB132_44
.LBB132_37:                             ;   in Loop: Header=BB132_5 Depth=1
	s_or_b32 exec_lo, exec_lo, s17
	s_and_saveexec_b32 s17, s3
	s_cbranch_execnz .LBB132_45
.LBB132_38:                             ;   in Loop: Header=BB132_5 Depth=1
	s_or_b32 exec_lo, exec_lo, s17
	s_and_saveexec_b32 s17, s3
	s_cbranch_execnz .LBB132_46
.LBB132_39:                             ;   in Loop: Header=BB132_5 Depth=1
	s_or_b32 exec_lo, exec_lo, s17
	s_and_saveexec_b32 s17, s3
	s_cbranch_execz .LBB132_3
	s_branch .LBB132_47
.LBB132_40:                             ;   in Loop: Header=BB132_5 Depth=1
	v_add_co_u32 v1, vcc_lo, v89, v49
	v_add_co_ci_u32_e32 v2, vcc_lo, v90, v50, vcc_lo
	v_add_co_u32 v4, vcc_lo, v91, v49
	v_add_co_ci_u32_e32 v5, vcc_lo, v92, v50, vcc_lo
	global_load_b64 v[1:2], v[1:2], off
	v_mov_b32_e32 v16, v3
	v_mov_b32_e32 v6, v3
	global_load_b64 v[17:18], v[4:5], off
	v_mov_b32_e32 v4, v3
	v_mov_b32_e32 v5, v3
	v_mov_b32_e32 v7, v3
	v_mov_b32_e32 v8, v3
	v_mov_b32_e32 v9, v3
	v_mov_b32_e32 v10, v3
	v_mov_b32_e32 v11, v3
	v_mov_b32_e32 v12, v3
	v_mov_b32_e32 v13, v3
	v_mov_b32_e32 v14, v3
	v_mov_b32_e32 v15, v3
	s_waitcnt vmcnt(1)
	v_dual_mov_b32 v19, v3 :: v_dual_mov_b32 v48, v16
	v_dual_mov_b32 v20, v3 :: v_dual_mov_b32 v45, v13
	;; [unrolled: 1-line block ×7, first 2 shown]
	v_mov_b32_e32 v26, v3
	v_dual_mov_b32 v27, v3 :: v_dual_mov_b32 v40, v8
	v_mov_b32_e32 v28, v3
	v_dual_mov_b32 v29, v3 :: v_dual_mov_b32 v38, v6
	;; [unrolled: 2-line block ×3, first 2 shown]
	v_mov_b32_e32 v47, v15
	v_mov_b32_e32 v43, v11
	;; [unrolled: 1-line block ×5, first 2 shown]
	v_dual_mov_b32 v34, v2 :: v_dual_mov_b32 v33, v1
	s_or_b32 exec_lo, exec_lo, s17
	s_and_saveexec_b32 s17, s3
	s_cbranch_execz .LBB132_34
.LBB132_41:                             ;   in Loop: Header=BB132_5 Depth=1
	v_add_co_u32 v1, vcc_lo, v85, v49
	v_add_co_ci_u32_e32 v2, vcc_lo, v86, v50, vcc_lo
	v_add_co_u32 v4, vcc_lo, v87, v49
	v_add_co_ci_u32_e32 v5, vcc_lo, v88, v50, vcc_lo
	global_load_b64 v[35:36], v[1:2], off
	global_load_b64 v[19:20], v[4:5], off
	s_or_b32 exec_lo, exec_lo, s17
	s_and_saveexec_b32 s17, s3
	s_cbranch_execz .LBB132_35
.LBB132_42:                             ;   in Loop: Header=BB132_5 Depth=1
	v_add_co_u32 v1, vcc_lo, v81, v49
	v_add_co_ci_u32_e32 v2, vcc_lo, v82, v50, vcc_lo
	v_add_co_u32 v4, vcc_lo, v83, v49
	v_add_co_ci_u32_e32 v5, vcc_lo, v84, v50, vcc_lo
	global_load_b64 v[37:38], v[1:2], off
	global_load_b64 v[21:22], v[4:5], off
	s_or_b32 exec_lo, exec_lo, s17
	s_and_saveexec_b32 s17, s3
	s_cbranch_execz .LBB132_36
.LBB132_43:                             ;   in Loop: Header=BB132_5 Depth=1
	v_add_co_u32 v1, vcc_lo, v77, v49
	v_add_co_ci_u32_e32 v2, vcc_lo, v78, v50, vcc_lo
	v_add_co_u32 v4, vcc_lo, v79, v49
	v_add_co_ci_u32_e32 v5, vcc_lo, v80, v50, vcc_lo
	global_load_b64 v[39:40], v[1:2], off
	global_load_b64 v[23:24], v[4:5], off
	s_or_b32 exec_lo, exec_lo, s17
	s_and_saveexec_b32 s17, s3
	s_cbranch_execz .LBB132_37
.LBB132_44:                             ;   in Loop: Header=BB132_5 Depth=1
	v_add_co_u32 v1, vcc_lo, v73, v49
	v_add_co_ci_u32_e32 v2, vcc_lo, v74, v50, vcc_lo
	v_add_co_u32 v4, vcc_lo, v75, v49
	v_add_co_ci_u32_e32 v5, vcc_lo, v76, v50, vcc_lo
	global_load_b64 v[41:42], v[1:2], off
	global_load_b64 v[25:26], v[4:5], off
	s_or_b32 exec_lo, exec_lo, s17
	s_and_saveexec_b32 s17, s3
	s_cbranch_execz .LBB132_38
.LBB132_45:                             ;   in Loop: Header=BB132_5 Depth=1
	v_add_co_u32 v1, vcc_lo, v69, v49
	v_add_co_ci_u32_e32 v2, vcc_lo, v70, v50, vcc_lo
	v_add_co_u32 v4, vcc_lo, v71, v49
	v_add_co_ci_u32_e32 v5, vcc_lo, v72, v50, vcc_lo
	global_load_b64 v[43:44], v[1:2], off
	global_load_b64 v[27:28], v[4:5], off
	s_or_b32 exec_lo, exec_lo, s17
	s_and_saveexec_b32 s17, s3
	s_cbranch_execz .LBB132_39
.LBB132_46:                             ;   in Loop: Header=BB132_5 Depth=1
	v_add_co_u32 v1, vcc_lo, v65, v49
	v_add_co_ci_u32_e32 v2, vcc_lo, v66, v50, vcc_lo
	v_add_co_u32 v4, vcc_lo, v67, v49
	v_add_co_ci_u32_e32 v5, vcc_lo, v68, v50, vcc_lo
	global_load_b64 v[45:46], v[1:2], off
	global_load_b64 v[29:30], v[4:5], off
	s_or_b32 exec_lo, exec_lo, s17
	s_and_saveexec_b32 s17, s3
	s_cbranch_execz .LBB132_3
.LBB132_47:                             ;   in Loop: Header=BB132_5 Depth=1
	v_add_co_u32 v1, vcc_lo, v61, v49
	v_add_co_ci_u32_e32 v2, vcc_lo, v62, v50, vcc_lo
	v_add_co_u32 v4, vcc_lo, v63, v49
	v_add_co_ci_u32_e32 v5, vcc_lo, v64, v50, vcc_lo
	global_load_b64 v[47:48], v[1:2], off
	global_load_b64 v[31:32], v[4:5], off
	s_branch .LBB132_3
.LBB132_48:
                                        ; implicit-def: $vgpr51_vgpr52
	s_load_b64 s[4:5], s[0:1], 0x30
	s_branch .LBB132_50
.LBB132_49:
	s_load_b64 s[4:5], s[0:1], 0x30
	s_cbranch_execnz .LBB132_82
.LBB132_50:
	v_mov_b32_e32 v51, 0
	v_mov_b32_e32 v52, 0
	s_and_not1_b32 vcc_lo, exec_lo, s33
	s_cbranch_vccnz .LBB132_82
; %bb.51:
	v_bfe_u32 v85, v0, 10, 10
	v_dual_mov_b32 v3, 0 :: v_dual_and_b32 v86, 0x3ff, v0
	s_add_u32 s10, s0, 64
	s_load_b32 s3, s[0:1], 0x44
	s_delay_alu instid0(VALU_DEP_2)
	v_lshlrev_b32_e32 v1, 6, v85
	s_addc_u32 s11, s1, 0
	v_mov_b32_e32 v88, v3
	s_lshl_b64 s[12:13], s[8:9], 3
	v_dual_mov_b32 v81, 0 :: v_dual_add_nc_u32 v2, s15, v86
	v_add_co_u32 v1, s12, v1, s12
	s_delay_alu instid0(VALU_DEP_1) | instskip(NEXT) | instid1(VALU_DEP_3)
	v_add_co_ci_u32_e64 v4, null, 0, s13, s12
	v_lshlrev_b64 v[53:54], 3, v[2:3]
	s_delay_alu instid0(VALU_DEP_3) | instskip(NEXT) | instid1(VALU_DEP_3)
	v_add_co_u32 v6, vcc_lo, v1, 8
	v_add_co_ci_u32_e32 v5, vcc_lo, 0, v4, vcc_lo
	v_add_co_u32 v9, vcc_lo, v1, 16
	v_add_co_ci_u32_e32 v2, vcc_lo, 0, v4, vcc_lo
	v_add_co_u32 v11, vcc_lo, v1, 24
	v_dual_mov_b32 v82, 0 :: v_dual_lshlrev_b32 v87, 3, v85
	s_delay_alu instid0(VALU_DEP_3)
	v_mul_lo_u32 v10, s38, v2
	v_add_co_ci_u32_e32 v2, vcc_lo, 0, v4, vcc_lo
	v_add_co_u32 v13, vcc_lo, v1, 32
	s_waitcnt lgkmcnt(0)
	s_lshl_b32 s15, s3, 3
	v_mul_lo_u32 v7, s38, v5
	v_add_co_ci_u32_e32 v5, vcc_lo, 0, v4, vcc_lo
	v_add_co_u32 v17, vcc_lo, v1, 40
	s_mul_i32 s3, s39, s15
	s_mul_hi_u32 s12, s38, s15
	v_mul_lo_u32 v14, s38, v2
	v_add_co_ci_u32_e32 v2, vcc_lo, 0, v4, vcc_lo
	s_add_i32 s13, s12, s3
	v_add_co_u32 v19, vcc_lo, v1, 48
	v_add_co_u32 v24, s3, v87, s8
	v_mul_lo_u32 v16, s38, v5
	v_add_co_ci_u32_e32 v5, vcc_lo, 0, v4, vcc_lo
	v_add_co_ci_u32_e64 v25, null, 0, 0, s3
	v_mul_lo_u32 v20, s38, v2
	s_delay_alu instid0(VALU_DEP_3)
	v_mul_lo_u32 v22, s38, v5
	v_add_co_u32 v26, vcc_lo, v1, 56
	v_mul_lo_u32 v5, s39, v24
	v_mul_lo_u32 v27, s38, v25
	v_mad_u64_u32 v[1:2], null, s38, v24, 0
	v_add_co_ci_u32_e32 v4, vcc_lo, 0, v4, vcc_lo
	v_mad_u64_u32 v[49:50], null, s38, v6, s[40:41]
	v_mul_lo_u32 v8, s39, v6
	s_delay_alu instid0(VALU_DEP_3) | instskip(SKIP_3) | instid1(VALU_DEP_3)
	v_mul_lo_u32 v28, s38, v4
	v_add3_u32 v2, v2, v27, v5
	v_mad_u64_u32 v[67:68], null, s38, v6, s[42:43]
	v_mad_u64_u32 v[55:56], null, s38, v9, s[40:41]
	v_lshlrev_b64 v[4:5], 3, v[1:2]
	v_mul_lo_u32 v12, s39, v9
	v_mad_u64_u32 v[69:70], null, s38, v9, s[42:43]
	v_add3_u32 v50, v8, v50, v7
	v_add3_u32 v68, v8, v68, v7
	v_add_co_u32 v89, vcc_lo, s40, v4
	v_add_co_ci_u32_e32 v90, vcc_lo, s41, v5, vcc_lo
	v_add_co_u32 v8, vcc_lo, v24, 7
	v_add_co_ci_u32_e32 v6, vcc_lo, 0, v25, vcc_lo
	v_mad_u64_u32 v[57:58], null, s38, v11, s[40:41]
	v_mul_lo_u32 v15, s39, v11
	v_mad_u64_u32 v[71:72], null, s38, v11, s[42:43]
	v_add3_u32 v56, v12, v56, v10
	v_add3_u32 v70, v12, v70, v10
	v_add_co_u32 v12, vcc_lo, v24, 6
	v_mul_lo_u32 v10, s39, v8
	v_mul_lo_u32 v11, s38, v6
	v_mad_u64_u32 v[6:7], null, s38, v8, 0
	v_add_co_ci_u32_e32 v9, vcc_lo, 0, v25, vcc_lo
	v_mad_u64_u32 v[59:60], null, s38, v13, s[40:41]
	v_mul_lo_u32 v18, s39, v13
	v_add3_u32 v58, v15, v58, v14
	v_mad_u64_u32 v[73:74], null, s38, v13, s[42:43]
	v_add3_u32 v72, v15, v72, v14
	v_mul_lo_u32 v13, s39, v12
	v_mul_lo_u32 v14, s38, v9
	v_mad_u64_u32 v[8:9], null, s38, v12, 0
	v_add3_u32 v7, v7, v11, v10
	v_add_co_u32 v91, vcc_lo, s42, v4
	v_add_co_ci_u32_e32 v92, vcc_lo, s43, v5, vcc_lo
	s_delay_alu instid0(VALU_DEP_3) | instskip(SKIP_3) | instid1(VALU_DEP_4)
	v_lshlrev_b64 v[4:5], 3, v[6:7]
	v_add3_u32 v9, v9, v14, v13
	v_add_co_u32 v10, vcc_lo, v24, 5
	v_add_co_ci_u32_e32 v11, vcc_lo, 0, v25, vcc_lo
	v_add_co_u32 v93, vcc_lo, s40, v4
	s_delay_alu instid0(VALU_DEP_4)
	v_lshlrev_b64 v[6:7], 3, v[8:9]
	v_add_co_ci_u32_e32 v94, vcc_lo, s41, v5, vcc_lo
	v_mul_lo_u32 v12, s39, v10
	v_mul_lo_u32 v11, s38, v11
	v_mad_u64_u32 v[8:9], null, s38, v10, 0
	v_add_co_u32 v95, vcc_lo, s42, v4
	v_add_co_ci_u32_e32 v96, vcc_lo, s43, v5, vcc_lo
	v_add_co_u32 v97, vcc_lo, s40, v6
	v_add_co_ci_u32_e32 v98, vcc_lo, s41, v7, vcc_lo
	v_add_co_u32 v10, vcc_lo, v24, 4
	v_add3_u32 v9, v9, v11, v12
	v_add_co_u32 v99, s3, s42, v6
	v_add_co_ci_u32_e32 v6, vcc_lo, 0, v25, vcc_lo
	v_add_co_u32 v12, vcc_lo, v24, 3
	s_delay_alu instid0(VALU_DEP_4)
	v_lshlrev_b64 v[4:5], 3, v[8:9]
	v_add_co_ci_u32_e32 v8, vcc_lo, 0, v25, vcc_lo
	v_add_co_ci_u32_e64 v100, s3, s43, v7, s3
	v_mul_lo_u32 v11, s39, v10
	v_mul_lo_u32 v13, s38, v6
	v_mad_u64_u32 v[6:7], null, s38, v10, 0
	v_mul_lo_u32 v10, s39, v12
	v_mul_lo_u32 v14, s38, v8
	v_mad_u64_u32 v[8:9], null, s38, v12, 0
	v_add_co_u32 v101, vcc_lo, s40, v4
	v_add_co_ci_u32_e32 v102, vcc_lo, s41, v5, vcc_lo
	v_add3_u32 v7, v7, v13, v11
	v_add_co_u32 v103, vcc_lo, s42, v4
	v_add_co_ci_u32_e32 v104, vcc_lo, s43, v5, vcc_lo
	v_add3_u32 v9, v9, v14, v10
	v_add_co_u32 v10, vcc_lo, v24, 2
	v_lshlrev_b64 v[4:5], 3, v[6:7]
	v_add_co_ci_u32_e32 v11, vcc_lo, 0, v25, vcc_lo
	s_delay_alu instid0(VALU_DEP_4) | instskip(NEXT) | instid1(VALU_DEP_4)
	v_lshlrev_b64 v[6:7], 3, v[8:9]
	v_mul_lo_u32 v12, s39, v10
	v_mad_u64_u32 v[8:9], null, s38, v10, 0
	v_add_co_u32 v105, vcc_lo, s40, v4
	v_mul_lo_u32 v11, s38, v11
	v_add_co_ci_u32_e32 v106, vcc_lo, s41, v5, vcc_lo
	v_add_co_u32 v107, vcc_lo, s42, v4
	v_add_co_ci_u32_e32 v108, vcc_lo, s43, v5, vcc_lo
	v_add_co_u32 v109, vcc_lo, s40, v6
	v_add_co_ci_u32_e32 v110, vcc_lo, s41, v7, vcc_lo
	v_add3_u32 v9, v9, v11, v12
	v_add_co_u32 v111, vcc_lo, s42, v6
	v_add_co_ci_u32_e32 v112, vcc_lo, s43, v7, vcc_lo
	v_add_co_u32 v1, vcc_lo, v1, s38
	s_delay_alu instid0(VALU_DEP_4) | instskip(SKIP_3) | instid1(VALU_DEP_4)
	v_lshlrev_b64 v[4:5], 3, v[8:9]
	v_add_co_ci_u32_e32 v2, vcc_lo, s39, v2, vcc_lo
	v_mad_u64_u32 v[61:62], null, s38, v17, s[40:41]
	v_mul_lo_u32 v21, s39, v17
	v_add_co_u32 v113, vcc_lo, s40, v4
	s_delay_alu instid0(VALU_DEP_4)
	v_lshlrev_b64 v[1:2], 3, v[1:2]
	v_add_co_ci_u32_e32 v114, vcc_lo, s41, v5, vcc_lo
	v_mad_u64_u32 v[63:64], null, s38, v19, s[40:41]
	v_mul_lo_u32 v23, s39, v19
	v_mad_u64_u32 v[65:66], null, s38, v26, s[40:41]
	v_mul_lo_u32 v29, s39, v26
	v_mad_u64_u32 v[75:76], null, s38, v17, s[42:43]
	v_mad_u64_u32 v[77:78], null, s38, v19, s[42:43]
	;; [unrolled: 1-line block ×3, first 2 shown]
	v_add_co_u32 v115, vcc_lo, s42, v4
	v_add_co_ci_u32_e32 v116, vcc_lo, s43, v5, vcc_lo
	v_add_co_u32 v117, vcc_lo, s40, v1
	v_add_co_ci_u32_e32 v118, vcc_lo, s41, v2, vcc_lo
	v_add_co_u32 v119, vcc_lo, s42, v1
	v_add3_u32 v60, v18, v60, v16
	v_add3_u32 v62, v21, v62, v20
	;; [unrolled: 1-line block ×8, first 2 shown]
	v_add_co_ci_u32_e32 v120, vcc_lo, s43, v2, vcc_lo
	s_mul_i32 s12, s38, s15
	s_mov_b32 s16, 0
	s_lshl_b64 s[12:13], s[12:13], 3
	s_mov_b64 s[34:35], 7
	s_mov_b64 s[40:41], s[8:9]
.LBB132_52:                             ; =>This Inner Loop Header: Depth=1
	s_add_u32 s18, s8, s34
	s_addc_u32 s19, 0, s35
	v_add_co_u32 v83, vcc_lo, s8, v87
	v_cmp_ge_i64_e64 s3, s[18:19], s[36:37]
	v_add_co_ci_u32_e32 v84, vcc_lo, 0, v88, vcc_lo
	s_delay_alu instid0(VALU_DEP_2)
	s_and_b32 vcc_lo, exec_lo, s3
	s_cbranch_vccz .LBB132_74
; %bb.53:                               ;   in Loop: Header=BB132_52 Depth=1
	s_load_b32 s3, s[10:11], 0xc
	v_mov_b32_e32 v51, 0
	v_mov_b32_e32 v52, 0
	s_waitcnt lgkmcnt(0)
	s_and_b32 s3, s3, 0xffff
	s_delay_alu instid0(SALU_CYCLE_1) | instskip(SKIP_1) | instid1(VALU_DEP_1)
	v_mad_u32_u24 v1, v85, s3, v86
	s_mov_b32 s3, exec_lo
	v_and_b32_e32 v1, 31, v1
	s_delay_alu instid0(VALU_DEP_1)
	v_cmpx_gt_u32_e32 8, v1
	s_cbranch_execz .LBB132_57
; %bb.54:                               ;   in Loop: Header=BB132_52 Depth=1
	v_add_co_u32 v1, vcc_lo, v83, v1
	v_mov_b32_e32 v51, 0
	v_add_co_ci_u32_e32 v2, vcc_lo, 0, v84, vcc_lo
	v_mov_b32_e32 v52, 0
	s_mov_b32 s9, exec_lo
	s_delay_alu instid0(VALU_DEP_2)
	v_cmpx_gt_i64_e64 s[36:37], v[1:2]
	s_cbranch_execz .LBB132_56
; %bb.55:                               ;   in Loop: Header=BB132_52 Depth=1
	v_lshlrev_b64 v[1:2], 3, v[1:2]
	s_delay_alu instid0(VALU_DEP_1) | instskip(NEXT) | instid1(VALU_DEP_2)
	v_add_co_u32 v1, vcc_lo, s6, v1
	v_add_co_ci_u32_e32 v2, vcc_lo, s7, v2, vcc_lo
	global_load_b64 v[51:52], v[1:2], off
.LBB132_56:                             ;   in Loop: Header=BB132_52 Depth=1
	s_or_b32 exec_lo, exec_lo, s9
.LBB132_57:                             ;   in Loop: Header=BB132_52 Depth=1
	s_delay_alu instid0(SALU_CYCLE_1)
	s_or_b32 exec_lo, exec_lo, s3
	s_mov_b32 s31, s16
	s_mov_b32 s17, s16
	s_mov_b32 s18, s16
	s_mov_b32 s19, s16
	s_mov_b32 s20, s16
	s_mov_b32 s21, s16
	s_mov_b32 s22, s16
	s_mov_b32 s23, s16
	s_mov_b32 s24, s16
	s_mov_b32 s25, s16
	s_mov_b32 s26, s16
	s_mov_b32 s27, s16
	s_mov_b32 s28, s16
	s_mov_b32 s29, s16
	s_mov_b32 s30, s16
	s_delay_alu instid0(SALU_CYCLE_1)
	v_dual_mov_b32 v32, s31 :: v_dual_mov_b32 v31, s30
	v_dual_mov_b32 v30, s29 :: v_dual_mov_b32 v29, s28
	;; [unrolled: 1-line block ×16, first 2 shown]
	s_mov_b32 s3, exec_lo
	v_cmpx_gt_i64_e64 s[36:37], v[83:84]
	s_cbranch_execz .LBB132_59
; %bb.58:                               ;   in Loop: Header=BB132_52 Depth=1
	v_add_co_u32 v1, vcc_lo, v89, v53
	v_add_co_ci_u32_e32 v2, vcc_lo, v90, v54, vcc_lo
	v_add_co_u32 v4, vcc_lo, v91, v53
	v_add_co_ci_u32_e32 v5, vcc_lo, v92, v54, vcc_lo
	global_load_b64 v[1:2], v[1:2], off
	v_mov_b32_e32 v16, v3
	v_mov_b32_e32 v6, v3
	global_load_b64 v[17:18], v[4:5], off
	v_mov_b32_e32 v4, v3
	v_mov_b32_e32 v5, v3
	;; [unrolled: 1-line block ×11, first 2 shown]
	s_waitcnt vmcnt(1)
	v_dual_mov_b32 v19, v3 :: v_dual_mov_b32 v48, v16
	v_dual_mov_b32 v20, v3 :: v_dual_mov_b32 v45, v13
	;; [unrolled: 1-line block ×7, first 2 shown]
	v_mov_b32_e32 v26, v3
	v_dual_mov_b32 v27, v3 :: v_dual_mov_b32 v40, v8
	v_mov_b32_e32 v28, v3
	v_dual_mov_b32 v29, v3 :: v_dual_mov_b32 v38, v6
	v_mov_b32_e32 v30, v3
	v_dual_mov_b32 v31, v3 :: v_dual_mov_b32 v36, v4
	v_mov_b32_e32 v47, v15
	v_mov_b32_e32 v43, v11
	v_mov_b32_e32 v39, v7
	v_mov_b32_e32 v35, v3
	v_mov_b32_e32 v32, v3
	v_dual_mov_b32 v34, v2 :: v_dual_mov_b32 v33, v1
.LBB132_59:                             ;   in Loop: Header=BB132_52 Depth=1
	s_or_b32 exec_lo, exec_lo, s3
	v_add_co_u32 v1, vcc_lo, v83, 1
	v_add_co_ci_u32_e32 v2, vcc_lo, 0, v84, vcc_lo
	s_mov_b32 s3, exec_lo
	s_delay_alu instid0(VALU_DEP_1)
	v_cmpx_gt_i64_e64 s[36:37], v[1:2]
	s_cbranch_execz .LBB132_61
; %bb.60:                               ;   in Loop: Header=BB132_52 Depth=1
	v_add_co_u32 v1, vcc_lo, v117, v53
	v_add_co_ci_u32_e32 v2, vcc_lo, v118, v54, vcc_lo
	v_add_co_u32 v4, vcc_lo, v119, v53
	v_add_co_ci_u32_e32 v5, vcc_lo, v120, v54, vcc_lo
	global_load_b64 v[35:36], v[1:2], off
	global_load_b64 v[19:20], v[4:5], off
.LBB132_61:                             ;   in Loop: Header=BB132_52 Depth=1
	s_or_b32 exec_lo, exec_lo, s3
	v_add_co_u32 v1, vcc_lo, v83, 2
	v_add_co_ci_u32_e32 v2, vcc_lo, 0, v84, vcc_lo
	s_mov_b32 s3, exec_lo
	s_delay_alu instid0(VALU_DEP_1)
	v_cmpx_gt_i64_e64 s[36:37], v[1:2]
	s_cbranch_execz .LBB132_63
; %bb.62:                               ;   in Loop: Header=BB132_52 Depth=1
	v_add_co_u32 v1, vcc_lo, v113, v53
	v_add_co_ci_u32_e32 v2, vcc_lo, v114, v54, vcc_lo
	v_add_co_u32 v4, vcc_lo, v115, v53
	v_add_co_ci_u32_e32 v5, vcc_lo, v116, v54, vcc_lo
	global_load_b64 v[37:38], v[1:2], off
	global_load_b64 v[21:22], v[4:5], off
.LBB132_63:                             ;   in Loop: Header=BB132_52 Depth=1
	;; [unrolled: 15-line block ×7, first 2 shown]
	s_or_b32 exec_lo, exec_lo, s3
	s_waitcnt vmcnt(0)
	v_mul_f64 v[1:2], v[17:18], v[33:34]
	ds_bpermute_b32 v4, v3, v51
	ds_bpermute_b32 v5, v3, v52
	v_mul_f64 v[6:7], v[19:20], v[35:36]
	v_mul_f64 v[8:9], v[21:22], v[37:38]
	s_waitcnt lgkmcnt(0)
	v_fma_f64 v[1:2], v[1:2], v[4:5], v[81:82]
	ds_bpermute_b32 v4, v3, v51 offset:4
	ds_bpermute_b32 v5, v3, v52 offset:4
	s_waitcnt lgkmcnt(0)
	v_fma_f64 v[1:2], v[6:7], v[4:5], v[1:2]
	ds_bpermute_b32 v4, v3, v51 offset:8
	ds_bpermute_b32 v5, v3, v52 offset:8
	v_mul_f64 v[6:7], v[23:24], v[39:40]
	s_waitcnt lgkmcnt(0)
	v_fma_f64 v[1:2], v[8:9], v[4:5], v[1:2]
	ds_bpermute_b32 v4, v3, v51 offset:12
	ds_bpermute_b32 v5, v3, v52 offset:12
	v_mul_f64 v[8:9], v[25:26], v[41:42]
	;; [unrolled: 5-line block ×4, first 2 shown]
	s_waitcnt lgkmcnt(0)
	v_fma_f64 v[1:2], v[6:7], v[4:5], v[1:2]
	ds_bpermute_b32 v4, v3, v51 offset:24
	ds_bpermute_b32 v5, v3, v52 offset:24
	;; [unrolled: 1-line block ×4, first 2 shown]
	s_waitcnt lgkmcnt(2)
	v_fma_f64 v[1:2], v[8:9], v[4:5], v[1:2]
	v_mul_f64 v[4:5], v[31:32], v[47:48]
	s_waitcnt lgkmcnt(0)
	s_delay_alu instid0(VALU_DEP_1)
	v_fma_f64 v[51:52], v[4:5], v[6:7], v[1:2]
	s_branch .LBB132_80
.LBB132_74:                             ;   in Loop: Header=BB132_52 Depth=1
                                        ; implicit-def: $vgpr51_vgpr52
	s_cbranch_execz .LBB132_80
; %bb.75:                               ;   in Loop: Header=BB132_52 Depth=1
	s_load_b32 s3, s[10:11], 0x0
	s_waitcnt lgkmcnt(0)
	s_cmp_lt_u32 s14, s3
	s_cselect_b32 s3, 12, 18
	s_delay_alu instid0(SALU_CYCLE_1)
	s_add_u32 s18, s10, s3
	s_addc_u32 s19, s11, 0
	s_mov_b32 s3, exec_lo
	global_load_u16 v1, v3, s[18:19]
	s_waitcnt vmcnt(0)
	v_mad_u32_u24 v1, v85, v1, v86
	s_delay_alu instid0(VALU_DEP_1) | instskip(SKIP_1) | instid1(VALU_DEP_2)
	v_dual_mov_b32 v1, 0 :: v_dual_and_b32 v4, 31, v1
	v_mov_b32_e32 v2, 0
	v_cmpx_gt_u32_e32 8, v4
	s_cbranch_execz .LBB132_79
; %bb.76:                               ;   in Loop: Header=BB132_52 Depth=1
	v_add_co_u32 v4, vcc_lo, v83, v4
	v_mov_b32_e32 v1, 0
	v_add_co_ci_u32_e32 v5, vcc_lo, 0, v84, vcc_lo
	v_mov_b32_e32 v2, 0
	s_mov_b32 s9, exec_lo
	s_delay_alu instid0(VALU_DEP_2)
	v_cmpx_gt_i64_e64 s[36:37], v[4:5]
	s_cbranch_execz .LBB132_78
; %bb.77:                               ;   in Loop: Header=BB132_52 Depth=1
	v_lshlrev_b64 v[1:2], 3, v[4:5]
	s_delay_alu instid0(VALU_DEP_1) | instskip(NEXT) | instid1(VALU_DEP_2)
	v_add_co_u32 v1, vcc_lo, s6, v1
	v_add_co_ci_u32_e32 v2, vcc_lo, s7, v2, vcc_lo
	global_load_b64 v[1:2], v[1:2], off
.LBB132_78:                             ;   in Loop: Header=BB132_52 Depth=1
	s_or_b32 exec_lo, exec_lo, s9
.LBB132_79:                             ;   in Loop: Header=BB132_52 Depth=1
	s_delay_alu instid0(SALU_CYCLE_1)
	s_or_b32 exec_lo, exec_lo, s3
	v_add_co_u32 v4, vcc_lo, v89, v53
	v_add_co_ci_u32_e32 v5, vcc_lo, v90, v54, vcc_lo
	v_add_co_u32 v6, vcc_lo, v91, v53
	v_add_co_ci_u32_e32 v7, vcc_lo, v92, v54, vcc_lo
	v_add_co_u32 v8, vcc_lo, v49, v53
	global_load_b64 v[4:5], v[4:5], off
	global_load_b64 v[6:7], v[6:7], off
	v_add_co_ci_u32_e32 v9, vcc_lo, v50, v54, vcc_lo
	v_add_co_u32 v10, vcc_lo, v67, v53
	v_add_co_ci_u32_e32 v11, vcc_lo, v68, v54, vcc_lo
	global_load_b64 v[8:9], v[8:9], off
	global_load_b64 v[10:11], v[10:11], off
	v_add_co_u32 v12, vcc_lo, v55, v53
	v_add_co_ci_u32_e32 v13, vcc_lo, v56, v54, vcc_lo
	v_add_co_u32 v14, vcc_lo, v69, v53
	v_add_co_ci_u32_e32 v15, vcc_lo, v70, v54, vcc_lo
	global_load_b64 v[12:13], v[12:13], off
	global_load_b64 v[14:15], v[14:15], off
	v_add_co_u32 v16, vcc_lo, v57, v53
	;; [unrolled: 6-line block ×6, first 2 shown]
	v_add_co_ci_u32_e32 v33, vcc_lo, v66, v54, vcc_lo
	v_add_co_u32 v34, vcc_lo, v79, v53
	v_add_co_ci_u32_e32 v35, vcc_lo, v80, v54, vcc_lo
	global_load_b64 v[32:33], v[32:33], off
	global_load_b64 v[34:35], v[34:35], off
	s_waitcnt vmcnt(14)
	v_mul_f64 v[4:5], v[4:5], v[6:7]
	ds_bpermute_b32 v6, v3, v1
	ds_bpermute_b32 v7, v3, v2
	s_waitcnt vmcnt(12)
	v_mul_f64 v[8:9], v[8:9], v[10:11]
	s_waitcnt vmcnt(10)
	v_mul_f64 v[10:11], v[12:13], v[14:15]
	s_waitcnt lgkmcnt(0)
	v_fma_f64 v[4:5], v[4:5], v[6:7], v[81:82]
	ds_bpermute_b32 v6, v3, v1 offset:4
	ds_bpermute_b32 v7, v3, v2 offset:4
	s_waitcnt lgkmcnt(0)
	v_fma_f64 v[4:5], v[8:9], v[6:7], v[4:5]
	ds_bpermute_b32 v6, v3, v1 offset:8
	ds_bpermute_b32 v7, v3, v2 offset:8
	s_waitcnt vmcnt(8)
	v_mul_f64 v[8:9], v[16:17], v[18:19]
	s_waitcnt lgkmcnt(0)
	v_fma_f64 v[4:5], v[10:11], v[6:7], v[4:5]
	ds_bpermute_b32 v6, v3, v1 offset:12
	ds_bpermute_b32 v7, v3, v2 offset:12
	s_waitcnt vmcnt(6)
	v_mul_f64 v[10:11], v[20:21], v[22:23]
	;; [unrolled: 6-line block ×4, first 2 shown]
	s_waitcnt lgkmcnt(0)
	v_fma_f64 v[4:5], v[8:9], v[6:7], v[4:5]
	ds_bpermute_b32 v6, v3, v1 offset:24
	ds_bpermute_b32 v7, v3, v2 offset:24
	;; [unrolled: 1-line block ×4, first 2 shown]
	s_waitcnt lgkmcnt(2)
	v_fma_f64 v[4:5], v[10:11], v[6:7], v[4:5]
	s_waitcnt vmcnt(0)
	v_mul_f64 v[6:7], v[32:33], v[34:35]
	s_waitcnt lgkmcnt(0)
	s_delay_alu instid0(VALU_DEP_1)
	v_fma_f64 v[51:52], v[6:7], v[1:2], v[4:5]
.LBB132_80:                             ;   in Loop: Header=BB132_52 Depth=1
	v_add_co_u32 v87, vcc_lo, v87, s15
	v_add_co_ci_u32_e32 v88, vcc_lo, 0, v88, vcc_lo
	v_add_co_u32 v49, vcc_lo, v49, s12
	v_add_co_ci_u32_e32 v50, vcc_lo, s13, v50, vcc_lo
	;; [unrolled: 2-line block ×28, first 2 shown]
	v_add_co_u32 v115, vcc_lo, v115, s12
	s_add_u32 s40, s40, s15
	v_add_co_ci_u32_e32 v116, vcc_lo, s13, v116, vcc_lo
	s_addc_u32 s41, s41, 0
	v_add_co_u32 v117, vcc_lo, v117, s12
	v_add_co_ci_u32_e32 v118, vcc_lo, s13, v118, vcc_lo
	v_cmp_ge_i64_e64 s3, s[40:41], s[36:37]
	v_add_co_u32 v119, vcc_lo, v119, s12
	v_add_co_ci_u32_e32 v120, vcc_lo, s13, v120, vcc_lo
	s_add_u32 s34, s34, s15
	s_addc_u32 s35, s35, 0
	s_delay_alu instid0(VALU_DEP_3)
	s_and_b32 vcc_lo, exec_lo, s3
	s_cbranch_vccnz .LBB132_82
; %bb.81:                               ;   in Loop: Header=BB132_52 Depth=1
	v_dual_mov_b32 v82, v52 :: v_dual_mov_b32 v81, v51
	s_branch .LBB132_52
.LBB132_82:
	s_mov_b32 s15, 0
	s_delay_alu instid0(SALU_CYCLE_1) | instskip(NEXT) | instid1(SALU_CYCLE_1)
	s_lshl_b64 s[6:7], s[14:15], 5
	v_dual_mov_b32 v2, s7 :: v_dual_and_b32 v1, 0x3ff, v0
	s_waitcnt lgkmcnt(0)
	s_cmp_lg_u64 s[4:5], 0
	s_cselect_b32 s3, -1, 0
	s_delay_alu instid0(VALU_DEP_1) | instskip(NEXT) | instid1(VALU_DEP_1)
	v_or_b32_e32 v1, s6, v1
	v_cmp_gt_i64_e32 vcc_lo, s[38:39], v[1:2]
	s_and_b32 s3, vcc_lo, s3
	s_delay_alu instid0(SALU_CYCLE_1)
	s_and_saveexec_b32 s6, s3
	s_cbranch_execz .LBB132_84
; %bb.83:
	s_load_b32 s0, s[0:1], 0x4c
	v_bfe_u32 v3, v0, 10, 10
	v_mov_b32_e32 v4, 0
	s_waitcnt lgkmcnt(0)
	s_lshr_b32 s0, s0, 16
	s_delay_alu instid0(VALU_DEP_1) | instid1(SALU_CYCLE_1)
	v_mad_u64_u32 v[5:6], null, s0, s2, v[3:4]
	s_delay_alu instid0(VALU_DEP_1) | instskip(NEXT) | instid1(VALU_DEP_2)
	v_mul_lo_u32 v0, v6, s38
	v_mul_lo_u32 v6, v5, s39
	v_mad_u64_u32 v[3:4], null, v5, s38, 0
	s_delay_alu instid0(VALU_DEP_1) | instskip(SKIP_1) | instid1(VALU_DEP_2)
	v_add3_u32 v4, v4, v6, v0
	v_lshlrev_b64 v[0:1], 3, v[1:2]
	v_lshlrev_b64 v[3:4], 3, v[3:4]
	s_delay_alu instid0(VALU_DEP_1) | instskip(NEXT) | instid1(VALU_DEP_2)
	v_add_co_u32 v2, vcc_lo, s4, v3
	v_add_co_ci_u32_e32 v3, vcc_lo, s5, v4, vcc_lo
	s_delay_alu instid0(VALU_DEP_2) | instskip(NEXT) | instid1(VALU_DEP_2)
	v_add_co_u32 v0, vcc_lo, v2, v0
	v_add_co_ci_u32_e32 v1, vcc_lo, v3, v1, vcc_lo
	global_store_b64 v[0:1], v[51:52], off
.LBB132_84:
	s_nop 0
	s_sendmsg sendmsg(MSG_DEALLOC_VGPRS)
	s_endpgm
	.section	.rodata,"a",@progbits
	.p2align	6, 0x0
	.amdhsa_kernel _ZN2at6native12_GLOBAL__N_135GammaBetaBackwardCUDAKernelTemplateIddLj32ELj1ELj8ELb1ELb0ELb1EEEvllPKT_S5_PKT0_S8_PS3_S9_
		.amdhsa_group_segment_fixed_size 0
		.amdhsa_private_segment_fixed_size 0
		.amdhsa_kernarg_size 320
		.amdhsa_user_sgpr_count 14
		.amdhsa_user_sgpr_dispatch_ptr 0
		.amdhsa_user_sgpr_queue_ptr 0
		.amdhsa_user_sgpr_kernarg_segment_ptr 1
		.amdhsa_user_sgpr_dispatch_id 0
		.amdhsa_user_sgpr_private_segment_size 0
		.amdhsa_wavefront_size32 1
		.amdhsa_uses_dynamic_stack 0
		.amdhsa_enable_private_segment 0
		.amdhsa_system_sgpr_workgroup_id_x 1
		.amdhsa_system_sgpr_workgroup_id_y 1
		.amdhsa_system_sgpr_workgroup_id_z 0
		.amdhsa_system_sgpr_workgroup_info 0
		.amdhsa_system_vgpr_workitem_id 1
		.amdhsa_next_free_vgpr 121
		.amdhsa_next_free_sgpr 45
		.amdhsa_reserve_vcc 1
		.amdhsa_float_round_mode_32 0
		.amdhsa_float_round_mode_16_64 0
		.amdhsa_float_denorm_mode_32 3
		.amdhsa_float_denorm_mode_16_64 3
		.amdhsa_dx10_clamp 1
		.amdhsa_ieee_mode 1
		.amdhsa_fp16_overflow 0
		.amdhsa_workgroup_processor_mode 1
		.amdhsa_memory_ordered 1
		.amdhsa_forward_progress 0
		.amdhsa_shared_vgpr_count 0
		.amdhsa_exception_fp_ieee_invalid_op 0
		.amdhsa_exception_fp_denorm_src 0
		.amdhsa_exception_fp_ieee_div_zero 0
		.amdhsa_exception_fp_ieee_overflow 0
		.amdhsa_exception_fp_ieee_underflow 0
		.amdhsa_exception_fp_ieee_inexact 0
		.amdhsa_exception_int_div_zero 0
	.end_amdhsa_kernel
	.section	.text._ZN2at6native12_GLOBAL__N_135GammaBetaBackwardCUDAKernelTemplateIddLj32ELj1ELj8ELb1ELb0ELb1EEEvllPKT_S5_PKT0_S8_PS3_S9_,"axG",@progbits,_ZN2at6native12_GLOBAL__N_135GammaBetaBackwardCUDAKernelTemplateIddLj32ELj1ELj8ELb1ELb0ELb1EEEvllPKT_S5_PKT0_S8_PS3_S9_,comdat
.Lfunc_end132:
	.size	_ZN2at6native12_GLOBAL__N_135GammaBetaBackwardCUDAKernelTemplateIddLj32ELj1ELj8ELb1ELb0ELb1EEEvllPKT_S5_PKT0_S8_PS3_S9_, .Lfunc_end132-_ZN2at6native12_GLOBAL__N_135GammaBetaBackwardCUDAKernelTemplateIddLj32ELj1ELj8ELb1ELb0ELb1EEEvllPKT_S5_PKT0_S8_PS3_S9_
                                        ; -- End function
	.section	.AMDGPU.csdata,"",@progbits
; Kernel info:
; codeLenInByte = 7976
; NumSgprs: 47
; NumVgprs: 121
; ScratchSize: 0
; MemoryBound: 1
; FloatMode: 240
; IeeeMode: 1
; LDSByteSize: 0 bytes/workgroup (compile time only)
; SGPRBlocks: 5
; VGPRBlocks: 15
; NumSGPRsForWavesPerEU: 47
; NumVGPRsForWavesPerEU: 121
; Occupancy: 10
; WaveLimiterHint : 0
; COMPUTE_PGM_RSRC2:SCRATCH_EN: 0
; COMPUTE_PGM_RSRC2:USER_SGPR: 14
; COMPUTE_PGM_RSRC2:TRAP_HANDLER: 0
; COMPUTE_PGM_RSRC2:TGID_X_EN: 1
; COMPUTE_PGM_RSRC2:TGID_Y_EN: 1
; COMPUTE_PGM_RSRC2:TGID_Z_EN: 0
; COMPUTE_PGM_RSRC2:TIDIG_COMP_CNT: 1
	.section	.text._ZN2at6native12_GLOBAL__N_135GammaBetaBackwardCUDAKernelTemplateIddLj32ELj8ELj64ELb0ELb1ELb1EEEvllPKT_S5_PKT0_S8_PS3_S9_,"axG",@progbits,_ZN2at6native12_GLOBAL__N_135GammaBetaBackwardCUDAKernelTemplateIddLj32ELj8ELj64ELb0ELb1ELb1EEEvllPKT_S5_PKT0_S8_PS3_S9_,comdat
	.globl	_ZN2at6native12_GLOBAL__N_135GammaBetaBackwardCUDAKernelTemplateIddLj32ELj8ELj64ELb0ELb1ELb1EEEvllPKT_S5_PKT0_S8_PS3_S9_ ; -- Begin function _ZN2at6native12_GLOBAL__N_135GammaBetaBackwardCUDAKernelTemplateIddLj32ELj8ELj64ELb0ELb1ELb1EEEvllPKT_S5_PKT0_S8_PS3_S9_
	.p2align	8
	.type	_ZN2at6native12_GLOBAL__N_135GammaBetaBackwardCUDAKernelTemplateIddLj32ELj8ELj64ELb0ELb1ELb1EEEvllPKT_S5_PKT0_S8_PS3_S9_,@function
_ZN2at6native12_GLOBAL__N_135GammaBetaBackwardCUDAKernelTemplateIddLj32ELj8ELj64ELb0ELb1ELb1EEEvllPKT_S5_PKT0_S8_PS3_S9_: ; @_ZN2at6native12_GLOBAL__N_135GammaBetaBackwardCUDAKernelTemplateIddLj32ELj8ELj64ELb0ELb1ELb1EEEvllPKT_S5_PKT0_S8_PS3_S9_
; %bb.0:
	s_load_b128 s[4:7], s[0:1], 0x0
	s_mov_b32 s13, 0
	s_lshl_b32 s12, s15, 6
	v_bfe_u32 v13, v0, 10, 10
	s_waitcnt lgkmcnt(0)
	v_cmp_lt_i64_e64 s2, s[12:13], s[4:5]
	s_delay_alu instid0(VALU_DEP_1)
	s_and_b32 vcc_lo, exec_lo, s2
	s_cbranch_vccnz .LBB133_2
; %bb.1:
	v_bfe_u32 v1, v0, 10, 10
	s_mov_b64 s[8:9], 0
	s_mov_b32 s10, s13
	s_branch .LBB133_3
.LBB133_2:
	s_mov_b32 s10, -1
                                        ; implicit-def: $sgpr8_sgpr9
                                        ; implicit-def: $vgpr1
.LBB133_3:
	s_load_b64 s[2:3], s[0:1], 0x30
	v_mov_b32_e32 v8, s8
	v_dual_mov_b32 v9, s9 :: v_dual_and_b32 v12, 0x3ff, v0
	s_and_not1_b32 vcc_lo, exec_lo, s10
	s_cbranch_vccnz .LBB133_11
; %bb.4:
	s_clause 0x3
	s_load_b32 s15, s[0:1], 0x4c
	s_load_b32 s16, s[0:1], 0x44
	s_load_b128 s[8:11], s[0:1], 0x10
	s_load_b64 s[18:19], s[0:1], 0x28
	v_dual_mov_b32 v15, 4 :: v_dual_lshlrev_b32 v2, 3, v13
	v_dual_mov_b32 v14, 8 :: v_dual_mov_b32 v1, 0
	v_lshl_add_u32 v0, s14, 5, v12
	s_delay_alu instid0(VALU_DEP_3) | instskip(NEXT) | instid1(VALU_DEP_1)
	v_add_co_u32 v2, s1, v2, s12
	v_add_co_ci_u32_e64 v3, null, 0, 0, s1
	s_delay_alu instid0(VALU_DEP_3) | instskip(NEXT) | instid1(VALU_DEP_3)
	v_lshlrev_b64 v[8:9], 3, v[0:1]
	v_mul_lo_u32 v10, s7, v2
	v_mad_u64_u32 v[6:7], null, s6, v2, 0
	s_delay_alu instid0(VALU_DEP_4)
	v_mul_lo_u32 v11, s6, v3
	v_dual_mov_b32 v16, 12 :: v_dual_mov_b32 v17, 16
	s_waitcnt lgkmcnt(0)
	s_and_b32 s0, s15, 0xffff
	s_lshl_b32 s16, s16, 6
	v_mad_u32_u24 v4, v13, s0, v12
	s_mul_i32 s1, s7, s16
	s_mul_hi_u32 s15, s6, s16
	v_add3_u32 v7, v7, v11, v10
	v_dual_mov_b32 v18, 20 :: v_dual_mov_b32 v19, 24
	v_dual_mov_b32 v20, 28 :: v_dual_and_b32 v23, 31, v4
	s_delay_alu instid0(VALU_DEP_3) | instskip(SKIP_2) | instid1(VALU_DEP_4)
	v_lshlrev_b64 v[21:22], 3, v[6:7]
	v_mov_b32_e32 v4, 0
	v_mov_b32_e32 v5, 0
	v_add_co_u32 v2, vcc_lo, v2, v23
	v_add_co_ci_u32_e32 v3, vcc_lo, 0, v3, vcc_lo
	v_cmp_gt_u32_e64 s0, 8, v23
	s_mov_b32 s17, 0
	s_add_i32 s21, s15, s1
	s_delay_alu instid0(VALU_DEP_2) | instskip(SKIP_3) | instid1(VALU_DEP_1)
	v_lshlrev_b64 v[10:11], 3, v[2:3]
	s_mul_i32 s20, s6, s16
	s_lshl_b64 s[6:7], s[6:7], 3
	s_lshl_b64 s[20:21], s[20:21], 3
	v_add_co_u32 v6, vcc_lo, s18, v10
	s_delay_alu instid0(VALU_DEP_2)
	v_add_co_ci_u32_e32 v7, vcc_lo, s19, v11, vcc_lo
	v_add_co_u32 v0, vcc_lo, v21, v8
	v_add_co_ci_u32_e32 v21, vcc_lo, v22, v9, vcc_lo
	v_dual_mov_b32 v9, v5 :: v_dual_mov_b32 v8, v4
	s_lshl_b64 s[18:19], s[16:17], 3
	s_branch .LBB133_7
.LBB133_5:                              ;   in Loop: Header=BB133_7 Depth=1
	s_or_b32 exec_lo, exec_lo, s15
.LBB133_6:                              ;   in Loop: Header=BB133_7 Depth=1
	s_delay_alu instid0(SALU_CYCLE_1)
	s_or_b32 exec_lo, exec_lo, s1
	v_add_co_u32 v22, vcc_lo, s8, v0
	v_add_co_ci_u32_e32 v23, vcc_lo, s9, v21, vcc_lo
	v_add_co_u32 v24, vcc_lo, s10, v0
	v_add_co_ci_u32_e32 v25, vcc_lo, s11, v21, vcc_lo
	s_add_u32 s12, s12, s16
	global_load_b64 v[26:27], v[22:23], off
	global_load_b64 v[28:29], v[24:25], off
	v_add_co_u32 v22, vcc_lo, v22, s6
	v_add_co_ci_u32_e32 v23, vcc_lo, s7, v23, vcc_lo
	v_add_co_u32 v24, vcc_lo, v24, s6
	v_add_co_ci_u32_e32 v25, vcc_lo, s7, v25, vcc_lo
	global_load_b64 v[30:31], v[22:23], off
	global_load_b64 v[32:33], v[24:25], off
	v_add_co_u32 v22, vcc_lo, v22, s6
	v_add_co_ci_u32_e32 v23, vcc_lo, s7, v23, vcc_lo
	v_add_co_u32 v24, vcc_lo, v24, s6
	v_add_co_ci_u32_e32 v25, vcc_lo, s7, v25, vcc_lo
	;; [unrolled: 6-line block ×7, first 2 shown]
	global_load_b64 v[22:23], v[22:23], off
	global_load_b64 v[24:25], v[24:25], off
	v_add_co_u32 v6, vcc_lo, v6, s18
	v_add_co_ci_u32_e32 v7, vcc_lo, s19, v7, vcc_lo
	s_addc_u32 s13, s13, 0
	v_add_co_u32 v2, vcc_lo, v2, s16
	v_cmp_lt_i64_e64 s1, s[12:13], s[4:5]
	v_add_co_ci_u32_e32 v3, vcc_lo, 0, v3, vcc_lo
	v_add_co_u32 v0, vcc_lo, v0, s20
	v_add_co_ci_u32_e32 v21, vcc_lo, s21, v21, vcc_lo
	s_delay_alu instid0(VALU_DEP_4)
	s_and_b32 vcc_lo, exec_lo, s1
	s_waitcnt vmcnt(14)
	v_mul_f64 v[26:27], v[26:27], v[28:29]
	ds_bpermute_b32 v28, v1, v10
	ds_bpermute_b32 v29, v1, v11
	s_waitcnt vmcnt(12)
	v_mul_f64 v[30:31], v[30:31], v[32:33]
	s_waitcnt lgkmcnt(0)
	v_fma_f64 v[8:9], v[26:27], v[28:29], v[8:9]
	ds_bpermute_b32 v26, v15, v10
	ds_bpermute_b32 v27, v15, v11
	s_waitcnt vmcnt(10)
	v_mul_f64 v[28:29], v[34:35], v[36:37]
	s_waitcnt lgkmcnt(0)
	v_fma_f64 v[8:9], v[30:31], v[26:27], v[8:9]
	ds_bpermute_b32 v26, v14, v10
	ds_bpermute_b32 v27, v14, v11
	s_waitcnt vmcnt(8)
	v_mul_f64 v[30:31], v[38:39], v[40:41]
	s_waitcnt vmcnt(0)
	v_mul_f64 v[22:23], v[22:23], v[24:25]
	s_waitcnt lgkmcnt(0)
	v_fma_f64 v[8:9], v[28:29], v[26:27], v[8:9]
	ds_bpermute_b32 v26, v16, v10
	ds_bpermute_b32 v27, v16, v11
	v_mul_f64 v[28:29], v[42:43], v[44:45]
	s_waitcnt lgkmcnt(0)
	v_fma_f64 v[8:9], v[30:31], v[26:27], v[8:9]
	ds_bpermute_b32 v26, v17, v10
	ds_bpermute_b32 v27, v17, v11
	;; [unrolled: 5-line block ×4, first 2 shown]
	ds_bpermute_b32 v10, v20, v10
	ds_bpermute_b32 v11, v20, v11
	s_waitcnt lgkmcnt(2)
	v_fma_f64 v[8:9], v[28:29], v[26:27], v[8:9]
	s_waitcnt lgkmcnt(0)
	s_delay_alu instid0(VALU_DEP_1)
	v_fma_f64 v[8:9], v[22:23], v[10:11], v[8:9]
	s_cbranch_vccz .LBB133_10
.LBB133_7:                              ; =>This Inner Loop Header: Depth=1
	v_dual_mov_b32 v11, v5 :: v_dual_mov_b32 v10, v4
	s_and_saveexec_b32 s1, s0
	s_cbranch_execz .LBB133_6
; %bb.8:                                ;   in Loop: Header=BB133_7 Depth=1
	v_mov_b32_e32 v10, 0
	v_mov_b32_e32 v11, 0
	s_mov_b32 s15, exec_lo
	v_cmpx_gt_i64_e64 s[4:5], v[2:3]
	s_cbranch_execz .LBB133_5
; %bb.9:                                ;   in Loop: Header=BB133_7 Depth=1
	global_load_b64 v[10:11], v[6:7], off
	s_branch .LBB133_5
.LBB133_10:
	v_mov_b32_e32 v1, v13
.LBB133_11:
	s_delay_alu instid0(VALU_DEP_1) | instskip(NEXT) | instid1(VALU_DEP_2)
	v_lshrrev_b32_e32 v2, 5, v12
	v_mad_u32_u24 v4, v1, 33, v12
	v_mov_b32_e32 v3, 0
	s_mov_b32 s15, 0
	s_mov_b32 s0, exec_lo
	v_add_nc_u32_e32 v0, v2, v1
	v_lshl_add_u32 v5, v4, 3, 0
	v_mov_b32_e32 v4, v3
	ds_store_b64 v5, v[8:9]
	ds_store_b64 v5, v[3:4] offset:2112
	s_waitcnt lgkmcnt(0)
	s_barrier
	buffer_gl0_inv
	v_cmpx_gt_u32_e32 32, v0
	s_cbranch_execz .LBB133_18
; %bb.12:
	v_mbcnt_lo_u32_b32 v3, -1, 0
	v_cmp_eq_u32_e64 s0, 0, v12
	s_cmp_lg_u64 s[2:3], 0
	v_and_b32_e32 v4, 31, v12
	s_cselect_b32 s1, -1, 0
	v_xor_b32_e32 v5, 4, v3
	s_and_b32 s4, s0, s1
	v_xor_b32_e32 v6, 2, v3
	v_xor_b32_e32 v7, 1, v3
	v_mul_u32_u24_e32 v8, 0x108, v4
	v_cmp_gt_i32_e64 s0, 32, v5
	v_cmp_gt_u32_e32 vcc_lo, 8, v4
	s_delay_alu instid0(VALU_DEP_2) | instskip(SKIP_1) | instid1(VALU_DEP_2)
	v_cndmask_b32_e64 v5, v3, v5, s0
	v_cmp_gt_i32_e64 s0, 32, v6
	v_lshlrev_b32_e32 v4, 2, v5
	s_delay_alu instid0(VALU_DEP_2) | instskip(SKIP_1) | instid1(VALU_DEP_2)
	v_cndmask_b32_e64 v6, v3, v6, s0
	v_cmp_gt_i32_e64 s0, 32, v7
	v_lshlrev_b32_e32 v5, 2, v6
	s_delay_alu instid0(VALU_DEP_2) | instskip(SKIP_1) | instid1(VALU_DEP_1)
	v_cndmask_b32_e64 v3, v3, v7, s0
	v_add_co_u32 v1, s0, v2, v1
	v_add_co_ci_u32_e64 v2, null, 0, 0, s0
	v_lshlrev_b32_e32 v7, 3, v0
	s_lshl_b64 s[0:1], s[14:15], 8
	v_lshlrev_b32_e32 v6, 2, v3
	s_delay_alu instid0(VALU_DEP_3) | instskip(SKIP_4) | instid1(VALU_DEP_3)
	v_lshlrev_b64 v[1:2], 3, v[1:2]
	s_add_u32 s0, s2, s0
	v_add3_u32 v7, v8, v7, 0
	v_add_nc_u32_e32 v8, -8, v0
	s_addc_u32 s1, s3, s1
	v_add_co_u32 v0, s0, s0, v1
	s_delay_alu instid0(VALU_DEP_1)
	v_add_co_ci_u32_e64 v1, s0, s1, v2, s0
                                        ; implicit-def: $vgpr2_vgpr3
	s_set_inst_prefetch_distance 0x1
	s_branch .LBB133_14
	.p2align	6
.LBB133_13:                             ;   in Loop: Header=BB133_14 Depth=1
	s_or_b32 exec_lo, exec_lo, s0
	v_add_nc_u32_e32 v8, 8, v8
	v_add_co_u32 v0, s1, v0, 64
	v_add_nc_u32_e32 v7, 64, v7
	v_add_co_ci_u32_e64 v1, s1, 0, v1, s1
	s_delay_alu instid0(VALU_DEP_4) | instskip(NEXT) | instid1(VALU_DEP_1)
	v_cmp_lt_u32_e64 s0, 23, v8
	s_or_b32 s15, s0, s15
	s_delay_alu instid0(SALU_CYCLE_1)
	s_and_not1_b32 exec_lo, exec_lo, s15
	s_cbranch_execz .LBB133_18
.LBB133_14:                             ; =>This Inner Loop Header: Depth=1
	s_and_saveexec_b32 s0, vcc_lo
	s_cbranch_execz .LBB133_16
; %bb.15:                               ;   in Loop: Header=BB133_14 Depth=1
	ds_load_b64 v[2:3], v7
.LBB133_16:                             ;   in Loop: Header=BB133_14 Depth=1
	s_or_b32 exec_lo, exec_lo, s0
	s_waitcnt lgkmcnt(0)
	ds_bpermute_b32 v9, v4, v2
	ds_bpermute_b32 v10, v4, v3
	s_waitcnt lgkmcnt(0)
	v_add_f64 v[2:3], v[2:3], v[9:10]
	ds_bpermute_b32 v9, v5, v2
	ds_bpermute_b32 v10, v5, v3
	s_waitcnt lgkmcnt(0)
	v_add_f64 v[2:3], v[2:3], v[9:10]
	;; [unrolled: 4-line block ×3, first 2 shown]
	s_and_saveexec_b32 s0, s4
	s_cbranch_execz .LBB133_13
; %bb.17:                               ;   in Loop: Header=BB133_14 Depth=1
	global_store_b64 v[0:1], v[2:3], off
	s_branch .LBB133_13
.LBB133_18:
	s_set_inst_prefetch_distance 0x2
	s_nop 0
	s_sendmsg sendmsg(MSG_DEALLOC_VGPRS)
	s_endpgm
	.section	.rodata,"a",@progbits
	.p2align	6, 0x0
	.amdhsa_kernel _ZN2at6native12_GLOBAL__N_135GammaBetaBackwardCUDAKernelTemplateIddLj32ELj8ELj64ELb0ELb1ELb1EEEvllPKT_S5_PKT0_S8_PS3_S9_
		.amdhsa_group_segment_fixed_size 0
		.amdhsa_private_segment_fixed_size 0
		.amdhsa_kernarg_size 320
		.amdhsa_user_sgpr_count 14
		.amdhsa_user_sgpr_dispatch_ptr 0
		.amdhsa_user_sgpr_queue_ptr 0
		.amdhsa_user_sgpr_kernarg_segment_ptr 1
		.amdhsa_user_sgpr_dispatch_id 0
		.amdhsa_user_sgpr_private_segment_size 0
		.amdhsa_wavefront_size32 1
		.amdhsa_uses_dynamic_stack 0
		.amdhsa_enable_private_segment 0
		.amdhsa_system_sgpr_workgroup_id_x 1
		.amdhsa_system_sgpr_workgroup_id_y 1
		.amdhsa_system_sgpr_workgroup_id_z 0
		.amdhsa_system_sgpr_workgroup_info 0
		.amdhsa_system_vgpr_workitem_id 1
		.amdhsa_next_free_vgpr 54
		.amdhsa_next_free_sgpr 22
		.amdhsa_reserve_vcc 1
		.amdhsa_float_round_mode_32 0
		.amdhsa_float_round_mode_16_64 0
		.amdhsa_float_denorm_mode_32 3
		.amdhsa_float_denorm_mode_16_64 3
		.amdhsa_dx10_clamp 1
		.amdhsa_ieee_mode 1
		.amdhsa_fp16_overflow 0
		.amdhsa_workgroup_processor_mode 1
		.amdhsa_memory_ordered 1
		.amdhsa_forward_progress 0
		.amdhsa_shared_vgpr_count 0
		.amdhsa_exception_fp_ieee_invalid_op 0
		.amdhsa_exception_fp_denorm_src 0
		.amdhsa_exception_fp_ieee_div_zero 0
		.amdhsa_exception_fp_ieee_overflow 0
		.amdhsa_exception_fp_ieee_underflow 0
		.amdhsa_exception_fp_ieee_inexact 0
		.amdhsa_exception_int_div_zero 0
	.end_amdhsa_kernel
	.section	.text._ZN2at6native12_GLOBAL__N_135GammaBetaBackwardCUDAKernelTemplateIddLj32ELj8ELj64ELb0ELb1ELb1EEEvllPKT_S5_PKT0_S8_PS3_S9_,"axG",@progbits,_ZN2at6native12_GLOBAL__N_135GammaBetaBackwardCUDAKernelTemplateIddLj32ELj8ELj64ELb0ELb1ELb1EEEvllPKT_S5_PKT0_S8_PS3_S9_,comdat
.Lfunc_end133:
	.size	_ZN2at6native12_GLOBAL__N_135GammaBetaBackwardCUDAKernelTemplateIddLj32ELj8ELj64ELb0ELb1ELb1EEEvllPKT_S5_PKT0_S8_PS3_S9_, .Lfunc_end133-_ZN2at6native12_GLOBAL__N_135GammaBetaBackwardCUDAKernelTemplateIddLj32ELj8ELj64ELb0ELb1ELb1EEEvllPKT_S5_PKT0_S8_PS3_S9_
                                        ; -- End function
	.section	.AMDGPU.csdata,"",@progbits
; Kernel info:
; codeLenInByte = 1664
; NumSgprs: 24
; NumVgprs: 54
; ScratchSize: 0
; MemoryBound: 0
; FloatMode: 240
; IeeeMode: 1
; LDSByteSize: 0 bytes/workgroup (compile time only)
; SGPRBlocks: 2
; VGPRBlocks: 6
; NumSGPRsForWavesPerEU: 24
; NumVGPRsForWavesPerEU: 54
; Occupancy: 16
; WaveLimiterHint : 0
; COMPUTE_PGM_RSRC2:SCRATCH_EN: 0
; COMPUTE_PGM_RSRC2:USER_SGPR: 14
; COMPUTE_PGM_RSRC2:TRAP_HANDLER: 0
; COMPUTE_PGM_RSRC2:TGID_X_EN: 1
; COMPUTE_PGM_RSRC2:TGID_Y_EN: 1
; COMPUTE_PGM_RSRC2:TGID_Z_EN: 0
; COMPUTE_PGM_RSRC2:TIDIG_COMP_CNT: 1
	.section	.text._ZN2at6native12_GLOBAL__N_135GammaBetaBackwardCUDAKernelTemplateIddLj32ELj8ELj64ELb0ELb0ELb1EEEvllPKT_S5_PKT0_S8_PS3_S9_,"axG",@progbits,_ZN2at6native12_GLOBAL__N_135GammaBetaBackwardCUDAKernelTemplateIddLj32ELj8ELj64ELb0ELb0ELb1EEEvllPKT_S5_PKT0_S8_PS3_S9_,comdat
	.globl	_ZN2at6native12_GLOBAL__N_135GammaBetaBackwardCUDAKernelTemplateIddLj32ELj8ELj64ELb0ELb0ELb1EEEvllPKT_S5_PKT0_S8_PS3_S9_ ; -- Begin function _ZN2at6native12_GLOBAL__N_135GammaBetaBackwardCUDAKernelTemplateIddLj32ELj8ELj64ELb0ELb0ELb1EEEvllPKT_S5_PKT0_S8_PS3_S9_
	.p2align	8
	.type	_ZN2at6native12_GLOBAL__N_135GammaBetaBackwardCUDAKernelTemplateIddLj32ELj8ELj64ELb0ELb0ELb1EEEvllPKT_S5_PKT0_S8_PS3_S9_,@function
_ZN2at6native12_GLOBAL__N_135GammaBetaBackwardCUDAKernelTemplateIddLj32ELj8ELj64ELb0ELb0ELb1EEEvllPKT_S5_PKT0_S8_PS3_S9_: ; @_ZN2at6native12_GLOBAL__N_135GammaBetaBackwardCUDAKernelTemplateIddLj32ELj8ELj64ELb0ELb0ELb1EEEvllPKT_S5_PKT0_S8_PS3_S9_
; %bb.0:
	s_clause 0x1
	s_load_b256 s[4:11], s[0:1], 0x0
	s_load_b64 s[12:13], s[0:1], 0x28
	s_lshl_b32 s33, s14, 5
	s_mov_b32 s35, 0
	s_or_b32 s34, s33, 31
	s_waitcnt lgkmcnt(0)
	v_cmp_ge_i64_e64 s2, s[34:35], s[6:7]
	s_lshl_b32 s34, s15, 6
	s_delay_alu instid0(SALU_CYCLE_1) | instskip(NEXT) | instid1(VALU_DEP_2)
	v_cmp_lt_i64_e64 s15, s[34:35], s[4:5]
	s_and_b32 vcc_lo, exec_lo, s2
	s_delay_alu instid0(VALU_DEP_1) | instskip(NEXT) | instid1(VALU_DEP_1)
	v_cndmask_b32_e64 v1, 0, 1, s15
	v_cmp_ne_u32_e64 s2, 1, v1
	s_cbranch_vccz .LBB134_48
; %bb.1:
	v_mov_b32_e32 v51, 0
	v_mov_b32_e32 v52, 0
	s_delay_alu instid0(VALU_DEP_3)
	s_and_b32 vcc_lo, exec_lo, s2
	s_cbranch_vccnz .LBB134_49
; %bb.2:
	v_bfe_u32 v55, v0, 10, 10
	s_load_b32 s3, s[0:1], 0x44
	v_and_b32_e32 v57, 0x3ff, v0
	v_mov_b32_e32 v51, 0
	v_mov_b32_e32 v52, 0
	v_dual_mov_b32 v3, 0 :: v_dual_lshlrev_b32 v56, 3, v55
	s_delay_alu instid0(VALU_DEP_4) | instskip(SKIP_2) | instid1(VALU_DEP_2)
	v_add_nc_u32_e32 v2, s33, v57
	s_add_u32 s36, s0, 64
	s_addc_u32 s37, s1, 0
	v_add_co_u32 v8, s2, v56, s34
	s_delay_alu instid0(VALU_DEP_1) | instskip(SKIP_1) | instid1(VALU_DEP_3)
	v_add_co_ci_u32_e64 v9, null, 0, 0, s2
	v_cmp_gt_i64_e64 s2, s[6:7], v[2:3]
	v_add_co_u32 v1, vcc_lo, v8, 7
	s_delay_alu instid0(VALU_DEP_3) | instskip(SKIP_1) | instid1(VALU_DEP_3)
	v_add_co_ci_u32_e32 v4, vcc_lo, 0, v9, vcc_lo
	v_add_co_u32 v10, vcc_lo, v8, 6
	v_mul_lo_u32 v6, s7, v1
	s_delay_alu instid0(VALU_DEP_3)
	v_mul_lo_u32 v7, s6, v4
	v_mad_u64_u32 v[4:5], null, s6, v1, 0
	v_add_co_ci_u32_e32 v1, vcc_lo, 0, v9, vcc_lo
	v_lshlrev_b64 v[49:50], 3, v[2:3]
	s_waitcnt lgkmcnt(0)
	s_lshl_b32 s44, s3, 6
	s_mov_b32 s16, 0
	s_mul_i32 s3, s7, s44
	s_delay_alu instid0(VALU_DEP_3) | instskip(SKIP_3) | instid1(VALU_DEP_4)
	v_add3_u32 v5, v5, v7, v6
	v_mul_lo_u32 v6, s7, v10
	v_mul_lo_u32 v7, s6, v1
	v_mad_u64_u32 v[1:2], null, s6, v10, 0
	v_lshlrev_b64 v[4:5], 3, v[4:5]
	s_mul_hi_u32 s17, s6, s44
	s_mul_i32 s18, s6, s44
	s_add_i32 s19, s17, s3
	s_mov_b64 s[42:43], s[34:35]
	s_lshl_b64 s[38:39], s[18:19], 3
	v_add_co_u32 v58, vcc_lo, s8, v4
	v_add_co_ci_u32_e32 v59, vcc_lo, s9, v5, vcc_lo
	v_add3_u32 v2, v2, v7, v6
	v_add_co_u32 v6, vcc_lo, v8, 5
	v_add_co_u32 v60, s3, s10, v4
	v_add_co_ci_u32_e32 v4, vcc_lo, 0, v9, vcc_lo
	v_add_co_u32 v11, vcc_lo, v8, 4
	v_add_co_ci_u32_e64 v61, s3, s11, v5, s3
	v_mul_lo_u32 v10, s7, v6
	s_delay_alu instid0(VALU_DEP_4)
	v_mul_lo_u32 v12, s6, v4
	v_mad_u64_u32 v[4:5], null, s6, v6, 0
	v_add_co_ci_u32_e32 v7, vcc_lo, 0, v9, vcc_lo
	v_lshlrev_b64 v[1:2], 3, v[1:2]
	v_mul_lo_u32 v13, s7, v11
	s_add_u32 s40, s34, 63
	s_delay_alu instid0(VALU_DEP_3) | instskip(SKIP_1) | instid1(VALU_DEP_4)
	v_mul_lo_u32 v14, s6, v7
	v_mad_u64_u32 v[6:7], null, s6, v11, 0
	v_add_co_u32 v62, vcc_lo, s8, v1
	v_add3_u32 v5, v5, v12, v10
	v_add_co_ci_u32_e32 v63, vcc_lo, s9, v2, vcc_lo
	v_add_co_u32 v64, vcc_lo, s10, v1
	v_add_co_ci_u32_e32 v65, vcc_lo, s11, v2, vcc_lo
	s_delay_alu instid0(VALU_DEP_4) | instskip(SKIP_3) | instid1(VALU_DEP_4)
	v_lshlrev_b64 v[1:2], 3, v[4:5]
	v_add3_u32 v7, v7, v14, v13
	v_add_co_u32 v10, vcc_lo, v8, 3
	v_add_co_ci_u32_e32 v11, vcc_lo, 0, v9, vcc_lo
	v_add_co_u32 v66, vcc_lo, s8, v1
	s_delay_alu instid0(VALU_DEP_4)
	v_lshlrev_b64 v[4:5], 3, v[6:7]
	v_add_co_ci_u32_e32 v67, vcc_lo, s9, v2, vcc_lo
	v_mul_lo_u32 v12, s7, v10
	v_mul_lo_u32 v11, s6, v11
	v_mad_u64_u32 v[6:7], null, s6, v10, 0
	v_add_co_u32 v68, vcc_lo, s10, v1
	v_add_co_ci_u32_e32 v69, vcc_lo, s11, v2, vcc_lo
	v_add_co_u32 v70, vcc_lo, s8, v4
	v_add_co_ci_u32_e32 v71, vcc_lo, s9, v5, vcc_lo
	v_add_co_u32 v10, vcc_lo, v8, 2
	v_add3_u32 v7, v7, v11, v12
	v_add_co_ci_u32_e32 v11, vcc_lo, 0, v9, vcc_lo
	v_add_co_u32 v72, vcc_lo, s10, v4
	v_add_co_ci_u32_e32 v73, vcc_lo, s11, v5, vcc_lo
	v_mul_lo_u32 v12, s7, v10
	s_delay_alu instid0(VALU_DEP_4)
	v_mul_lo_u32 v11, s6, v11
	v_mad_u64_u32 v[4:5], null, s6, v10, 0
	v_lshlrev_b64 v[1:2], 3, v[6:7]
	v_mul_lo_u32 v10, s7, v8
	v_mul_lo_u32 v9, s6, v9
	v_mad_u64_u32 v[6:7], null, s6, v8, 0
	s_addc_u32 s41, 0, 0
	s_delay_alu instid0(VALU_DEP_4)
	v_add_co_u32 v74, vcc_lo, s8, v1
	v_add3_u32 v5, v5, v11, v12
	v_add_co_ci_u32_e32 v75, vcc_lo, s9, v2, vcc_lo
	v_add_co_u32 v76, vcc_lo, s10, v1
	v_add3_u32 v7, v7, v9, v10
	v_add_co_ci_u32_e32 v77, vcc_lo, s11, v2, vcc_lo
	v_lshlrev_b64 v[1:2], 3, v[4:5]
	v_add_co_u32 v4, vcc_lo, v6, s6
	s_delay_alu instid0(VALU_DEP_4) | instskip(NEXT) | instid1(VALU_DEP_3)
	v_add_co_ci_u32_e32 v5, vcc_lo, s7, v7, vcc_lo
	v_add_co_u32 v78, vcc_lo, s8, v1
	s_delay_alu instid0(VALU_DEP_2) | instskip(SKIP_3) | instid1(VALU_DEP_4)
	v_lshlrev_b64 v[4:5], 3, v[4:5]
	v_add_co_ci_u32_e32 v79, vcc_lo, s9, v2, vcc_lo
	v_add_co_u32 v80, vcc_lo, s10, v1
	v_add_co_ci_u32_e32 v81, vcc_lo, s11, v2, vcc_lo
	v_add_co_u32 v82, vcc_lo, s8, v4
	v_lshlrev_b64 v[1:2], 3, v[6:7]
	v_add_co_ci_u32_e32 v83, vcc_lo, s9, v5, vcc_lo
	v_add_co_u32 v84, vcc_lo, s10, v4
	v_add_co_ci_u32_e32 v85, vcc_lo, s11, v5, vcc_lo
	s_delay_alu instid0(VALU_DEP_4)
	v_add_co_u32 v86, vcc_lo, s8, v1
	v_add_co_ci_u32_e32 v87, vcc_lo, s9, v2, vcc_lo
	v_add_co_u32 v88, vcc_lo, s10, v1
	v_add_co_ci_u32_e32 v89, vcc_lo, s11, v2, vcc_lo
	s_branch .LBB134_5
.LBB134_3:                              ;   in Loop: Header=BB134_5 Depth=1
	s_or_b32 exec_lo, exec_lo, s3
	s_waitcnt vmcnt(0)
	v_mul_f64 v[1:2], v[17:18], v[33:34]
	ds_bpermute_b32 v4, v3, v53
	ds_bpermute_b32 v5, v3, v54
	v_mul_f64 v[6:7], v[19:20], v[35:36]
	v_mul_f64 v[8:9], v[21:22], v[37:38]
	s_waitcnt lgkmcnt(0)
	v_fma_f64 v[1:2], v[1:2], v[4:5], v[51:52]
	ds_bpermute_b32 v4, v3, v53 offset:4
	ds_bpermute_b32 v5, v3, v54 offset:4
	s_waitcnt lgkmcnt(0)
	v_fma_f64 v[1:2], v[6:7], v[4:5], v[1:2]
	ds_bpermute_b32 v4, v3, v53 offset:8
	ds_bpermute_b32 v5, v3, v54 offset:8
	v_mul_f64 v[6:7], v[23:24], v[39:40]
	s_waitcnt lgkmcnt(0)
	v_fma_f64 v[1:2], v[8:9], v[4:5], v[1:2]
	ds_bpermute_b32 v4, v3, v53 offset:12
	ds_bpermute_b32 v5, v3, v54 offset:12
	v_mul_f64 v[8:9], v[25:26], v[41:42]
	;; [unrolled: 5-line block ×3, first 2 shown]
	s_waitcnt lgkmcnt(0)
	v_fma_f64 v[1:2], v[8:9], v[4:5], v[1:2]
	ds_bpermute_b32 v4, v3, v53 offset:20
	ds_bpermute_b32 v5, v3, v54 offset:20
	s_waitcnt lgkmcnt(0)
	v_fma_f64 v[1:2], v[6:7], v[4:5], v[1:2]
	v_mul_f64 v[4:5], v[29:30], v[45:46]
	ds_bpermute_b32 v6, v3, v53 offset:24
	ds_bpermute_b32 v7, v3, v54 offset:24
	s_waitcnt lgkmcnt(0)
	v_fma_f64 v[1:2], v[4:5], v[6:7], v[1:2]
	ds_bpermute_b32 v4, v3, v53 offset:28
	ds_bpermute_b32 v5, v3, v54 offset:28
.LBB134_4:                              ;   in Loop: Header=BB134_5 Depth=1
	v_mul_f64 v[6:7], v[47:48], v[31:32]
	v_add_co_u32 v58, vcc_lo, v58, s38
	v_add_co_ci_u32_e32 v59, vcc_lo, s39, v59, vcc_lo
	v_add_co_u32 v60, vcc_lo, v60, s38
	v_add_co_ci_u32_e32 v61, vcc_lo, s39, v61, vcc_lo
	;; [unrolled: 2-line block ×9, first 2 shown]
	v_add_co_u32 v76, vcc_lo, v76, s38
	s_waitcnt lgkmcnt(0)
	v_fma_f64 v[51:52], v[6:7], v[4:5], v[1:2]
	v_add_co_ci_u32_e32 v77, vcc_lo, s39, v77, vcc_lo
	v_add_co_u32 v78, vcc_lo, v78, s38
	v_add_co_ci_u32_e32 v79, vcc_lo, s39, v79, vcc_lo
	v_add_co_u32 v80, vcc_lo, v80, s38
	v_add_co_ci_u32_e32 v81, vcc_lo, s39, v81, vcc_lo
	v_add_co_u32 v82, vcc_lo, v82, s38
	v_add_co_ci_u32_e32 v83, vcc_lo, s39, v83, vcc_lo
	v_add_co_u32 v84, vcc_lo, v84, s38
	s_add_u32 s42, s42, s44
	v_add_co_ci_u32_e32 v85, vcc_lo, s39, v85, vcc_lo
	s_addc_u32 s43, s43, 0
	v_add_co_u32 v86, vcc_lo, v86, s38
	v_cmp_lt_i64_e64 s3, s[42:43], s[4:5]
	v_add_co_ci_u32_e32 v87, vcc_lo, s39, v87, vcc_lo
	v_add_co_u32 v88, vcc_lo, v88, s38
	v_add_co_ci_u32_e32 v89, vcc_lo, s39, v89, vcc_lo
	s_add_u32 s40, s40, s44
	s_addc_u32 s41, s41, 0
	s_and_b32 vcc_lo, exec_lo, s3
	s_cbranch_vccz .LBB134_49
.LBB134_5:                              ; =>This Inner Loop Header: Depth=1
	v_cmp_ge_i64_e64 s3, s[40:41], s[4:5]
	v_add_co_u32 v90, s17, v56, s40
	s_delay_alu instid0(VALU_DEP_1) | instskip(NEXT) | instid1(VALU_DEP_3)
	v_add_co_ci_u32_e64 v91, null, 0, s41, s17
	s_and_b32 vcc_lo, exec_lo, s3
	s_cbranch_vccz .LBB134_27
; %bb.6:                                ;   in Loop: Header=BB134_5 Depth=1
	s_load_b32 s3, s[36:37], 0xc
	v_mov_b32_e32 v53, 0
	v_mov_b32_e32 v54, 0
	s_waitcnt lgkmcnt(0)
	s_and_b32 s3, s3, 0xffff
	s_delay_alu instid0(SALU_CYCLE_1) | instskip(SKIP_1) | instid1(VALU_DEP_1)
	v_mad_u32_u24 v1, v55, s3, v57
	s_mov_b32 s3, exec_lo
	v_and_b32_e32 v1, 31, v1
	s_delay_alu instid0(VALU_DEP_1)
	v_cmpx_gt_u32_e32 8, v1
	s_cbranch_execz .LBB134_10
; %bb.7:                                ;   in Loop: Header=BB134_5 Depth=1
	v_add_co_u32 v1, vcc_lo, v90, v1
	v_add_co_ci_u32_e32 v2, vcc_lo, 0, v91, vcc_lo
	v_mov_b32_e32 v53, 0
	s_delay_alu instid0(VALU_DEP_3) | instskip(NEXT) | instid1(VALU_DEP_3)
	v_add_co_u32 v1, vcc_lo, 0xffffffc1, v1
	v_add_co_ci_u32_e32 v2, vcc_lo, -1, v2, vcc_lo
	v_mov_b32_e32 v54, 0
	s_mov_b32 s17, exec_lo
	s_delay_alu instid0(VALU_DEP_2)
	v_cmpx_gt_i64_e64 s[4:5], v[1:2]
	s_cbranch_execz .LBB134_9
; %bb.8:                                ;   in Loop: Header=BB134_5 Depth=1
	v_lshlrev_b64 v[1:2], 3, v[1:2]
	s_delay_alu instid0(VALU_DEP_1) | instskip(NEXT) | instid1(VALU_DEP_2)
	v_add_co_u32 v1, vcc_lo, s12, v1
	v_add_co_ci_u32_e32 v2, vcc_lo, s13, v2, vcc_lo
	global_load_b64 v[53:54], v[1:2], off
.LBB134_9:                              ;   in Loop: Header=BB134_5 Depth=1
	s_or_b32 exec_lo, exec_lo, s17
.LBB134_10:                             ;   in Loop: Header=BB134_5 Depth=1
	s_delay_alu instid0(SALU_CYCLE_1)
	s_or_b32 exec_lo, exec_lo, s3
	v_add_co_u32 v1, vcc_lo, 0xffffffc1, v90
	s_mov_b32 s31, s16
	v_add_co_ci_u32_e32 v2, vcc_lo, -1, v91, vcc_lo
	s_mov_b32 s17, s16
	s_mov_b32 s18, s16
	;; [unrolled: 1-line block ×14, first 2 shown]
	s_delay_alu instid0(SALU_CYCLE_1)
	v_dual_mov_b32 v32, s31 :: v_dual_mov_b32 v31, s30
	v_dual_mov_b32 v30, s29 :: v_dual_mov_b32 v29, s28
	;; [unrolled: 1-line block ×8, first 2 shown]
	v_cmp_gt_i64_e32 vcc_lo, s[4:5], v[1:2]
	v_dual_mov_b32 v48, v32 :: v_dual_mov_b32 v47, v31
	v_dual_mov_b32 v46, v30 :: v_dual_mov_b32 v45, v29
	;; [unrolled: 1-line block ×8, first 2 shown]
	s_and_b32 s17, s2, vcc_lo
	s_delay_alu instid0(SALU_CYCLE_1)
	s_and_saveexec_b32 s3, s17
	s_cbranch_execz .LBB134_12
; %bb.11:                               ;   in Loop: Header=BB134_5 Depth=1
	v_add_co_u32 v1, vcc_lo, v86, v49
	v_add_co_ci_u32_e32 v2, vcc_lo, v87, v50, vcc_lo
	v_add_co_u32 v4, vcc_lo, v88, v49
	v_add_co_ci_u32_e32 v5, vcc_lo, v89, v50, vcc_lo
	global_load_b64 v[1:2], v[1:2], off
	v_mov_b32_e32 v16, v3
	v_mov_b32_e32 v6, v3
	global_load_b64 v[17:18], v[4:5], off
	v_mov_b32_e32 v4, v3
	v_mov_b32_e32 v5, v3
	;; [unrolled: 1-line block ×11, first 2 shown]
	s_waitcnt vmcnt(1)
	v_dual_mov_b32 v19, v3 :: v_dual_mov_b32 v48, v16
	v_dual_mov_b32 v20, v3 :: v_dual_mov_b32 v45, v13
	;; [unrolled: 1-line block ×7, first 2 shown]
	v_mov_b32_e32 v26, v3
	v_dual_mov_b32 v27, v3 :: v_dual_mov_b32 v40, v8
	v_mov_b32_e32 v28, v3
	v_dual_mov_b32 v29, v3 :: v_dual_mov_b32 v38, v6
	v_mov_b32_e32 v30, v3
	v_dual_mov_b32 v31, v3 :: v_dual_mov_b32 v36, v4
	v_mov_b32_e32 v47, v15
	v_mov_b32_e32 v43, v11
	;; [unrolled: 1-line block ×5, first 2 shown]
	v_dual_mov_b32 v34, v2 :: v_dual_mov_b32 v33, v1
.LBB134_12:                             ;   in Loop: Header=BB134_5 Depth=1
	s_or_b32 exec_lo, exec_lo, s3
	v_add_co_u32 v1, vcc_lo, 0xffffffc2, v90
	v_add_co_ci_u32_e32 v2, vcc_lo, -1, v91, vcc_lo
	s_delay_alu instid0(VALU_DEP_1) | instskip(SKIP_1) | instid1(SALU_CYCLE_1)
	v_cmp_gt_i64_e32 vcc_lo, s[4:5], v[1:2]
	s_and_b32 s17, s2, vcc_lo
	s_and_saveexec_b32 s3, s17
	s_cbranch_execz .LBB134_14
; %bb.13:                               ;   in Loop: Header=BB134_5 Depth=1
	v_add_co_u32 v1, vcc_lo, v82, v49
	v_add_co_ci_u32_e32 v2, vcc_lo, v83, v50, vcc_lo
	v_add_co_u32 v4, vcc_lo, v84, v49
	v_add_co_ci_u32_e32 v5, vcc_lo, v85, v50, vcc_lo
	global_load_b64 v[35:36], v[1:2], off
	global_load_b64 v[19:20], v[4:5], off
.LBB134_14:                             ;   in Loop: Header=BB134_5 Depth=1
	s_or_b32 exec_lo, exec_lo, s3
	v_add_co_u32 v1, vcc_lo, 0xffffffc3, v90
	v_add_co_ci_u32_e32 v2, vcc_lo, -1, v91, vcc_lo
	s_delay_alu instid0(VALU_DEP_1) | instskip(SKIP_1) | instid1(SALU_CYCLE_1)
	v_cmp_gt_i64_e32 vcc_lo, s[4:5], v[1:2]
	s_and_b32 s17, s2, vcc_lo
	s_and_saveexec_b32 s3, s17
	s_cbranch_execz .LBB134_16
; %bb.15:                               ;   in Loop: Header=BB134_5 Depth=1
	v_add_co_u32 v1, vcc_lo, v78, v49
	v_add_co_ci_u32_e32 v2, vcc_lo, v79, v50, vcc_lo
	v_add_co_u32 v4, vcc_lo, v80, v49
	v_add_co_ci_u32_e32 v5, vcc_lo, v81, v50, vcc_lo
	global_load_b64 v[37:38], v[1:2], off
	global_load_b64 v[21:22], v[4:5], off
.LBB134_16:                             ;   in Loop: Header=BB134_5 Depth=1
	;; [unrolled: 16-line block ×7, first 2 shown]
	s_or_b32 exec_lo, exec_lo, s3
	s_waitcnt vmcnt(0)
	v_mul_f64 v[1:2], v[17:18], v[33:34]
	ds_bpermute_b32 v4, v3, v53
	ds_bpermute_b32 v5, v3, v54
	v_mul_f64 v[6:7], v[19:20], v[35:36]
	v_mul_f64 v[8:9], v[21:22], v[37:38]
	s_waitcnt lgkmcnt(0)
	v_fma_f64 v[1:2], v[1:2], v[4:5], v[51:52]
	ds_bpermute_b32 v4, v3, v53 offset:4
	ds_bpermute_b32 v5, v3, v54 offset:4
	s_waitcnt lgkmcnt(0)
	v_fma_f64 v[1:2], v[6:7], v[4:5], v[1:2]
	ds_bpermute_b32 v4, v3, v53 offset:8
	ds_bpermute_b32 v5, v3, v54 offset:8
	v_mul_f64 v[6:7], v[23:24], v[39:40]
	s_waitcnt lgkmcnt(0)
	v_fma_f64 v[1:2], v[8:9], v[4:5], v[1:2]
	ds_bpermute_b32 v4, v3, v53 offset:12
	ds_bpermute_b32 v5, v3, v54 offset:12
	v_mul_f64 v[8:9], v[25:26], v[41:42]
	;; [unrolled: 5-line block ×3, first 2 shown]
	s_waitcnt lgkmcnt(0)
	v_fma_f64 v[1:2], v[8:9], v[4:5], v[1:2]
	ds_bpermute_b32 v4, v3, v53 offset:20
	ds_bpermute_b32 v5, v3, v54 offset:20
	s_waitcnt lgkmcnt(0)
	v_fma_f64 v[1:2], v[6:7], v[4:5], v[1:2]
	v_mul_f64 v[4:5], v[29:30], v[45:46]
	ds_bpermute_b32 v6, v3, v53 offset:24
	ds_bpermute_b32 v7, v3, v54 offset:24
	s_waitcnt lgkmcnt(0)
	v_fma_f64 v[1:2], v[4:5], v[6:7], v[1:2]
	ds_bpermute_b32 v4, v3, v53 offset:28
	ds_bpermute_b32 v5, v3, v54 offset:28
	s_branch .LBB134_4
.LBB134_27:                             ;   in Loop: Header=BB134_5 Depth=1
                                        ; implicit-def: $vgpr1_vgpr2
                                        ; implicit-def: $vgpr17_vgpr18_vgpr19_vgpr20_vgpr21_vgpr22_vgpr23_vgpr24_vgpr25_vgpr26_vgpr27_vgpr28_vgpr29_vgpr30_vgpr31_vgpr32
                                        ; implicit-def: $vgpr33_vgpr34_vgpr35_vgpr36_vgpr37_vgpr38_vgpr39_vgpr40_vgpr41_vgpr42_vgpr43_vgpr44_vgpr45_vgpr46_vgpr47_vgpr48
                                        ; implicit-def: $vgpr4
	s_cbranch_execz .LBB134_4
; %bb.28:                               ;   in Loop: Header=BB134_5 Depth=1
	s_load_b32 s3, s[36:37], 0x0
	v_mov_b32_e32 v53, 0
	v_mov_b32_e32 v54, 0
	s_waitcnt lgkmcnt(0)
	s_cmp_lt_u32 s14, s3
	s_cselect_b32 s3, 12, 18
	s_delay_alu instid0(SALU_CYCLE_1)
	s_add_u32 s18, s36, s3
	s_addc_u32 s19, s37, 0
	s_mov_b32 s3, exec_lo
	global_load_u16 v1, v3, s[18:19]
	s_waitcnt vmcnt(0)
	v_mad_u32_u24 v1, v55, v1, v57
	s_delay_alu instid0(VALU_DEP_1) | instskip(NEXT) | instid1(VALU_DEP_1)
	v_and_b32_e32 v1, 31, v1
	v_cmpx_gt_u32_e32 8, v1
	s_cbranch_execz .LBB134_32
; %bb.29:                               ;   in Loop: Header=BB134_5 Depth=1
	v_add_co_u32 v1, vcc_lo, v90, v1
	v_add_co_ci_u32_e32 v2, vcc_lo, 0, v91, vcc_lo
	v_mov_b32_e32 v53, 0
	s_delay_alu instid0(VALU_DEP_3) | instskip(NEXT) | instid1(VALU_DEP_3)
	v_add_co_u32 v1, vcc_lo, 0xffffffc1, v1
	v_add_co_ci_u32_e32 v2, vcc_lo, -1, v2, vcc_lo
	v_mov_b32_e32 v54, 0
	s_mov_b32 s17, exec_lo
	s_delay_alu instid0(VALU_DEP_2)
	v_cmpx_gt_i64_e64 s[4:5], v[1:2]
	s_cbranch_execz .LBB134_31
; %bb.30:                               ;   in Loop: Header=BB134_5 Depth=1
	v_lshlrev_b64 v[1:2], 3, v[1:2]
	s_delay_alu instid0(VALU_DEP_1) | instskip(NEXT) | instid1(VALU_DEP_2)
	v_add_co_u32 v1, vcc_lo, s12, v1
	v_add_co_ci_u32_e32 v2, vcc_lo, s13, v2, vcc_lo
	global_load_b64 v[53:54], v[1:2], off
.LBB134_31:                             ;   in Loop: Header=BB134_5 Depth=1
	s_or_b32 exec_lo, exec_lo, s17
.LBB134_32:                             ;   in Loop: Header=BB134_5 Depth=1
	s_delay_alu instid0(SALU_CYCLE_1)
	s_or_b32 exec_lo, exec_lo, s3
	s_mov_b32 s31, s16
	s_mov_b32 s17, s16
	;; [unrolled: 1-line block ×15, first 2 shown]
	s_delay_alu instid0(SALU_CYCLE_1)
	v_dual_mov_b32 v32, s31 :: v_dual_mov_b32 v31, s30
	v_dual_mov_b32 v30, s29 :: v_dual_mov_b32 v29, s28
	;; [unrolled: 1-line block ×16, first 2 shown]
	s_and_saveexec_b32 s3, s2
	s_cbranch_execnz .LBB134_40
; %bb.33:                               ;   in Loop: Header=BB134_5 Depth=1
	s_or_b32 exec_lo, exec_lo, s3
	s_and_saveexec_b32 s3, s2
	s_cbranch_execnz .LBB134_41
.LBB134_34:                             ;   in Loop: Header=BB134_5 Depth=1
	s_or_b32 exec_lo, exec_lo, s3
	s_and_saveexec_b32 s3, s2
	s_cbranch_execnz .LBB134_42
.LBB134_35:                             ;   in Loop: Header=BB134_5 Depth=1
	s_or_b32 exec_lo, exec_lo, s3
	s_and_saveexec_b32 s3, s2
	s_cbranch_execnz .LBB134_43
.LBB134_36:                             ;   in Loop: Header=BB134_5 Depth=1
	s_or_b32 exec_lo, exec_lo, s3
	s_and_saveexec_b32 s3, s2
	s_cbranch_execnz .LBB134_44
.LBB134_37:                             ;   in Loop: Header=BB134_5 Depth=1
	s_or_b32 exec_lo, exec_lo, s3
	s_and_saveexec_b32 s3, s2
	s_cbranch_execnz .LBB134_45
.LBB134_38:                             ;   in Loop: Header=BB134_5 Depth=1
	s_or_b32 exec_lo, exec_lo, s3
	s_and_saveexec_b32 s3, s2
	s_cbranch_execnz .LBB134_46
.LBB134_39:                             ;   in Loop: Header=BB134_5 Depth=1
	s_or_b32 exec_lo, exec_lo, s3
	s_and_saveexec_b32 s3, s2
	s_cbranch_execz .LBB134_3
	s_branch .LBB134_47
.LBB134_40:                             ;   in Loop: Header=BB134_5 Depth=1
	v_add_co_u32 v1, vcc_lo, v86, v49
	v_add_co_ci_u32_e32 v2, vcc_lo, v87, v50, vcc_lo
	v_add_co_u32 v4, vcc_lo, v88, v49
	v_add_co_ci_u32_e32 v5, vcc_lo, v89, v50, vcc_lo
	global_load_b64 v[1:2], v[1:2], off
	v_mov_b32_e32 v16, v3
	v_mov_b32_e32 v6, v3
	global_load_b64 v[17:18], v[4:5], off
	v_mov_b32_e32 v4, v3
	v_mov_b32_e32 v5, v3
	;; [unrolled: 1-line block ×11, first 2 shown]
	s_waitcnt vmcnt(1)
	v_dual_mov_b32 v19, v3 :: v_dual_mov_b32 v48, v16
	v_dual_mov_b32 v20, v3 :: v_dual_mov_b32 v45, v13
	;; [unrolled: 1-line block ×7, first 2 shown]
	v_mov_b32_e32 v26, v3
	v_dual_mov_b32 v27, v3 :: v_dual_mov_b32 v40, v8
	v_mov_b32_e32 v28, v3
	v_dual_mov_b32 v29, v3 :: v_dual_mov_b32 v38, v6
	;; [unrolled: 2-line block ×3, first 2 shown]
	v_mov_b32_e32 v47, v15
	v_mov_b32_e32 v43, v11
	;; [unrolled: 1-line block ×5, first 2 shown]
	v_dual_mov_b32 v34, v2 :: v_dual_mov_b32 v33, v1
	s_or_b32 exec_lo, exec_lo, s3
	s_and_saveexec_b32 s3, s2
	s_cbranch_execz .LBB134_34
.LBB134_41:                             ;   in Loop: Header=BB134_5 Depth=1
	v_add_co_u32 v1, vcc_lo, v82, v49
	v_add_co_ci_u32_e32 v2, vcc_lo, v83, v50, vcc_lo
	v_add_co_u32 v4, vcc_lo, v84, v49
	v_add_co_ci_u32_e32 v5, vcc_lo, v85, v50, vcc_lo
	global_load_b64 v[35:36], v[1:2], off
	global_load_b64 v[19:20], v[4:5], off
	s_or_b32 exec_lo, exec_lo, s3
	s_and_saveexec_b32 s3, s2
	s_cbranch_execz .LBB134_35
.LBB134_42:                             ;   in Loop: Header=BB134_5 Depth=1
	v_add_co_u32 v1, vcc_lo, v78, v49
	v_add_co_ci_u32_e32 v2, vcc_lo, v79, v50, vcc_lo
	v_add_co_u32 v4, vcc_lo, v80, v49
	v_add_co_ci_u32_e32 v5, vcc_lo, v81, v50, vcc_lo
	global_load_b64 v[37:38], v[1:2], off
	global_load_b64 v[21:22], v[4:5], off
	s_or_b32 exec_lo, exec_lo, s3
	s_and_saveexec_b32 s3, s2
	s_cbranch_execz .LBB134_36
.LBB134_43:                             ;   in Loop: Header=BB134_5 Depth=1
	v_add_co_u32 v1, vcc_lo, v74, v49
	v_add_co_ci_u32_e32 v2, vcc_lo, v75, v50, vcc_lo
	v_add_co_u32 v4, vcc_lo, v76, v49
	v_add_co_ci_u32_e32 v5, vcc_lo, v77, v50, vcc_lo
	global_load_b64 v[39:40], v[1:2], off
	global_load_b64 v[23:24], v[4:5], off
	s_or_b32 exec_lo, exec_lo, s3
	s_and_saveexec_b32 s3, s2
	s_cbranch_execz .LBB134_37
.LBB134_44:                             ;   in Loop: Header=BB134_5 Depth=1
	v_add_co_u32 v1, vcc_lo, v70, v49
	v_add_co_ci_u32_e32 v2, vcc_lo, v71, v50, vcc_lo
	v_add_co_u32 v4, vcc_lo, v72, v49
	v_add_co_ci_u32_e32 v5, vcc_lo, v73, v50, vcc_lo
	global_load_b64 v[41:42], v[1:2], off
	global_load_b64 v[25:26], v[4:5], off
	s_or_b32 exec_lo, exec_lo, s3
	s_and_saveexec_b32 s3, s2
	s_cbranch_execz .LBB134_38
.LBB134_45:                             ;   in Loop: Header=BB134_5 Depth=1
	v_add_co_u32 v1, vcc_lo, v66, v49
	v_add_co_ci_u32_e32 v2, vcc_lo, v67, v50, vcc_lo
	v_add_co_u32 v4, vcc_lo, v68, v49
	v_add_co_ci_u32_e32 v5, vcc_lo, v69, v50, vcc_lo
	global_load_b64 v[43:44], v[1:2], off
	global_load_b64 v[27:28], v[4:5], off
	s_or_b32 exec_lo, exec_lo, s3
	s_and_saveexec_b32 s3, s2
	s_cbranch_execz .LBB134_39
.LBB134_46:                             ;   in Loop: Header=BB134_5 Depth=1
	v_add_co_u32 v1, vcc_lo, v62, v49
	v_add_co_ci_u32_e32 v2, vcc_lo, v63, v50, vcc_lo
	v_add_co_u32 v4, vcc_lo, v64, v49
	v_add_co_ci_u32_e32 v5, vcc_lo, v65, v50, vcc_lo
	global_load_b64 v[45:46], v[1:2], off
	global_load_b64 v[29:30], v[4:5], off
	s_or_b32 exec_lo, exec_lo, s3
	s_and_saveexec_b32 s3, s2
	s_cbranch_execz .LBB134_3
.LBB134_47:                             ;   in Loop: Header=BB134_5 Depth=1
	v_add_co_u32 v1, vcc_lo, v58, v49
	v_add_co_ci_u32_e32 v2, vcc_lo, v59, v50, vcc_lo
	v_add_co_u32 v4, vcc_lo, v60, v49
	v_add_co_ci_u32_e32 v5, vcc_lo, v61, v50, vcc_lo
	global_load_b64 v[47:48], v[1:2], off
	global_load_b64 v[31:32], v[4:5], off
	s_branch .LBB134_3
.LBB134_48:
                                        ; implicit-def: $vgpr51_vgpr52
	s_branch .LBB134_50
.LBB134_49:
	s_cbranch_execnz .LBB134_82
.LBB134_50:
	v_mov_b32_e32 v51, 0
	v_mov_b32_e32 v52, 0
	s_and_not1_b32 vcc_lo, exec_lo, s15
	s_cbranch_vccnz .LBB134_82
; %bb.51:
	s_load_b32 s2, s[0:1], 0x44
	v_bfe_u32 v84, v0, 10, 10
	v_and_b32_e32 v83, 0x3ff, v0
	s_add_u32 s36, s0, 64
	s_addc_u32 s37, s1, 0
	v_mov_b32_e32 v81, 0
	v_dual_mov_b32 v82, 0 :: v_dual_lshlrev_b32 v1, 6, v84
	v_dual_mov_b32 v3, 0 :: v_dual_add_nc_u32 v2, s33, v83
	v_lshlrev_b32_e32 v85, 3, v84
	s_delay_alu instid0(VALU_DEP_2)
	v_lshlrev_b64 v[49:50], 3, v[2:3]
	s_waitcnt lgkmcnt(0)
	s_lshl_b32 s15, s2, 6
	s_add_u32 s38, s34, 63
	s_addc_u32 s39, 0, 0
	s_lshl_b64 s[2:3], s[34:35], 3
	s_mul_i32 s16, s7, s15
	v_add_co_u32 v1, s2, v1, s2
	s_delay_alu instid0(VALU_DEP_1) | instskip(SKIP_1) | instid1(VALU_DEP_3)
	v_add_co_ci_u32_e64 v2, null, 0, s3, s2
	v_add_co_u32 v24, s3, v85, s34
	v_add_co_u32 v6, vcc_lo, v1, 8
	s_delay_alu instid0(VALU_DEP_3) | instskip(SKIP_3) | instid1(VALU_DEP_4)
	v_add_co_ci_u32_e32 v4, vcc_lo, 0, v2, vcc_lo
	v_add_co_u32 v7, vcc_lo, v1, 16
	v_add_co_ci_u32_e32 v5, vcc_lo, 0, v2, vcc_lo
	v_add_co_u32 v10, vcc_lo, v1, 24
	v_mul_lo_u32 v8, s6, v4
	v_add_co_ci_u32_e32 v4, vcc_lo, 0, v2, vcc_lo
	v_add_co_u32 v13, vcc_lo, v1, 32
	v_mul_lo_u32 v11, s6, v5
	v_add_co_ci_u32_e32 v5, vcc_lo, 0, v2, vcc_lo
	v_add_co_u32 v17, vcc_lo, v1, 40
	v_mul_lo_u32 v14, s6, v4
	v_add_co_ci_u32_e32 v4, vcc_lo, 0, v2, vcc_lo
	v_add_co_u32 v19, vcc_lo, v1, 48
	v_mul_lo_u32 v16, s6, v5
	v_add_co_ci_u32_e32 v5, vcc_lo, 0, v2, vcc_lo
	v_add_co_ci_u32_e64 v25, null, 0, 0, s3
	v_add_co_u32 v26, vcc_lo, v1, 56
	v_mul_lo_u32 v20, s6, v4
	s_delay_alu instid0(VALU_DEP_4) | instskip(SKIP_4) | instid1(VALU_DEP_4)
	v_mul_lo_u32 v22, s6, v5
	v_add_co_ci_u32_e32 v4, vcc_lo, 0, v2, vcc_lo
	v_mul_lo_u32 v5, s7, v24
	v_mul_lo_u32 v27, s6, v25
	v_mad_u64_u32 v[1:2], null, s6, v24, 0
	v_mul_lo_u32 v28, s6, v4
	v_mad_u64_u32 v[53:54], null, s6, v6, s[8:9]
	;; [unrolled: 2-line block ×3, first 2 shown]
	v_add3_u32 v2, v2, v27, v5
	v_mad_u64_u32 v[55:56], null, s6, v7, s[8:9]
	v_mul_lo_u32 v12, s7, v7
	v_mad_u64_u32 v[69:70], null, s6, v7, s[10:11]
	s_delay_alu instid0(VALU_DEP_4)
	v_lshlrev_b64 v[4:5], 3, v[1:2]
	v_add3_u32 v54, v9, v54, v8
	v_add3_u32 v68, v9, v68, v8
	v_mad_u64_u32 v[57:58], null, s6, v10, s[8:9]
	v_mul_lo_u32 v15, s7, v10
	v_add_co_u32 v86, vcc_lo, s8, v4
	v_add_co_ci_u32_e32 v87, vcc_lo, s9, v5, vcc_lo
	v_add_co_u32 v8, vcc_lo, v24, 7
	v_add_co_ci_u32_e32 v6, vcc_lo, 0, v25, vcc_lo
	v_mad_u64_u32 v[71:72], null, s6, v10, s[10:11]
	v_add3_u32 v56, v12, v56, v11
	v_add3_u32 v70, v12, v70, v11
	v_add_co_u32 v12, vcc_lo, v24, 6
	v_mul_lo_u32 v10, s7, v8
	v_mul_lo_u32 v11, s6, v6
	v_mad_u64_u32 v[6:7], null, s6, v8, 0
	v_add_co_ci_u32_e32 v9, vcc_lo, 0, v25, vcc_lo
	v_mad_u64_u32 v[59:60], null, s6, v13, s[8:9]
	v_mul_lo_u32 v18, s7, v13
	v_add3_u32 v58, v15, v58, v14
	v_mad_u64_u32 v[73:74], null, s6, v13, s[10:11]
	v_add3_u32 v72, v15, v72, v14
	v_mul_lo_u32 v13, s7, v12
	v_mul_lo_u32 v14, s6, v9
	v_mad_u64_u32 v[8:9], null, s6, v12, 0
	v_add3_u32 v7, v7, v11, v10
	v_add_co_u32 v88, vcc_lo, s10, v4
	v_add_co_ci_u32_e32 v89, vcc_lo, s11, v5, vcc_lo
	s_delay_alu instid0(VALU_DEP_3) | instskip(SKIP_3) | instid1(VALU_DEP_4)
	v_lshlrev_b64 v[4:5], 3, v[6:7]
	v_add3_u32 v9, v9, v14, v13
	v_add_co_u32 v10, vcc_lo, v24, 5
	v_add_co_ci_u32_e32 v11, vcc_lo, 0, v25, vcc_lo
	v_add_co_u32 v90, vcc_lo, s8, v4
	s_delay_alu instid0(VALU_DEP_4)
	v_lshlrev_b64 v[6:7], 3, v[8:9]
	v_add_co_ci_u32_e32 v91, vcc_lo, s9, v5, vcc_lo
	v_mul_lo_u32 v12, s7, v10
	v_mul_lo_u32 v11, s6, v11
	v_mad_u64_u32 v[8:9], null, s6, v10, 0
	v_add_co_u32 v92, vcc_lo, s10, v4
	v_add_co_ci_u32_e32 v93, vcc_lo, s11, v5, vcc_lo
	v_add_co_u32 v94, vcc_lo, s8, v6
	v_add_co_ci_u32_e32 v95, vcc_lo, s9, v7, vcc_lo
	s_mul_hi_u32 s2, s6, s15
	v_add_co_u32 v10, vcc_lo, v24, 4
	v_add3_u32 v9, v9, v11, v12
	s_add_i32 s3, s2, s16
	v_add_co_u32 v96, s2, s10, v6
	v_add_co_ci_u32_e32 v6, vcc_lo, 0, v25, vcc_lo
	v_add_co_u32 v12, vcc_lo, v24, 3
	v_lshlrev_b64 v[4:5], 3, v[8:9]
	v_add_co_ci_u32_e32 v8, vcc_lo, 0, v25, vcc_lo
	v_add_co_ci_u32_e64 v97, s2, s11, v7, s2
	v_mul_lo_u32 v11, s7, v10
	v_mul_lo_u32 v13, s6, v6
	v_mad_u64_u32 v[6:7], null, s6, v10, 0
	v_mul_lo_u32 v10, s7, v12
	v_mul_lo_u32 v14, s6, v8
	v_mad_u64_u32 v[8:9], null, s6, v12, 0
	v_add_co_u32 v98, vcc_lo, s8, v4
	v_add_co_ci_u32_e32 v99, vcc_lo, s9, v5, vcc_lo
	v_add3_u32 v7, v7, v13, v11
	v_add_co_u32 v100, vcc_lo, s10, v4
	v_add_co_ci_u32_e32 v101, vcc_lo, s11, v5, vcc_lo
	v_add3_u32 v9, v9, v14, v10
	v_add_co_u32 v10, vcc_lo, v24, 2
	v_lshlrev_b64 v[4:5], 3, v[6:7]
	v_add_co_ci_u32_e32 v11, vcc_lo, 0, v25, vcc_lo
	s_delay_alu instid0(VALU_DEP_4) | instskip(NEXT) | instid1(VALU_DEP_4)
	v_lshlrev_b64 v[6:7], 3, v[8:9]
	v_mul_lo_u32 v12, s7, v10
	v_mad_u64_u32 v[8:9], null, s6, v10, 0
	v_add_co_u32 v102, vcc_lo, s8, v4
	v_mul_lo_u32 v11, s6, v11
	v_add_co_ci_u32_e32 v103, vcc_lo, s9, v5, vcc_lo
	v_add_co_u32 v104, vcc_lo, s10, v4
	v_add_co_ci_u32_e32 v105, vcc_lo, s11, v5, vcc_lo
	v_add_co_u32 v106, vcc_lo, s8, v6
	v_add_co_ci_u32_e32 v107, vcc_lo, s9, v7, vcc_lo
	v_add3_u32 v9, v9, v11, v12
	v_add_co_u32 v108, vcc_lo, s10, v6
	v_add_co_ci_u32_e32 v109, vcc_lo, s11, v7, vcc_lo
	v_add_co_u32 v1, vcc_lo, v1, s6
	s_delay_alu instid0(VALU_DEP_4) | instskip(SKIP_3) | instid1(VALU_DEP_4)
	v_lshlrev_b64 v[4:5], 3, v[8:9]
	v_add_co_ci_u32_e32 v2, vcc_lo, s7, v2, vcc_lo
	v_mad_u64_u32 v[61:62], null, s6, v17, s[8:9]
	v_mul_lo_u32 v21, s7, v17
	v_add_co_u32 v110, vcc_lo, s8, v4
	s_delay_alu instid0(VALU_DEP_4)
	v_lshlrev_b64 v[1:2], 3, v[1:2]
	v_add_co_ci_u32_e32 v111, vcc_lo, s9, v5, vcc_lo
	v_mad_u64_u32 v[63:64], null, s6, v19, s[8:9]
	v_mul_lo_u32 v23, s7, v19
	v_mad_u64_u32 v[65:66], null, s6, v26, s[8:9]
	v_mul_lo_u32 v29, s7, v26
	v_mad_u64_u32 v[75:76], null, s6, v17, s[10:11]
	v_mad_u64_u32 v[77:78], null, s6, v19, s[10:11]
	;; [unrolled: 1-line block ×3, first 2 shown]
	v_add_co_u32 v112, vcc_lo, s10, v4
	v_add_co_ci_u32_e32 v113, vcc_lo, s11, v5, vcc_lo
	v_add_co_u32 v114, vcc_lo, s8, v1
	v_add_co_ci_u32_e32 v115, vcc_lo, s9, v2, vcc_lo
	v_add_co_u32 v116, vcc_lo, s10, v1
	v_add3_u32 v60, v18, v60, v16
	v_add3_u32 v62, v21, v62, v20
	v_add3_u32 v64, v23, v64, v22
	v_add3_u32 v66, v29, v66, v28
	v_add3_u32 v74, v18, v74, v16
	v_add3_u32 v76, v21, v76, v20
	v_add3_u32 v78, v23, v78, v22
	v_add3_u32 v80, v29, v80, v28
	v_add_co_ci_u32_e32 v117, vcc_lo, s11, v2, vcc_lo
	s_mul_i32 s2, s6, s15
	s_mov_b32 s16, 0
	s_lshl_b64 s[2:3], s[2:3], 3
.LBB134_52:                             ; =>This Inner Loop Header: Depth=1
	v_cmp_ge_i64_e64 s8, s[38:39], s[4:5]
	v_add_co_u32 v118, s9, v85, s38
	s_delay_alu instid0(VALU_DEP_1) | instskip(NEXT) | instid1(VALU_DEP_3)
	v_add_co_ci_u32_e64 v119, null, 0, s39, s9
	s_and_b32 vcc_lo, exec_lo, s8
	s_cbranch_vccz .LBB134_74
; %bb.53:                               ;   in Loop: Header=BB134_52 Depth=1
	s_load_b32 s8, s[36:37], 0xc
	v_mov_b32_e32 v51, 0
	v_mov_b32_e32 v52, 0
	s_waitcnt lgkmcnt(0)
	s_and_b32 s8, s8, 0xffff
	s_delay_alu instid0(SALU_CYCLE_1) | instskip(SKIP_1) | instid1(VALU_DEP_1)
	v_mad_u32_u24 v1, v84, s8, v83
	s_mov_b32 s8, exec_lo
	v_and_b32_e32 v1, 31, v1
	s_delay_alu instid0(VALU_DEP_1)
	v_cmpx_gt_u32_e32 8, v1
	s_cbranch_execz .LBB134_57
; %bb.54:                               ;   in Loop: Header=BB134_52 Depth=1
	v_add_co_u32 v1, vcc_lo, v118, v1
	v_add_co_ci_u32_e32 v2, vcc_lo, 0, v119, vcc_lo
	v_mov_b32_e32 v51, 0
	s_delay_alu instid0(VALU_DEP_3) | instskip(NEXT) | instid1(VALU_DEP_3)
	v_add_co_u32 v1, vcc_lo, 0xffffffc1, v1
	v_add_co_ci_u32_e32 v2, vcc_lo, -1, v2, vcc_lo
	v_mov_b32_e32 v52, 0
	s_mov_b32 s9, exec_lo
	s_delay_alu instid0(VALU_DEP_2)
	v_cmpx_gt_i64_e64 s[4:5], v[1:2]
	s_cbranch_execz .LBB134_56
; %bb.55:                               ;   in Loop: Header=BB134_52 Depth=1
	v_lshlrev_b64 v[1:2], 3, v[1:2]
	s_delay_alu instid0(VALU_DEP_1) | instskip(NEXT) | instid1(VALU_DEP_2)
	v_add_co_u32 v1, vcc_lo, s12, v1
	v_add_co_ci_u32_e32 v2, vcc_lo, s13, v2, vcc_lo
	global_load_b64 v[51:52], v[1:2], off
.LBB134_56:                             ;   in Loop: Header=BB134_52 Depth=1
	s_or_b32 exec_lo, exec_lo, s9
.LBB134_57:                             ;   in Loop: Header=BB134_52 Depth=1
	s_delay_alu instid0(SALU_CYCLE_1)
	s_or_b32 exec_lo, exec_lo, s8
	s_mov_b32 s31, s16
	s_mov_b32 s17, s16
	;; [unrolled: 1-line block ×15, first 2 shown]
	s_delay_alu instid0(SALU_CYCLE_1)
	v_dual_mov_b32 v32, s31 :: v_dual_mov_b32 v31, s30
	v_dual_mov_b32 v30, s29 :: v_dual_mov_b32 v29, s28
	;; [unrolled: 1-line block ×8, first 2 shown]
	v_add_co_u32 v1, vcc_lo, 0xffffffc1, v118
	v_dual_mov_b32 v48, v32 :: v_dual_mov_b32 v47, v31
	v_add_co_ci_u32_e32 v2, vcc_lo, -1, v119, vcc_lo
	v_dual_mov_b32 v46, v30 :: v_dual_mov_b32 v45, v29
	v_dual_mov_b32 v44, v28 :: v_dual_mov_b32 v43, v27
	;; [unrolled: 1-line block ×7, first 2 shown]
	s_mov_b32 s8, exec_lo
	v_cmpx_gt_i64_e64 s[4:5], v[1:2]
	s_cbranch_execz .LBB134_59
; %bb.58:                               ;   in Loop: Header=BB134_52 Depth=1
	v_add_co_u32 v1, vcc_lo, v86, v49
	v_add_co_ci_u32_e32 v2, vcc_lo, v87, v50, vcc_lo
	v_add_co_u32 v4, vcc_lo, v88, v49
	v_add_co_ci_u32_e32 v5, vcc_lo, v89, v50, vcc_lo
	global_load_b64 v[1:2], v[1:2], off
	v_mov_b32_e32 v16, v3
	v_mov_b32_e32 v6, v3
	global_load_b64 v[17:18], v[4:5], off
	v_mov_b32_e32 v4, v3
	v_mov_b32_e32 v5, v3
	;; [unrolled: 1-line block ×11, first 2 shown]
	s_waitcnt vmcnt(1)
	v_dual_mov_b32 v19, v3 :: v_dual_mov_b32 v48, v16
	v_dual_mov_b32 v20, v3 :: v_dual_mov_b32 v45, v13
	;; [unrolled: 1-line block ×7, first 2 shown]
	v_mov_b32_e32 v26, v3
	v_dual_mov_b32 v27, v3 :: v_dual_mov_b32 v40, v8
	v_mov_b32_e32 v28, v3
	v_dual_mov_b32 v29, v3 :: v_dual_mov_b32 v38, v6
	;; [unrolled: 2-line block ×3, first 2 shown]
	v_mov_b32_e32 v47, v15
	v_mov_b32_e32 v43, v11
	;; [unrolled: 1-line block ×5, first 2 shown]
	v_dual_mov_b32 v34, v2 :: v_dual_mov_b32 v33, v1
.LBB134_59:                             ;   in Loop: Header=BB134_52 Depth=1
	s_or_b32 exec_lo, exec_lo, s8
	v_add_co_u32 v1, vcc_lo, 0xffffffc2, v118
	v_add_co_ci_u32_e32 v2, vcc_lo, -1, v119, vcc_lo
	s_mov_b32 s8, exec_lo
	s_delay_alu instid0(VALU_DEP_1)
	v_cmpx_gt_i64_e64 s[4:5], v[1:2]
	s_cbranch_execz .LBB134_61
; %bb.60:                               ;   in Loop: Header=BB134_52 Depth=1
	v_add_co_u32 v1, vcc_lo, v114, v49
	v_add_co_ci_u32_e32 v2, vcc_lo, v115, v50, vcc_lo
	v_add_co_u32 v4, vcc_lo, v116, v49
	v_add_co_ci_u32_e32 v5, vcc_lo, v117, v50, vcc_lo
	global_load_b64 v[35:36], v[1:2], off
	global_load_b64 v[19:20], v[4:5], off
.LBB134_61:                             ;   in Loop: Header=BB134_52 Depth=1
	s_or_b32 exec_lo, exec_lo, s8
	v_add_co_u32 v1, vcc_lo, 0xffffffc3, v118
	v_add_co_ci_u32_e32 v2, vcc_lo, -1, v119, vcc_lo
	s_mov_b32 s8, exec_lo
	s_delay_alu instid0(VALU_DEP_1)
	v_cmpx_gt_i64_e64 s[4:5], v[1:2]
	s_cbranch_execz .LBB134_63
; %bb.62:                               ;   in Loop: Header=BB134_52 Depth=1
	v_add_co_u32 v1, vcc_lo, v110, v49
	v_add_co_ci_u32_e32 v2, vcc_lo, v111, v50, vcc_lo
	v_add_co_u32 v4, vcc_lo, v112, v49
	v_add_co_ci_u32_e32 v5, vcc_lo, v113, v50, vcc_lo
	global_load_b64 v[37:38], v[1:2], off
	global_load_b64 v[21:22], v[4:5], off
.LBB134_63:                             ;   in Loop: Header=BB134_52 Depth=1
	;; [unrolled: 15-line block ×7, first 2 shown]
	s_or_b32 exec_lo, exec_lo, s8
	s_waitcnt vmcnt(0)
	v_mul_f64 v[1:2], v[17:18], v[33:34]
	ds_bpermute_b32 v4, v3, v51
	ds_bpermute_b32 v5, v3, v52
	v_mul_f64 v[6:7], v[19:20], v[35:36]
	v_mul_f64 v[8:9], v[21:22], v[37:38]
	s_waitcnt lgkmcnt(0)
	v_fma_f64 v[1:2], v[1:2], v[4:5], v[81:82]
	ds_bpermute_b32 v4, v3, v51 offset:4
	ds_bpermute_b32 v5, v3, v52 offset:4
	s_waitcnt lgkmcnt(0)
	v_fma_f64 v[1:2], v[6:7], v[4:5], v[1:2]
	ds_bpermute_b32 v4, v3, v51 offset:8
	ds_bpermute_b32 v5, v3, v52 offset:8
	v_mul_f64 v[6:7], v[23:24], v[39:40]
	s_waitcnt lgkmcnt(0)
	v_fma_f64 v[1:2], v[8:9], v[4:5], v[1:2]
	ds_bpermute_b32 v4, v3, v51 offset:12
	ds_bpermute_b32 v5, v3, v52 offset:12
	v_mul_f64 v[8:9], v[25:26], v[41:42]
	s_waitcnt lgkmcnt(0)
	v_fma_f64 v[1:2], v[6:7], v[4:5], v[1:2]
	ds_bpermute_b32 v4, v3, v51 offset:16
	ds_bpermute_b32 v5, v3, v52 offset:16
	v_mul_f64 v[6:7], v[27:28], v[43:44]
	s_waitcnt lgkmcnt(0)
	v_fma_f64 v[1:2], v[8:9], v[4:5], v[1:2]
	ds_bpermute_b32 v4, v3, v51 offset:20
	ds_bpermute_b32 v5, v3, v52 offset:20
	v_mul_f64 v[8:9], v[29:30], v[45:46]
	s_waitcnt lgkmcnt(0)
	v_fma_f64 v[1:2], v[6:7], v[4:5], v[1:2]
	ds_bpermute_b32 v4, v3, v51 offset:24
	ds_bpermute_b32 v5, v3, v52 offset:24
	;; [unrolled: 1-line block ×4, first 2 shown]
	s_waitcnt lgkmcnt(2)
	v_fma_f64 v[1:2], v[8:9], v[4:5], v[1:2]
	v_mul_f64 v[4:5], v[31:32], v[47:48]
	s_waitcnt lgkmcnt(0)
	s_delay_alu instid0(VALU_DEP_1)
	v_fma_f64 v[51:52], v[4:5], v[6:7], v[1:2]
	s_branch .LBB134_80
.LBB134_74:                             ;   in Loop: Header=BB134_52 Depth=1
                                        ; implicit-def: $vgpr51_vgpr52
	s_cbranch_execz .LBB134_80
; %bb.75:                               ;   in Loop: Header=BB134_52 Depth=1
	s_load_b32 s8, s[36:37], 0x0
	s_waitcnt lgkmcnt(0)
	s_cmp_lt_u32 s14, s8
	s_cselect_b32 s8, 12, 18
	s_delay_alu instid0(SALU_CYCLE_1)
	s_add_u32 s8, s36, s8
	s_addc_u32 s9, s37, 0
	global_load_u16 v1, v3, s[8:9]
	s_mov_b32 s8, exec_lo
	s_waitcnt vmcnt(0)
	v_mad_u32_u24 v1, v84, v1, v83
	s_delay_alu instid0(VALU_DEP_1) | instskip(SKIP_1) | instid1(VALU_DEP_2)
	v_dual_mov_b32 v1, 0 :: v_dual_and_b32 v4, 31, v1
	v_mov_b32_e32 v2, 0
	v_cmpx_gt_u32_e32 8, v4
	s_cbranch_execz .LBB134_79
; %bb.76:                               ;   in Loop: Header=BB134_52 Depth=1
	v_add_co_u32 v1, vcc_lo, v118, v4
	v_add_co_ci_u32_e32 v2, vcc_lo, 0, v119, vcc_lo
	s_mov_b32 s9, exec_lo
	s_delay_alu instid0(VALU_DEP_2) | instskip(NEXT) | instid1(VALU_DEP_2)
	v_add_co_u32 v4, vcc_lo, 0xffffffc1, v1
	v_add_co_ci_u32_e32 v5, vcc_lo, -1, v2, vcc_lo
	v_mov_b32_e32 v1, 0
	v_mov_b32_e32 v2, 0
	s_delay_alu instid0(VALU_DEP_3)
	v_cmpx_gt_i64_e64 s[4:5], v[4:5]
	s_cbranch_execz .LBB134_78
; %bb.77:                               ;   in Loop: Header=BB134_52 Depth=1
	v_lshlrev_b64 v[1:2], 3, v[4:5]
	s_delay_alu instid0(VALU_DEP_1) | instskip(NEXT) | instid1(VALU_DEP_2)
	v_add_co_u32 v1, vcc_lo, s12, v1
	v_add_co_ci_u32_e32 v2, vcc_lo, s13, v2, vcc_lo
	global_load_b64 v[1:2], v[1:2], off
.LBB134_78:                             ;   in Loop: Header=BB134_52 Depth=1
	s_or_b32 exec_lo, exec_lo, s9
.LBB134_79:                             ;   in Loop: Header=BB134_52 Depth=1
	s_delay_alu instid0(SALU_CYCLE_1)
	s_or_b32 exec_lo, exec_lo, s8
	v_add_co_u32 v4, vcc_lo, v86, v49
	v_add_co_ci_u32_e32 v5, vcc_lo, v87, v50, vcc_lo
	v_add_co_u32 v6, vcc_lo, v88, v49
	v_add_co_ci_u32_e32 v7, vcc_lo, v89, v50, vcc_lo
	v_add_co_u32 v8, vcc_lo, v53, v49
	global_load_b64 v[4:5], v[4:5], off
	global_load_b64 v[6:7], v[6:7], off
	v_add_co_ci_u32_e32 v9, vcc_lo, v54, v50, vcc_lo
	v_add_co_u32 v10, vcc_lo, v67, v49
	v_add_co_ci_u32_e32 v11, vcc_lo, v68, v50, vcc_lo
	global_load_b64 v[8:9], v[8:9], off
	global_load_b64 v[10:11], v[10:11], off
	v_add_co_u32 v12, vcc_lo, v55, v49
	v_add_co_ci_u32_e32 v13, vcc_lo, v56, v50, vcc_lo
	v_add_co_u32 v14, vcc_lo, v69, v49
	v_add_co_ci_u32_e32 v15, vcc_lo, v70, v50, vcc_lo
	global_load_b64 v[12:13], v[12:13], off
	global_load_b64 v[14:15], v[14:15], off
	v_add_co_u32 v16, vcc_lo, v57, v49
	;; [unrolled: 6-line block ×6, first 2 shown]
	v_add_co_ci_u32_e32 v33, vcc_lo, v66, v50, vcc_lo
	v_add_co_u32 v34, vcc_lo, v79, v49
	v_add_co_ci_u32_e32 v35, vcc_lo, v80, v50, vcc_lo
	global_load_b64 v[32:33], v[32:33], off
	global_load_b64 v[34:35], v[34:35], off
	s_waitcnt vmcnt(14)
	v_mul_f64 v[4:5], v[4:5], v[6:7]
	ds_bpermute_b32 v6, v3, v1
	ds_bpermute_b32 v7, v3, v2
	s_waitcnt vmcnt(12)
	v_mul_f64 v[8:9], v[8:9], v[10:11]
	s_waitcnt vmcnt(10)
	v_mul_f64 v[10:11], v[12:13], v[14:15]
	s_waitcnt lgkmcnt(0)
	v_fma_f64 v[4:5], v[4:5], v[6:7], v[81:82]
	ds_bpermute_b32 v6, v3, v1 offset:4
	ds_bpermute_b32 v7, v3, v2 offset:4
	s_waitcnt lgkmcnt(0)
	v_fma_f64 v[4:5], v[8:9], v[6:7], v[4:5]
	ds_bpermute_b32 v6, v3, v1 offset:8
	ds_bpermute_b32 v7, v3, v2 offset:8
	s_waitcnt vmcnt(8)
	v_mul_f64 v[8:9], v[16:17], v[18:19]
	s_waitcnt lgkmcnt(0)
	v_fma_f64 v[4:5], v[10:11], v[6:7], v[4:5]
	ds_bpermute_b32 v6, v3, v1 offset:12
	ds_bpermute_b32 v7, v3, v2 offset:12
	s_waitcnt vmcnt(6)
	v_mul_f64 v[10:11], v[20:21], v[22:23]
	;; [unrolled: 6-line block ×4, first 2 shown]
	s_waitcnt lgkmcnt(0)
	v_fma_f64 v[4:5], v[8:9], v[6:7], v[4:5]
	ds_bpermute_b32 v6, v3, v1 offset:24
	ds_bpermute_b32 v7, v3, v2 offset:24
	;; [unrolled: 1-line block ×4, first 2 shown]
	s_waitcnt lgkmcnt(2)
	v_fma_f64 v[4:5], v[10:11], v[6:7], v[4:5]
	s_waitcnt vmcnt(0)
	v_mul_f64 v[6:7], v[32:33], v[34:35]
	s_waitcnt lgkmcnt(0)
	s_delay_alu instid0(VALU_DEP_1)
	v_fma_f64 v[51:52], v[6:7], v[1:2], v[4:5]
.LBB134_80:                             ;   in Loop: Header=BB134_52 Depth=1
	v_add_co_u32 v53, vcc_lo, v53, s2
	v_add_co_ci_u32_e32 v54, vcc_lo, s3, v54, vcc_lo
	v_add_co_u32 v55, vcc_lo, v55, s2
	v_add_co_ci_u32_e32 v56, vcc_lo, s3, v56, vcc_lo
	;; [unrolled: 2-line block ×27, first 2 shown]
	v_add_co_u32 v112, vcc_lo, v112, s2
	s_add_u32 s34, s34, s15
	v_add_co_ci_u32_e32 v113, vcc_lo, s3, v113, vcc_lo
	s_addc_u32 s35, s35, 0
	v_add_co_u32 v114, vcc_lo, v114, s2
	v_cmp_ge_i64_e64 s8, s[34:35], s[4:5]
	v_add_co_ci_u32_e32 v115, vcc_lo, s3, v115, vcc_lo
	v_add_co_u32 v116, vcc_lo, v116, s2
	v_add_co_ci_u32_e32 v117, vcc_lo, s3, v117, vcc_lo
	s_add_u32 s38, s38, s15
	s_addc_u32 s39, s39, 0
	s_and_b32 vcc_lo, exec_lo, s8
	s_cbranch_vccnz .LBB134_82
; %bb.81:                               ;   in Loop: Header=BB134_52 Depth=1
	v_dual_mov_b32 v82, v52 :: v_dual_mov_b32 v81, v51
	s_branch .LBB134_52
.LBB134_82:
	v_dual_mov_b32 v4, 0 :: v_dual_and_b32 v3, 0x3ff, v0
	v_bfe_u32 v0, v0, 10, 10
	s_mov_b32 s15, 0
	s_mov_b32 s2, exec_lo
	s_delay_alu instid0(VALU_DEP_2) | instskip(NEXT) | instid1(VALU_DEP_2)
	v_lshrrev_b32_e32 v2, 5, v3
	v_mad_u32_u24 v5, v0, 33, v3
	s_delay_alu instid0(VALU_DEP_2) | instskip(NEXT) | instid1(VALU_DEP_2)
	v_add_nc_u32_e32 v1, v2, v0
	v_lshl_add_u32 v6, v5, 3, 0
	v_mov_b32_e32 v5, v4
	ds_store_b64 v6, v[51:52]
	ds_store_b64 v6, v[4:5] offset:2112
	s_waitcnt lgkmcnt(0)
	s_barrier
	buffer_gl0_inv
	v_cmpx_gt_u32_e32 32, v1
	s_cbranch_execz .LBB134_89
; %bb.83:
	v_mbcnt_lo_u32_b32 v6, -1, 0
	v_and_b32_e32 v4, 31, v3
	s_load_b64 s[2:3], s[0:1], 0x30
	s_lshl_b64 s[4:5], s[14:15], 5
	v_cmp_ne_u32_e32 vcc_lo, 0, v3
	v_xor_b32_e32 v5, 4, v6
	v_cmp_gt_u32_e64 s0, 8, v4
	v_mul_u32_u24_e32 v9, 0x108, v4
	v_xor_b32_e32 v7, 2, v6
	v_lshlrev_b32_e32 v11, 3, v1
	v_cmp_gt_i32_e64 s1, 32, v5
	s_delay_alu instid0(VALU_DEP_2) | instskip(NEXT) | instid1(VALU_DEP_2)
	v_add3_u32 v9, v9, v11, 0
	v_cndmask_b32_e64 v8, v6, v5, s1
	v_add_co_u32 v4, s1, v2, v0
	s_delay_alu instid0(VALU_DEP_1) | instskip(SKIP_1) | instid1(VALU_DEP_3)
	v_add_co_ci_u32_e64 v5, null, 0, 0, s1
	v_xor_b32_e32 v0, 1, v6
	v_add_co_u32 v2, s1, v4, s4
	s_delay_alu instid0(VALU_DEP_1) | instskip(SKIP_3) | instid1(VALU_DEP_1)
	v_add_co_ci_u32_e64 v3, s1, s5, v5, s1
	v_cmp_gt_i32_e64 s1, 32, v7
	s_waitcnt lgkmcnt(0)
	s_cmp_eq_u64 s[2:3], 0
	v_cndmask_b32_e64 v7, v6, v7, s1
	v_cmp_gt_i32_e64 s1, 32, v0
	s_delay_alu instid0(VALU_DEP_2) | instskip(NEXT) | instid1(VALU_DEP_2)
	v_lshlrev_b32_e32 v7, 2, v7
	v_cndmask_b32_e64 v10, v6, v0, s1
	v_lshlrev_b64 v[0:1], 3, v[2:3]
	v_lshlrev_b32_e32 v6, 2, v8
                                        ; implicit-def: $vgpr2_vgpr3
	s_delay_alu instid0(VALU_DEP_3) | instskip(NEXT) | instid1(VALU_DEP_3)
	v_lshlrev_b32_e32 v8, 2, v10
	v_add_co_u32 v0, s1, s2, v0
	s_delay_alu instid0(VALU_DEP_1)
	v_add_co_ci_u32_e64 v1, s1, s3, v1, s1
	s_cselect_b32 s3, -1, 0
	s_branch .LBB134_85
.LBB134_84:                             ;   in Loop: Header=BB134_85 Depth=1
	s_or_b32 exec_lo, exec_lo, s1
	v_add_co_u32 v4, s1, v4, 8
	s_delay_alu instid0(VALU_DEP_1) | instskip(SKIP_1) | instid1(VALU_DEP_3)
	v_add_co_ci_u32_e64 v5, s1, 0, v5, s1
	v_add_co_u32 v0, s2, v0, 64
	v_add_nc_u32_e32 v10, -8, v4
	v_add_nc_u32_e32 v9, 64, v9
	v_add_co_ci_u32_e64 v1, s2, 0, v1, s2
	s_delay_alu instid0(VALU_DEP_3) | instskip(NEXT) | instid1(VALU_DEP_1)
	v_cmp_lt_u32_e64 s1, 23, v10
	s_or_b32 s15, s1, s15
	s_delay_alu instid0(SALU_CYCLE_1)
	s_and_not1_b32 exec_lo, exec_lo, s15
	s_cbranch_execz .LBB134_89
.LBB134_85:                             ; =>This Inner Loop Header: Depth=1
	s_and_saveexec_b32 s1, s0
	s_cbranch_execz .LBB134_87
; %bb.86:                               ;   in Loop: Header=BB134_85 Depth=1
	ds_load_b64 v[2:3], v9
.LBB134_87:                             ;   in Loop: Header=BB134_85 Depth=1
	s_or_b32 exec_lo, exec_lo, s1
	s_waitcnt lgkmcnt(0)
	ds_bpermute_b32 v10, v6, v2
	ds_bpermute_b32 v11, v6, v3
	s_waitcnt lgkmcnt(0)
	v_add_f64 v[2:3], v[2:3], v[10:11]
	ds_bpermute_b32 v10, v7, v2
	ds_bpermute_b32 v11, v7, v3
	s_waitcnt lgkmcnt(0)
	v_add_f64 v[2:3], v[2:3], v[10:11]
	ds_bpermute_b32 v10, v8, v2
	ds_bpermute_b32 v11, v8, v3
	s_waitcnt lgkmcnt(0)
	v_add_f64 v[2:3], v[2:3], v[10:11]
	v_add_co_u32 v10, s1, s4, v4
	s_delay_alu instid0(VALU_DEP_1) | instskip(NEXT) | instid1(VALU_DEP_1)
	v_add_co_ci_u32_e64 v11, s1, s5, v5, s1
	v_cmp_le_i64_e64 s1, s[6:7], v[10:11]
	s_delay_alu instid0(VALU_DEP_1) | instskip(NEXT) | instid1(SALU_CYCLE_1)
	s_or_b32 s1, vcc_lo, s1
	s_or_b32 s1, s3, s1
	s_delay_alu instid0(SALU_CYCLE_1) | instskip(NEXT) | instid1(SALU_CYCLE_1)
	s_xor_b32 s2, s1, -1
	s_and_saveexec_b32 s1, s2
	s_cbranch_execz .LBB134_84
; %bb.88:                               ;   in Loop: Header=BB134_85 Depth=1
	global_store_b64 v[0:1], v[2:3], off
	s_branch .LBB134_84
.LBB134_89:
	s_nop 0
	s_sendmsg sendmsg(MSG_DEALLOC_VGPRS)
	s_endpgm
	.section	.rodata,"a",@progbits
	.p2align	6, 0x0
	.amdhsa_kernel _ZN2at6native12_GLOBAL__N_135GammaBetaBackwardCUDAKernelTemplateIddLj32ELj8ELj64ELb0ELb0ELb1EEEvllPKT_S5_PKT0_S8_PS3_S9_
		.amdhsa_group_segment_fixed_size 0
		.amdhsa_private_segment_fixed_size 0
		.amdhsa_kernarg_size 320
		.amdhsa_user_sgpr_count 14
		.amdhsa_user_sgpr_dispatch_ptr 0
		.amdhsa_user_sgpr_queue_ptr 0
		.amdhsa_user_sgpr_kernarg_segment_ptr 1
		.amdhsa_user_sgpr_dispatch_id 0
		.amdhsa_user_sgpr_private_segment_size 0
		.amdhsa_wavefront_size32 1
		.amdhsa_uses_dynamic_stack 0
		.amdhsa_enable_private_segment 0
		.amdhsa_system_sgpr_workgroup_id_x 1
		.amdhsa_system_sgpr_workgroup_id_y 1
		.amdhsa_system_sgpr_workgroup_id_z 0
		.amdhsa_system_sgpr_workgroup_info 0
		.amdhsa_system_vgpr_workitem_id 1
		.amdhsa_next_free_vgpr 120
		.amdhsa_next_free_sgpr 45
		.amdhsa_reserve_vcc 1
		.amdhsa_float_round_mode_32 0
		.amdhsa_float_round_mode_16_64 0
		.amdhsa_float_denorm_mode_32 3
		.amdhsa_float_denorm_mode_16_64 3
		.amdhsa_dx10_clamp 1
		.amdhsa_ieee_mode 1
		.amdhsa_fp16_overflow 0
		.amdhsa_workgroup_processor_mode 1
		.amdhsa_memory_ordered 1
		.amdhsa_forward_progress 0
		.amdhsa_shared_vgpr_count 0
		.amdhsa_exception_fp_ieee_invalid_op 0
		.amdhsa_exception_fp_denorm_src 0
		.amdhsa_exception_fp_ieee_div_zero 0
		.amdhsa_exception_fp_ieee_overflow 0
		.amdhsa_exception_fp_ieee_underflow 0
		.amdhsa_exception_fp_ieee_inexact 0
		.amdhsa_exception_int_div_zero 0
	.end_amdhsa_kernel
	.section	.text._ZN2at6native12_GLOBAL__N_135GammaBetaBackwardCUDAKernelTemplateIddLj32ELj8ELj64ELb0ELb0ELb1EEEvllPKT_S5_PKT0_S8_PS3_S9_,"axG",@progbits,_ZN2at6native12_GLOBAL__N_135GammaBetaBackwardCUDAKernelTemplateIddLj32ELj8ELj64ELb0ELb0ELb1EEEvllPKT_S5_PKT0_S8_PS3_S9_,comdat
.Lfunc_end134:
	.size	_ZN2at6native12_GLOBAL__N_135GammaBetaBackwardCUDAKernelTemplateIddLj32ELj8ELj64ELb0ELb0ELb1EEEvllPKT_S5_PKT0_S8_PS3_S9_, .Lfunc_end134-_ZN2at6native12_GLOBAL__N_135GammaBetaBackwardCUDAKernelTemplateIddLj32ELj8ELj64ELb0ELb0ELb1EEEvllPKT_S5_PKT0_S8_PS3_S9_
                                        ; -- End function
	.section	.AMDGPU.csdata,"",@progbits
; Kernel info:
; codeLenInByte = 8452
; NumSgprs: 47
; NumVgprs: 120
; ScratchSize: 0
; MemoryBound: 1
; FloatMode: 240
; IeeeMode: 1
; LDSByteSize: 0 bytes/workgroup (compile time only)
; SGPRBlocks: 5
; VGPRBlocks: 14
; NumSGPRsForWavesPerEU: 47
; NumVGPRsForWavesPerEU: 120
; Occupancy: 12
; WaveLimiterHint : 0
; COMPUTE_PGM_RSRC2:SCRATCH_EN: 0
; COMPUTE_PGM_RSRC2:USER_SGPR: 14
; COMPUTE_PGM_RSRC2:TRAP_HANDLER: 0
; COMPUTE_PGM_RSRC2:TGID_X_EN: 1
; COMPUTE_PGM_RSRC2:TGID_Y_EN: 1
; COMPUTE_PGM_RSRC2:TGID_Z_EN: 0
; COMPUTE_PGM_RSRC2:TIDIG_COMP_CNT: 1
	.section	.text._ZN2at6native12_GLOBAL__N_135GammaBetaBackwardCUDAKernelTemplateIddLj32ELj16ELj128ELb0ELb1ELb1EEEvllPKT_S5_PKT0_S8_PS3_S9_,"axG",@progbits,_ZN2at6native12_GLOBAL__N_135GammaBetaBackwardCUDAKernelTemplateIddLj32ELj16ELj128ELb0ELb1ELb1EEEvllPKT_S5_PKT0_S8_PS3_S9_,comdat
	.globl	_ZN2at6native12_GLOBAL__N_135GammaBetaBackwardCUDAKernelTemplateIddLj32ELj16ELj128ELb0ELb1ELb1EEEvllPKT_S5_PKT0_S8_PS3_S9_ ; -- Begin function _ZN2at6native12_GLOBAL__N_135GammaBetaBackwardCUDAKernelTemplateIddLj32ELj16ELj128ELb0ELb1ELb1EEEvllPKT_S5_PKT0_S8_PS3_S9_
	.p2align	8
	.type	_ZN2at6native12_GLOBAL__N_135GammaBetaBackwardCUDAKernelTemplateIddLj32ELj16ELj128ELb0ELb1ELb1EEEvllPKT_S5_PKT0_S8_PS3_S9_,@function
_ZN2at6native12_GLOBAL__N_135GammaBetaBackwardCUDAKernelTemplateIddLj32ELj16ELj128ELb0ELb1ELb1EEEvllPKT_S5_PKT0_S8_PS3_S9_: ; @_ZN2at6native12_GLOBAL__N_135GammaBetaBackwardCUDAKernelTemplateIddLj32ELj16ELj128ELb0ELb1ELb1EEEvllPKT_S5_PKT0_S8_PS3_S9_
; %bb.0:
	s_load_b128 s[4:7], s[0:1], 0x0
	s_mov_b32 s13, 0
	s_lshl_b32 s12, s15, 7
	v_bfe_u32 v13, v0, 10, 10
	s_waitcnt lgkmcnt(0)
	v_cmp_lt_i64_e64 s2, s[12:13], s[4:5]
	s_delay_alu instid0(VALU_DEP_1)
	s_and_b32 vcc_lo, exec_lo, s2
	s_cbranch_vccnz .LBB135_2
; %bb.1:
	v_bfe_u32 v1, v0, 10, 10
	s_mov_b64 s[8:9], 0
	s_mov_b32 s10, s13
	s_branch .LBB135_3
.LBB135_2:
	s_mov_b32 s10, -1
                                        ; implicit-def: $sgpr8_sgpr9
                                        ; implicit-def: $vgpr1
.LBB135_3:
	s_load_b64 s[2:3], s[0:1], 0x30
	v_mov_b32_e32 v8, s8
	v_dual_mov_b32 v9, s9 :: v_dual_and_b32 v12, 0x3ff, v0
	s_and_not1_b32 vcc_lo, exec_lo, s10
	s_cbranch_vccnz .LBB135_11
; %bb.4:
	s_clause 0x3
	s_load_b32 s15, s[0:1], 0x4c
	s_load_b32 s16, s[0:1], 0x44
	s_load_b128 s[8:11], s[0:1], 0x10
	s_load_b64 s[18:19], s[0:1], 0x28
	v_dual_mov_b32 v15, 4 :: v_dual_lshlrev_b32 v2, 3, v13
	v_dual_mov_b32 v14, 8 :: v_dual_mov_b32 v1, 0
	v_lshl_add_u32 v0, s14, 5, v12
	s_delay_alu instid0(VALU_DEP_3) | instskip(NEXT) | instid1(VALU_DEP_1)
	v_add_co_u32 v2, s1, v2, s12
	v_add_co_ci_u32_e64 v3, null, 0, 0, s1
	s_delay_alu instid0(VALU_DEP_3) | instskip(NEXT) | instid1(VALU_DEP_3)
	v_lshlrev_b64 v[8:9], 3, v[0:1]
	v_mul_lo_u32 v10, s7, v2
	v_mad_u64_u32 v[6:7], null, s6, v2, 0
	s_delay_alu instid0(VALU_DEP_4)
	v_mul_lo_u32 v11, s6, v3
	v_dual_mov_b32 v16, 12 :: v_dual_mov_b32 v17, 16
	s_waitcnt lgkmcnt(0)
	s_and_b32 s0, s15, 0xffff
	s_lshl_b32 s16, s16, 7
	v_mad_u32_u24 v4, v13, s0, v12
	s_mul_i32 s1, s7, s16
	s_mul_hi_u32 s15, s6, s16
	v_add3_u32 v7, v7, v11, v10
	v_dual_mov_b32 v18, 20 :: v_dual_mov_b32 v19, 24
	v_dual_mov_b32 v20, 28 :: v_dual_and_b32 v23, 31, v4
	s_delay_alu instid0(VALU_DEP_3) | instskip(SKIP_2) | instid1(VALU_DEP_4)
	v_lshlrev_b64 v[21:22], 3, v[6:7]
	v_mov_b32_e32 v4, 0
	v_mov_b32_e32 v5, 0
	v_add_co_u32 v2, vcc_lo, v2, v23
	v_add_co_ci_u32_e32 v3, vcc_lo, 0, v3, vcc_lo
	v_cmp_gt_u32_e64 s0, 8, v23
	s_mov_b32 s17, 0
	s_add_i32 s21, s15, s1
	s_delay_alu instid0(VALU_DEP_2) | instskip(SKIP_3) | instid1(VALU_DEP_1)
	v_lshlrev_b64 v[10:11], 3, v[2:3]
	s_mul_i32 s20, s6, s16
	s_lshl_b64 s[6:7], s[6:7], 3
	s_lshl_b64 s[20:21], s[20:21], 3
	v_add_co_u32 v6, vcc_lo, s18, v10
	s_delay_alu instid0(VALU_DEP_2)
	v_add_co_ci_u32_e32 v7, vcc_lo, s19, v11, vcc_lo
	v_add_co_u32 v0, vcc_lo, v21, v8
	v_add_co_ci_u32_e32 v21, vcc_lo, v22, v9, vcc_lo
	v_dual_mov_b32 v9, v5 :: v_dual_mov_b32 v8, v4
	s_lshl_b64 s[18:19], s[16:17], 3
	s_branch .LBB135_7
.LBB135_5:                              ;   in Loop: Header=BB135_7 Depth=1
	s_or_b32 exec_lo, exec_lo, s15
.LBB135_6:                              ;   in Loop: Header=BB135_7 Depth=1
	s_delay_alu instid0(SALU_CYCLE_1)
	s_or_b32 exec_lo, exec_lo, s1
	v_add_co_u32 v22, vcc_lo, s8, v0
	v_add_co_ci_u32_e32 v23, vcc_lo, s9, v21, vcc_lo
	v_add_co_u32 v24, vcc_lo, s10, v0
	v_add_co_ci_u32_e32 v25, vcc_lo, s11, v21, vcc_lo
	s_add_u32 s12, s12, s16
	global_load_b64 v[26:27], v[22:23], off
	global_load_b64 v[28:29], v[24:25], off
	v_add_co_u32 v22, vcc_lo, v22, s6
	v_add_co_ci_u32_e32 v23, vcc_lo, s7, v23, vcc_lo
	v_add_co_u32 v24, vcc_lo, v24, s6
	v_add_co_ci_u32_e32 v25, vcc_lo, s7, v25, vcc_lo
	global_load_b64 v[30:31], v[22:23], off
	global_load_b64 v[32:33], v[24:25], off
	v_add_co_u32 v22, vcc_lo, v22, s6
	v_add_co_ci_u32_e32 v23, vcc_lo, s7, v23, vcc_lo
	v_add_co_u32 v24, vcc_lo, v24, s6
	v_add_co_ci_u32_e32 v25, vcc_lo, s7, v25, vcc_lo
	;; [unrolled: 6-line block ×7, first 2 shown]
	global_load_b64 v[22:23], v[22:23], off
	global_load_b64 v[24:25], v[24:25], off
	v_add_co_u32 v6, vcc_lo, v6, s18
	v_add_co_ci_u32_e32 v7, vcc_lo, s19, v7, vcc_lo
	s_addc_u32 s13, s13, 0
	v_add_co_u32 v2, vcc_lo, v2, s16
	v_cmp_lt_i64_e64 s1, s[12:13], s[4:5]
	v_add_co_ci_u32_e32 v3, vcc_lo, 0, v3, vcc_lo
	v_add_co_u32 v0, vcc_lo, v0, s20
	v_add_co_ci_u32_e32 v21, vcc_lo, s21, v21, vcc_lo
	s_delay_alu instid0(VALU_DEP_4)
	s_and_b32 vcc_lo, exec_lo, s1
	s_waitcnt vmcnt(14)
	v_mul_f64 v[26:27], v[26:27], v[28:29]
	ds_bpermute_b32 v28, v1, v10
	ds_bpermute_b32 v29, v1, v11
	s_waitcnt vmcnt(12)
	v_mul_f64 v[30:31], v[30:31], v[32:33]
	s_waitcnt lgkmcnt(0)
	v_fma_f64 v[8:9], v[26:27], v[28:29], v[8:9]
	ds_bpermute_b32 v26, v15, v10
	ds_bpermute_b32 v27, v15, v11
	s_waitcnt vmcnt(10)
	v_mul_f64 v[28:29], v[34:35], v[36:37]
	s_waitcnt lgkmcnt(0)
	v_fma_f64 v[8:9], v[30:31], v[26:27], v[8:9]
	ds_bpermute_b32 v26, v14, v10
	ds_bpermute_b32 v27, v14, v11
	s_waitcnt vmcnt(8)
	v_mul_f64 v[30:31], v[38:39], v[40:41]
	s_waitcnt vmcnt(0)
	v_mul_f64 v[22:23], v[22:23], v[24:25]
	s_waitcnt lgkmcnt(0)
	v_fma_f64 v[8:9], v[28:29], v[26:27], v[8:9]
	ds_bpermute_b32 v26, v16, v10
	ds_bpermute_b32 v27, v16, v11
	v_mul_f64 v[28:29], v[42:43], v[44:45]
	s_waitcnt lgkmcnt(0)
	v_fma_f64 v[8:9], v[30:31], v[26:27], v[8:9]
	ds_bpermute_b32 v26, v17, v10
	ds_bpermute_b32 v27, v17, v11
	;; [unrolled: 5-line block ×4, first 2 shown]
	ds_bpermute_b32 v10, v20, v10
	ds_bpermute_b32 v11, v20, v11
	s_waitcnt lgkmcnt(2)
	v_fma_f64 v[8:9], v[28:29], v[26:27], v[8:9]
	s_waitcnt lgkmcnt(0)
	s_delay_alu instid0(VALU_DEP_1)
	v_fma_f64 v[8:9], v[22:23], v[10:11], v[8:9]
	s_cbranch_vccz .LBB135_10
.LBB135_7:                              ; =>This Inner Loop Header: Depth=1
	v_dual_mov_b32 v11, v5 :: v_dual_mov_b32 v10, v4
	s_and_saveexec_b32 s1, s0
	s_cbranch_execz .LBB135_6
; %bb.8:                                ;   in Loop: Header=BB135_7 Depth=1
	v_mov_b32_e32 v10, 0
	v_mov_b32_e32 v11, 0
	s_mov_b32 s15, exec_lo
	v_cmpx_gt_i64_e64 s[4:5], v[2:3]
	s_cbranch_execz .LBB135_5
; %bb.9:                                ;   in Loop: Header=BB135_7 Depth=1
	global_load_b64 v[10:11], v[6:7], off
	s_branch .LBB135_5
.LBB135_10:
	v_mov_b32_e32 v1, v13
.LBB135_11:
	s_delay_alu instid0(VALU_DEP_1) | instskip(NEXT) | instid1(VALU_DEP_2)
	v_lshrrev_b32_e32 v2, 5, v12
	v_mad_u32_u24 v4, v1, 33, v12
	v_mov_b32_e32 v3, 0
	s_mov_b32 s15, 0
	s_mov_b32 s0, exec_lo
	v_add_nc_u32_e32 v0, v2, v1
	v_lshl_add_u32 v5, v4, 3, 0
	v_mov_b32_e32 v4, v3
	ds_store_b64 v5, v[8:9]
	ds_store_b64 v5, v[3:4] offset:4224
	s_waitcnt lgkmcnt(0)
	s_barrier
	buffer_gl0_inv
	v_cmpx_gt_u32_e32 32, v0
	s_cbranch_execz .LBB135_18
; %bb.12:
	v_mbcnt_lo_u32_b32 v3, -1, 0
	v_cmp_eq_u32_e64 s0, 0, v12
	s_cmp_lg_u64 s[2:3], 0
	v_and_b32_e32 v4, 31, v12
	s_cselect_b32 s1, -1, 0
	v_xor_b32_e32 v5, 8, v3
	v_xor_b32_e32 v6, 4, v3
	s_and_b32 s1, s0, s1
	v_xor_b32_e32 v7, 2, v3
	v_xor_b32_e32 v9, 1, v3
	v_cmp_gt_i32_e64 s0, 32, v5
	v_cmp_gt_u32_e32 vcc_lo, 16, v4
	v_mul_u32_u24_e32 v8, 0x108, v4
	s_lshl_b64 s[4:5], s[14:15], 8
	s_delay_alu instid0(VALU_DEP_3) | instskip(SKIP_1) | instid1(VALU_DEP_2)
	v_cndmask_b32_e64 v5, v3, v5, s0
	v_cmp_gt_i32_e64 s0, 32, v6
	v_lshlrev_b32_e32 v4, 2, v5
	s_delay_alu instid0(VALU_DEP_2) | instskip(SKIP_1) | instid1(VALU_DEP_2)
	v_cndmask_b32_e64 v6, v3, v6, s0
	v_cmp_gt_i32_e64 s0, 32, v7
	v_lshlrev_b32_e32 v5, 2, v6
	s_delay_alu instid0(VALU_DEP_2) | instskip(SKIP_1) | instid1(VALU_DEP_2)
	v_cndmask_b32_e64 v6, v3, v7, s0
	v_cmp_gt_i32_e64 s0, 32, v9
	v_lshlrev_b32_e32 v6, 2, v6
	s_delay_alu instid0(VALU_DEP_2) | instskip(SKIP_1) | instid1(VALU_DEP_1)
	v_cndmask_b32_e64 v3, v3, v9, s0
	v_add_co_u32 v1, s0, v2, v1
	v_add_co_ci_u32_e64 v2, null, 0, 0, s0
	v_lshlrev_b32_e32 v9, 3, v0
	s_add_u32 s0, s2, s4
	s_addc_u32 s2, s3, s5
	s_delay_alu instid0(VALU_DEP_2) | instskip(SKIP_3) | instid1(VALU_DEP_4)
	v_lshlrev_b64 v[1:2], 3, v[1:2]
	v_lshlrev_b32_e32 v7, 2, v3
	v_add3_u32 v8, v8, v9, 0
	v_add_nc_u32_e32 v9, -16, v0
	v_add_co_u32 v0, s0, s0, v1
	s_delay_alu instid0(VALU_DEP_1)
	v_add_co_ci_u32_e64 v1, s0, s2, v2, s0
                                        ; implicit-def: $vgpr2_vgpr3
	s_branch .LBB135_14
.LBB135_13:                             ;   in Loop: Header=BB135_14 Depth=1
	s_or_b32 exec_lo, exec_lo, s0
	v_add_co_u32 v9, s0, v9, 16
	s_delay_alu instid0(VALU_DEP_1) | instskip(SKIP_4) | instid1(SALU_CYCLE_1)
	s_xor_b32 s2, s0, -1
	v_add_co_u32 v0, s0, 0x80, v0
	v_add_nc_u32_e32 v8, 0x80, v8
	v_add_co_ci_u32_e64 v1, s0, 0, v1, s0
	s_and_b32 s0, exec_lo, s2
	s_or_b32 s15, s0, s15
	s_delay_alu instid0(SALU_CYCLE_1)
	s_and_not1_b32 exec_lo, exec_lo, s15
	s_cbranch_execz .LBB135_18
.LBB135_14:                             ; =>This Inner Loop Header: Depth=1
	s_and_saveexec_b32 s0, vcc_lo
	s_cbranch_execz .LBB135_16
; %bb.15:                               ;   in Loop: Header=BB135_14 Depth=1
	ds_load_b64 v[2:3], v8
.LBB135_16:                             ;   in Loop: Header=BB135_14 Depth=1
	s_or_b32 exec_lo, exec_lo, s0
	s_waitcnt lgkmcnt(0)
	ds_bpermute_b32 v10, v4, v2
	ds_bpermute_b32 v11, v4, v3
	s_waitcnt lgkmcnt(0)
	v_add_f64 v[2:3], v[2:3], v[10:11]
	ds_bpermute_b32 v10, v5, v2
	ds_bpermute_b32 v11, v5, v3
	s_waitcnt lgkmcnt(0)
	v_add_f64 v[2:3], v[2:3], v[10:11]
	;; [unrolled: 4-line block ×4, first 2 shown]
	s_and_saveexec_b32 s0, s1
	s_cbranch_execz .LBB135_13
; %bb.17:                               ;   in Loop: Header=BB135_14 Depth=1
	global_store_b64 v[0:1], v[2:3], off
	s_branch .LBB135_13
.LBB135_18:
	s_nop 0
	s_sendmsg sendmsg(MSG_DEALLOC_VGPRS)
	s_endpgm
	.section	.rodata,"a",@progbits
	.p2align	6, 0x0
	.amdhsa_kernel _ZN2at6native12_GLOBAL__N_135GammaBetaBackwardCUDAKernelTemplateIddLj32ELj16ELj128ELb0ELb1ELb1EEEvllPKT_S5_PKT0_S8_PS3_S9_
		.amdhsa_group_segment_fixed_size 0
		.amdhsa_private_segment_fixed_size 0
		.amdhsa_kernarg_size 320
		.amdhsa_user_sgpr_count 14
		.amdhsa_user_sgpr_dispatch_ptr 0
		.amdhsa_user_sgpr_queue_ptr 0
		.amdhsa_user_sgpr_kernarg_segment_ptr 1
		.amdhsa_user_sgpr_dispatch_id 0
		.amdhsa_user_sgpr_private_segment_size 0
		.amdhsa_wavefront_size32 1
		.amdhsa_uses_dynamic_stack 0
		.amdhsa_enable_private_segment 0
		.amdhsa_system_sgpr_workgroup_id_x 1
		.amdhsa_system_sgpr_workgroup_id_y 1
		.amdhsa_system_sgpr_workgroup_id_z 0
		.amdhsa_system_sgpr_workgroup_info 0
		.amdhsa_system_vgpr_workitem_id 1
		.amdhsa_next_free_vgpr 54
		.amdhsa_next_free_sgpr 22
		.amdhsa_reserve_vcc 1
		.amdhsa_float_round_mode_32 0
		.amdhsa_float_round_mode_16_64 0
		.amdhsa_float_denorm_mode_32 3
		.amdhsa_float_denorm_mode_16_64 3
		.amdhsa_dx10_clamp 1
		.amdhsa_ieee_mode 1
		.amdhsa_fp16_overflow 0
		.amdhsa_workgroup_processor_mode 1
		.amdhsa_memory_ordered 1
		.amdhsa_forward_progress 0
		.amdhsa_shared_vgpr_count 0
		.amdhsa_exception_fp_ieee_invalid_op 0
		.amdhsa_exception_fp_denorm_src 0
		.amdhsa_exception_fp_ieee_div_zero 0
		.amdhsa_exception_fp_ieee_overflow 0
		.amdhsa_exception_fp_ieee_underflow 0
		.amdhsa_exception_fp_ieee_inexact 0
		.amdhsa_exception_int_div_zero 0
	.end_amdhsa_kernel
	.section	.text._ZN2at6native12_GLOBAL__N_135GammaBetaBackwardCUDAKernelTemplateIddLj32ELj16ELj128ELb0ELb1ELb1EEEvllPKT_S5_PKT0_S8_PS3_S9_,"axG",@progbits,_ZN2at6native12_GLOBAL__N_135GammaBetaBackwardCUDAKernelTemplateIddLj32ELj16ELj128ELb0ELb1ELb1EEEvllPKT_S5_PKT0_S8_PS3_S9_,comdat
.Lfunc_end135:
	.size	_ZN2at6native12_GLOBAL__N_135GammaBetaBackwardCUDAKernelTemplateIddLj32ELj16ELj128ELb0ELb1ELb1EEEvllPKT_S5_PKT0_S8_PS3_S9_, .Lfunc_end135-_ZN2at6native12_GLOBAL__N_135GammaBetaBackwardCUDAKernelTemplateIddLj32ELj16ELj128ELb0ELb1ELb1EEEvllPKT_S5_PKT0_S8_PS3_S9_
                                        ; -- End function
	.section	.AMDGPU.csdata,"",@progbits
; Kernel info:
; codeLenInByte = 1724
; NumSgprs: 24
; NumVgprs: 54
; ScratchSize: 0
; MemoryBound: 0
; FloatMode: 240
; IeeeMode: 1
; LDSByteSize: 0 bytes/workgroup (compile time only)
; SGPRBlocks: 2
; VGPRBlocks: 6
; NumSGPRsForWavesPerEU: 24
; NumVGPRsForWavesPerEU: 54
; Occupancy: 16
; WaveLimiterHint : 0
; COMPUTE_PGM_RSRC2:SCRATCH_EN: 0
; COMPUTE_PGM_RSRC2:USER_SGPR: 14
; COMPUTE_PGM_RSRC2:TRAP_HANDLER: 0
; COMPUTE_PGM_RSRC2:TGID_X_EN: 1
; COMPUTE_PGM_RSRC2:TGID_Y_EN: 1
; COMPUTE_PGM_RSRC2:TGID_Z_EN: 0
; COMPUTE_PGM_RSRC2:TIDIG_COMP_CNT: 1
	.section	.text._ZN2at6native12_GLOBAL__N_135GammaBetaBackwardCUDAKernelTemplateIddLj32ELj16ELj128ELb0ELb0ELb1EEEvllPKT_S5_PKT0_S8_PS3_S9_,"axG",@progbits,_ZN2at6native12_GLOBAL__N_135GammaBetaBackwardCUDAKernelTemplateIddLj32ELj16ELj128ELb0ELb0ELb1EEEvllPKT_S5_PKT0_S8_PS3_S9_,comdat
	.globl	_ZN2at6native12_GLOBAL__N_135GammaBetaBackwardCUDAKernelTemplateIddLj32ELj16ELj128ELb0ELb0ELb1EEEvllPKT_S5_PKT0_S8_PS3_S9_ ; -- Begin function _ZN2at6native12_GLOBAL__N_135GammaBetaBackwardCUDAKernelTemplateIddLj32ELj16ELj128ELb0ELb0ELb1EEEvllPKT_S5_PKT0_S8_PS3_S9_
	.p2align	8
	.type	_ZN2at6native12_GLOBAL__N_135GammaBetaBackwardCUDAKernelTemplateIddLj32ELj16ELj128ELb0ELb0ELb1EEEvllPKT_S5_PKT0_S8_PS3_S9_,@function
_ZN2at6native12_GLOBAL__N_135GammaBetaBackwardCUDAKernelTemplateIddLj32ELj16ELj128ELb0ELb0ELb1EEEvllPKT_S5_PKT0_S8_PS3_S9_: ; @_ZN2at6native12_GLOBAL__N_135GammaBetaBackwardCUDAKernelTemplateIddLj32ELj16ELj128ELb0ELb0ELb1EEEvllPKT_S5_PKT0_S8_PS3_S9_
; %bb.0:
	s_clause 0x1
	s_load_b256 s[4:11], s[0:1], 0x0
	s_load_b64 s[12:13], s[0:1], 0x28
	s_lshl_b32 s33, s14, 5
	s_mov_b32 s35, 0
	s_or_b32 s34, s33, 31
	s_waitcnt lgkmcnt(0)
	v_cmp_ge_i64_e64 s2, s[34:35], s[6:7]
	s_lshl_b32 s34, s15, 7
	s_delay_alu instid0(SALU_CYCLE_1) | instskip(NEXT) | instid1(VALU_DEP_2)
	v_cmp_lt_i64_e64 s15, s[34:35], s[4:5]
	s_and_b32 vcc_lo, exec_lo, s2
	s_delay_alu instid0(VALU_DEP_1) | instskip(NEXT) | instid1(VALU_DEP_1)
	v_cndmask_b32_e64 v1, 0, 1, s15
	v_cmp_ne_u32_e64 s2, 1, v1
	s_cbranch_vccz .LBB136_48
; %bb.1:
	v_mov_b32_e32 v51, 0
	v_mov_b32_e32 v52, 0
	s_delay_alu instid0(VALU_DEP_3)
	s_and_b32 vcc_lo, exec_lo, s2
	s_cbranch_vccnz .LBB136_49
; %bb.2:
	v_bfe_u32 v55, v0, 10, 10
	s_load_b32 s3, s[0:1], 0x44
	v_and_b32_e32 v57, 0x3ff, v0
	v_mov_b32_e32 v51, 0
	v_mov_b32_e32 v52, 0
	v_dual_mov_b32 v3, 0 :: v_dual_lshlrev_b32 v56, 3, v55
	s_delay_alu instid0(VALU_DEP_4) | instskip(SKIP_2) | instid1(VALU_DEP_2)
	v_add_nc_u32_e32 v2, s33, v57
	s_add_u32 s36, s0, 64
	s_addc_u32 s37, s1, 0
	v_add_co_u32 v8, s2, v56, s34
	s_delay_alu instid0(VALU_DEP_1) | instskip(SKIP_1) | instid1(VALU_DEP_3)
	v_add_co_ci_u32_e64 v9, null, 0, 0, s2
	v_cmp_gt_i64_e64 s2, s[6:7], v[2:3]
	v_add_co_u32 v1, vcc_lo, v8, 7
	s_delay_alu instid0(VALU_DEP_3) | instskip(SKIP_1) | instid1(VALU_DEP_3)
	v_add_co_ci_u32_e32 v4, vcc_lo, 0, v9, vcc_lo
	v_add_co_u32 v10, vcc_lo, v8, 6
	v_mul_lo_u32 v6, s7, v1
	s_delay_alu instid0(VALU_DEP_3)
	v_mul_lo_u32 v7, s6, v4
	v_mad_u64_u32 v[4:5], null, s6, v1, 0
	v_add_co_ci_u32_e32 v1, vcc_lo, 0, v9, vcc_lo
	v_lshlrev_b64 v[49:50], 3, v[2:3]
	s_waitcnt lgkmcnt(0)
	s_lshl_b32 s44, s3, 7
	s_mov_b32 s16, 0
	s_mul_i32 s3, s7, s44
	s_delay_alu instid0(VALU_DEP_3) | instskip(SKIP_3) | instid1(VALU_DEP_4)
	v_add3_u32 v5, v5, v7, v6
	v_mul_lo_u32 v6, s7, v10
	v_mul_lo_u32 v7, s6, v1
	v_mad_u64_u32 v[1:2], null, s6, v10, 0
	v_lshlrev_b64 v[4:5], 3, v[4:5]
	s_mul_hi_u32 s17, s6, s44
	s_mul_i32 s18, s6, s44
	s_add_i32 s19, s17, s3
	s_mov_b64 s[42:43], s[34:35]
	s_lshl_b64 s[38:39], s[18:19], 3
	v_add_co_u32 v58, vcc_lo, s8, v4
	v_add_co_ci_u32_e32 v59, vcc_lo, s9, v5, vcc_lo
	v_add3_u32 v2, v2, v7, v6
	v_add_co_u32 v6, vcc_lo, v8, 5
	v_add_co_u32 v60, s3, s10, v4
	v_add_co_ci_u32_e32 v4, vcc_lo, 0, v9, vcc_lo
	v_add_co_u32 v11, vcc_lo, v8, 4
	v_add_co_ci_u32_e64 v61, s3, s11, v5, s3
	v_mul_lo_u32 v10, s7, v6
	s_delay_alu instid0(VALU_DEP_4)
	v_mul_lo_u32 v12, s6, v4
	v_mad_u64_u32 v[4:5], null, s6, v6, 0
	v_add_co_ci_u32_e32 v7, vcc_lo, 0, v9, vcc_lo
	v_lshlrev_b64 v[1:2], 3, v[1:2]
	v_mul_lo_u32 v13, s7, v11
	s_add_u32 s40, s34, 0x7f
	s_delay_alu instid0(VALU_DEP_3) | instskip(SKIP_1) | instid1(VALU_DEP_4)
	v_mul_lo_u32 v14, s6, v7
	v_mad_u64_u32 v[6:7], null, s6, v11, 0
	v_add_co_u32 v62, vcc_lo, s8, v1
	v_add3_u32 v5, v5, v12, v10
	v_add_co_ci_u32_e32 v63, vcc_lo, s9, v2, vcc_lo
	v_add_co_u32 v64, vcc_lo, s10, v1
	v_add_co_ci_u32_e32 v65, vcc_lo, s11, v2, vcc_lo
	s_delay_alu instid0(VALU_DEP_4) | instskip(SKIP_3) | instid1(VALU_DEP_4)
	v_lshlrev_b64 v[1:2], 3, v[4:5]
	v_add3_u32 v7, v7, v14, v13
	v_add_co_u32 v10, vcc_lo, v8, 3
	v_add_co_ci_u32_e32 v11, vcc_lo, 0, v9, vcc_lo
	v_add_co_u32 v66, vcc_lo, s8, v1
	s_delay_alu instid0(VALU_DEP_4)
	v_lshlrev_b64 v[4:5], 3, v[6:7]
	v_add_co_ci_u32_e32 v67, vcc_lo, s9, v2, vcc_lo
	v_mul_lo_u32 v12, s7, v10
	v_mul_lo_u32 v11, s6, v11
	v_mad_u64_u32 v[6:7], null, s6, v10, 0
	v_add_co_u32 v68, vcc_lo, s10, v1
	v_add_co_ci_u32_e32 v69, vcc_lo, s11, v2, vcc_lo
	v_add_co_u32 v70, vcc_lo, s8, v4
	v_add_co_ci_u32_e32 v71, vcc_lo, s9, v5, vcc_lo
	v_add_co_u32 v10, vcc_lo, v8, 2
	v_add3_u32 v7, v7, v11, v12
	v_add_co_ci_u32_e32 v11, vcc_lo, 0, v9, vcc_lo
	v_add_co_u32 v72, vcc_lo, s10, v4
	v_add_co_ci_u32_e32 v73, vcc_lo, s11, v5, vcc_lo
	v_mul_lo_u32 v12, s7, v10
	s_delay_alu instid0(VALU_DEP_4)
	v_mul_lo_u32 v11, s6, v11
	v_mad_u64_u32 v[4:5], null, s6, v10, 0
	v_lshlrev_b64 v[1:2], 3, v[6:7]
	v_mul_lo_u32 v10, s7, v8
	v_mul_lo_u32 v9, s6, v9
	v_mad_u64_u32 v[6:7], null, s6, v8, 0
	s_addc_u32 s41, 0, 0
	s_delay_alu instid0(VALU_DEP_4)
	v_add_co_u32 v74, vcc_lo, s8, v1
	v_add3_u32 v5, v5, v11, v12
	v_add_co_ci_u32_e32 v75, vcc_lo, s9, v2, vcc_lo
	v_add_co_u32 v76, vcc_lo, s10, v1
	v_add3_u32 v7, v7, v9, v10
	v_add_co_ci_u32_e32 v77, vcc_lo, s11, v2, vcc_lo
	v_lshlrev_b64 v[1:2], 3, v[4:5]
	v_add_co_u32 v4, vcc_lo, v6, s6
	s_delay_alu instid0(VALU_DEP_4) | instskip(NEXT) | instid1(VALU_DEP_3)
	v_add_co_ci_u32_e32 v5, vcc_lo, s7, v7, vcc_lo
	v_add_co_u32 v78, vcc_lo, s8, v1
	s_delay_alu instid0(VALU_DEP_2) | instskip(SKIP_3) | instid1(VALU_DEP_4)
	v_lshlrev_b64 v[4:5], 3, v[4:5]
	v_add_co_ci_u32_e32 v79, vcc_lo, s9, v2, vcc_lo
	v_add_co_u32 v80, vcc_lo, s10, v1
	v_add_co_ci_u32_e32 v81, vcc_lo, s11, v2, vcc_lo
	v_add_co_u32 v82, vcc_lo, s8, v4
	v_lshlrev_b64 v[1:2], 3, v[6:7]
	v_add_co_ci_u32_e32 v83, vcc_lo, s9, v5, vcc_lo
	v_add_co_u32 v84, vcc_lo, s10, v4
	v_add_co_ci_u32_e32 v85, vcc_lo, s11, v5, vcc_lo
	s_delay_alu instid0(VALU_DEP_4)
	v_add_co_u32 v86, vcc_lo, s8, v1
	v_add_co_ci_u32_e32 v87, vcc_lo, s9, v2, vcc_lo
	v_add_co_u32 v88, vcc_lo, s10, v1
	v_add_co_ci_u32_e32 v89, vcc_lo, s11, v2, vcc_lo
	s_branch .LBB136_5
.LBB136_3:                              ;   in Loop: Header=BB136_5 Depth=1
	s_or_b32 exec_lo, exec_lo, s3
	s_waitcnt vmcnt(0)
	v_mul_f64 v[1:2], v[17:18], v[33:34]
	ds_bpermute_b32 v4, v3, v53
	ds_bpermute_b32 v5, v3, v54
	v_mul_f64 v[6:7], v[19:20], v[35:36]
	v_mul_f64 v[8:9], v[21:22], v[37:38]
	s_waitcnt lgkmcnt(0)
	v_fma_f64 v[1:2], v[1:2], v[4:5], v[51:52]
	ds_bpermute_b32 v4, v3, v53 offset:4
	ds_bpermute_b32 v5, v3, v54 offset:4
	s_waitcnt lgkmcnt(0)
	v_fma_f64 v[1:2], v[6:7], v[4:5], v[1:2]
	ds_bpermute_b32 v4, v3, v53 offset:8
	ds_bpermute_b32 v5, v3, v54 offset:8
	v_mul_f64 v[6:7], v[23:24], v[39:40]
	s_waitcnt lgkmcnt(0)
	v_fma_f64 v[1:2], v[8:9], v[4:5], v[1:2]
	ds_bpermute_b32 v4, v3, v53 offset:12
	ds_bpermute_b32 v5, v3, v54 offset:12
	v_mul_f64 v[8:9], v[25:26], v[41:42]
	;; [unrolled: 5-line block ×3, first 2 shown]
	s_waitcnt lgkmcnt(0)
	v_fma_f64 v[1:2], v[8:9], v[4:5], v[1:2]
	ds_bpermute_b32 v4, v3, v53 offset:20
	ds_bpermute_b32 v5, v3, v54 offset:20
	s_waitcnt lgkmcnt(0)
	v_fma_f64 v[1:2], v[6:7], v[4:5], v[1:2]
	v_mul_f64 v[4:5], v[29:30], v[45:46]
	ds_bpermute_b32 v6, v3, v53 offset:24
	ds_bpermute_b32 v7, v3, v54 offset:24
	s_waitcnt lgkmcnt(0)
	v_fma_f64 v[1:2], v[4:5], v[6:7], v[1:2]
	ds_bpermute_b32 v4, v3, v53 offset:28
	ds_bpermute_b32 v5, v3, v54 offset:28
.LBB136_4:                              ;   in Loop: Header=BB136_5 Depth=1
	v_mul_f64 v[6:7], v[47:48], v[31:32]
	v_add_co_u32 v58, vcc_lo, v58, s38
	v_add_co_ci_u32_e32 v59, vcc_lo, s39, v59, vcc_lo
	v_add_co_u32 v60, vcc_lo, v60, s38
	v_add_co_ci_u32_e32 v61, vcc_lo, s39, v61, vcc_lo
	;; [unrolled: 2-line block ×9, first 2 shown]
	v_add_co_u32 v76, vcc_lo, v76, s38
	s_waitcnt lgkmcnt(0)
	v_fma_f64 v[51:52], v[6:7], v[4:5], v[1:2]
	v_add_co_ci_u32_e32 v77, vcc_lo, s39, v77, vcc_lo
	v_add_co_u32 v78, vcc_lo, v78, s38
	v_add_co_ci_u32_e32 v79, vcc_lo, s39, v79, vcc_lo
	v_add_co_u32 v80, vcc_lo, v80, s38
	;; [unrolled: 2-line block ×4, first 2 shown]
	s_add_u32 s42, s42, s44
	v_add_co_ci_u32_e32 v85, vcc_lo, s39, v85, vcc_lo
	s_addc_u32 s43, s43, 0
	v_add_co_u32 v86, vcc_lo, v86, s38
	v_cmp_lt_i64_e64 s3, s[42:43], s[4:5]
	v_add_co_ci_u32_e32 v87, vcc_lo, s39, v87, vcc_lo
	v_add_co_u32 v88, vcc_lo, v88, s38
	v_add_co_ci_u32_e32 v89, vcc_lo, s39, v89, vcc_lo
	s_add_u32 s40, s40, s44
	s_addc_u32 s41, s41, 0
	s_and_b32 vcc_lo, exec_lo, s3
	s_cbranch_vccz .LBB136_49
.LBB136_5:                              ; =>This Inner Loop Header: Depth=1
	v_cmp_ge_i64_e64 s3, s[40:41], s[4:5]
	v_add_co_u32 v90, s17, v56, s40
	s_delay_alu instid0(VALU_DEP_1) | instskip(NEXT) | instid1(VALU_DEP_3)
	v_add_co_ci_u32_e64 v91, null, 0, s41, s17
	s_and_b32 vcc_lo, exec_lo, s3
	s_cbranch_vccz .LBB136_27
; %bb.6:                                ;   in Loop: Header=BB136_5 Depth=1
	s_load_b32 s3, s[36:37], 0xc
	v_mov_b32_e32 v53, 0
	v_mov_b32_e32 v54, 0
	s_waitcnt lgkmcnt(0)
	s_and_b32 s3, s3, 0xffff
	s_delay_alu instid0(SALU_CYCLE_1) | instskip(SKIP_1) | instid1(VALU_DEP_1)
	v_mad_u32_u24 v1, v55, s3, v57
	s_mov_b32 s3, exec_lo
	v_and_b32_e32 v1, 31, v1
	s_delay_alu instid0(VALU_DEP_1)
	v_cmpx_gt_u32_e32 8, v1
	s_cbranch_execz .LBB136_10
; %bb.7:                                ;   in Loop: Header=BB136_5 Depth=1
	v_add_co_u32 v1, vcc_lo, v90, v1
	v_add_co_ci_u32_e32 v2, vcc_lo, 0, v91, vcc_lo
	v_mov_b32_e32 v53, 0
	s_delay_alu instid0(VALU_DEP_3) | instskip(NEXT) | instid1(VALU_DEP_3)
	v_add_co_u32 v1, vcc_lo, 0xffffff81, v1
	v_add_co_ci_u32_e32 v2, vcc_lo, -1, v2, vcc_lo
	v_mov_b32_e32 v54, 0
	s_mov_b32 s17, exec_lo
	s_delay_alu instid0(VALU_DEP_2)
	v_cmpx_gt_i64_e64 s[4:5], v[1:2]
	s_cbranch_execz .LBB136_9
; %bb.8:                                ;   in Loop: Header=BB136_5 Depth=1
	v_lshlrev_b64 v[1:2], 3, v[1:2]
	s_delay_alu instid0(VALU_DEP_1) | instskip(NEXT) | instid1(VALU_DEP_2)
	v_add_co_u32 v1, vcc_lo, s12, v1
	v_add_co_ci_u32_e32 v2, vcc_lo, s13, v2, vcc_lo
	global_load_b64 v[53:54], v[1:2], off
.LBB136_9:                              ;   in Loop: Header=BB136_5 Depth=1
	s_or_b32 exec_lo, exec_lo, s17
.LBB136_10:                             ;   in Loop: Header=BB136_5 Depth=1
	s_delay_alu instid0(SALU_CYCLE_1)
	s_or_b32 exec_lo, exec_lo, s3
	v_add_co_u32 v1, vcc_lo, 0xffffff81, v90
	s_mov_b32 s31, s16
	v_add_co_ci_u32_e32 v2, vcc_lo, -1, v91, vcc_lo
	s_mov_b32 s17, s16
	s_mov_b32 s18, s16
	;; [unrolled: 1-line block ×14, first 2 shown]
	s_delay_alu instid0(SALU_CYCLE_1)
	v_dual_mov_b32 v32, s31 :: v_dual_mov_b32 v31, s30
	v_dual_mov_b32 v30, s29 :: v_dual_mov_b32 v29, s28
	;; [unrolled: 1-line block ×8, first 2 shown]
	v_cmp_gt_i64_e32 vcc_lo, s[4:5], v[1:2]
	v_dual_mov_b32 v48, v32 :: v_dual_mov_b32 v47, v31
	v_dual_mov_b32 v46, v30 :: v_dual_mov_b32 v45, v29
	;; [unrolled: 1-line block ×8, first 2 shown]
	s_and_b32 s17, s2, vcc_lo
	s_delay_alu instid0(SALU_CYCLE_1)
	s_and_saveexec_b32 s3, s17
	s_cbranch_execz .LBB136_12
; %bb.11:                               ;   in Loop: Header=BB136_5 Depth=1
	v_add_co_u32 v1, vcc_lo, v86, v49
	v_add_co_ci_u32_e32 v2, vcc_lo, v87, v50, vcc_lo
	v_add_co_u32 v4, vcc_lo, v88, v49
	v_add_co_ci_u32_e32 v5, vcc_lo, v89, v50, vcc_lo
	global_load_b64 v[1:2], v[1:2], off
	v_mov_b32_e32 v16, v3
	v_mov_b32_e32 v6, v3
	global_load_b64 v[17:18], v[4:5], off
	v_mov_b32_e32 v4, v3
	v_mov_b32_e32 v5, v3
	;; [unrolled: 1-line block ×11, first 2 shown]
	s_waitcnt vmcnt(1)
	v_dual_mov_b32 v19, v3 :: v_dual_mov_b32 v48, v16
	v_dual_mov_b32 v20, v3 :: v_dual_mov_b32 v45, v13
	;; [unrolled: 1-line block ×7, first 2 shown]
	v_mov_b32_e32 v26, v3
	v_dual_mov_b32 v27, v3 :: v_dual_mov_b32 v40, v8
	v_mov_b32_e32 v28, v3
	v_dual_mov_b32 v29, v3 :: v_dual_mov_b32 v38, v6
	;; [unrolled: 2-line block ×3, first 2 shown]
	v_mov_b32_e32 v47, v15
	v_mov_b32_e32 v43, v11
	;; [unrolled: 1-line block ×5, first 2 shown]
	v_dual_mov_b32 v34, v2 :: v_dual_mov_b32 v33, v1
.LBB136_12:                             ;   in Loop: Header=BB136_5 Depth=1
	s_or_b32 exec_lo, exec_lo, s3
	v_add_co_u32 v1, vcc_lo, 0xffffff82, v90
	v_add_co_ci_u32_e32 v2, vcc_lo, -1, v91, vcc_lo
	s_delay_alu instid0(VALU_DEP_1) | instskip(SKIP_1) | instid1(SALU_CYCLE_1)
	v_cmp_gt_i64_e32 vcc_lo, s[4:5], v[1:2]
	s_and_b32 s17, s2, vcc_lo
	s_and_saveexec_b32 s3, s17
	s_cbranch_execz .LBB136_14
; %bb.13:                               ;   in Loop: Header=BB136_5 Depth=1
	v_add_co_u32 v1, vcc_lo, v82, v49
	v_add_co_ci_u32_e32 v2, vcc_lo, v83, v50, vcc_lo
	v_add_co_u32 v4, vcc_lo, v84, v49
	v_add_co_ci_u32_e32 v5, vcc_lo, v85, v50, vcc_lo
	global_load_b64 v[35:36], v[1:2], off
	global_load_b64 v[19:20], v[4:5], off
.LBB136_14:                             ;   in Loop: Header=BB136_5 Depth=1
	s_or_b32 exec_lo, exec_lo, s3
	v_add_co_u32 v1, vcc_lo, 0xffffff83, v90
	v_add_co_ci_u32_e32 v2, vcc_lo, -1, v91, vcc_lo
	s_delay_alu instid0(VALU_DEP_1) | instskip(SKIP_1) | instid1(SALU_CYCLE_1)
	v_cmp_gt_i64_e32 vcc_lo, s[4:5], v[1:2]
	s_and_b32 s17, s2, vcc_lo
	s_and_saveexec_b32 s3, s17
	s_cbranch_execz .LBB136_16
; %bb.15:                               ;   in Loop: Header=BB136_5 Depth=1
	v_add_co_u32 v1, vcc_lo, v78, v49
	v_add_co_ci_u32_e32 v2, vcc_lo, v79, v50, vcc_lo
	v_add_co_u32 v4, vcc_lo, v80, v49
	v_add_co_ci_u32_e32 v5, vcc_lo, v81, v50, vcc_lo
	global_load_b64 v[37:38], v[1:2], off
	global_load_b64 v[21:22], v[4:5], off
.LBB136_16:                             ;   in Loop: Header=BB136_5 Depth=1
	;; [unrolled: 16-line block ×7, first 2 shown]
	s_or_b32 exec_lo, exec_lo, s3
	s_waitcnt vmcnt(0)
	v_mul_f64 v[1:2], v[17:18], v[33:34]
	ds_bpermute_b32 v4, v3, v53
	ds_bpermute_b32 v5, v3, v54
	v_mul_f64 v[6:7], v[19:20], v[35:36]
	v_mul_f64 v[8:9], v[21:22], v[37:38]
	s_waitcnt lgkmcnt(0)
	v_fma_f64 v[1:2], v[1:2], v[4:5], v[51:52]
	ds_bpermute_b32 v4, v3, v53 offset:4
	ds_bpermute_b32 v5, v3, v54 offset:4
	s_waitcnt lgkmcnt(0)
	v_fma_f64 v[1:2], v[6:7], v[4:5], v[1:2]
	ds_bpermute_b32 v4, v3, v53 offset:8
	ds_bpermute_b32 v5, v3, v54 offset:8
	v_mul_f64 v[6:7], v[23:24], v[39:40]
	s_waitcnt lgkmcnt(0)
	v_fma_f64 v[1:2], v[8:9], v[4:5], v[1:2]
	ds_bpermute_b32 v4, v3, v53 offset:12
	ds_bpermute_b32 v5, v3, v54 offset:12
	v_mul_f64 v[8:9], v[25:26], v[41:42]
	;; [unrolled: 5-line block ×3, first 2 shown]
	s_waitcnt lgkmcnt(0)
	v_fma_f64 v[1:2], v[8:9], v[4:5], v[1:2]
	ds_bpermute_b32 v4, v3, v53 offset:20
	ds_bpermute_b32 v5, v3, v54 offset:20
	s_waitcnt lgkmcnt(0)
	v_fma_f64 v[1:2], v[6:7], v[4:5], v[1:2]
	v_mul_f64 v[4:5], v[29:30], v[45:46]
	ds_bpermute_b32 v6, v3, v53 offset:24
	ds_bpermute_b32 v7, v3, v54 offset:24
	s_waitcnt lgkmcnt(0)
	v_fma_f64 v[1:2], v[4:5], v[6:7], v[1:2]
	ds_bpermute_b32 v4, v3, v53 offset:28
	ds_bpermute_b32 v5, v3, v54 offset:28
	s_branch .LBB136_4
.LBB136_27:                             ;   in Loop: Header=BB136_5 Depth=1
                                        ; implicit-def: $vgpr1_vgpr2
                                        ; implicit-def: $vgpr17_vgpr18_vgpr19_vgpr20_vgpr21_vgpr22_vgpr23_vgpr24_vgpr25_vgpr26_vgpr27_vgpr28_vgpr29_vgpr30_vgpr31_vgpr32
                                        ; implicit-def: $vgpr33_vgpr34_vgpr35_vgpr36_vgpr37_vgpr38_vgpr39_vgpr40_vgpr41_vgpr42_vgpr43_vgpr44_vgpr45_vgpr46_vgpr47_vgpr48
                                        ; implicit-def: $vgpr4
	s_cbranch_execz .LBB136_4
; %bb.28:                               ;   in Loop: Header=BB136_5 Depth=1
	s_load_b32 s3, s[36:37], 0x0
	v_mov_b32_e32 v53, 0
	v_mov_b32_e32 v54, 0
	s_waitcnt lgkmcnt(0)
	s_cmp_lt_u32 s14, s3
	s_cselect_b32 s3, 12, 18
	s_delay_alu instid0(SALU_CYCLE_1)
	s_add_u32 s18, s36, s3
	s_addc_u32 s19, s37, 0
	s_mov_b32 s3, exec_lo
	global_load_u16 v1, v3, s[18:19]
	s_waitcnt vmcnt(0)
	v_mad_u32_u24 v1, v55, v1, v57
	s_delay_alu instid0(VALU_DEP_1) | instskip(NEXT) | instid1(VALU_DEP_1)
	v_and_b32_e32 v1, 31, v1
	v_cmpx_gt_u32_e32 8, v1
	s_cbranch_execz .LBB136_32
; %bb.29:                               ;   in Loop: Header=BB136_5 Depth=1
	v_add_co_u32 v1, vcc_lo, v90, v1
	v_add_co_ci_u32_e32 v2, vcc_lo, 0, v91, vcc_lo
	v_mov_b32_e32 v53, 0
	s_delay_alu instid0(VALU_DEP_3) | instskip(NEXT) | instid1(VALU_DEP_3)
	v_add_co_u32 v1, vcc_lo, 0xffffff81, v1
	v_add_co_ci_u32_e32 v2, vcc_lo, -1, v2, vcc_lo
	v_mov_b32_e32 v54, 0
	s_mov_b32 s17, exec_lo
	s_delay_alu instid0(VALU_DEP_2)
	v_cmpx_gt_i64_e64 s[4:5], v[1:2]
	s_cbranch_execz .LBB136_31
; %bb.30:                               ;   in Loop: Header=BB136_5 Depth=1
	v_lshlrev_b64 v[1:2], 3, v[1:2]
	s_delay_alu instid0(VALU_DEP_1) | instskip(NEXT) | instid1(VALU_DEP_2)
	v_add_co_u32 v1, vcc_lo, s12, v1
	v_add_co_ci_u32_e32 v2, vcc_lo, s13, v2, vcc_lo
	global_load_b64 v[53:54], v[1:2], off
.LBB136_31:                             ;   in Loop: Header=BB136_5 Depth=1
	s_or_b32 exec_lo, exec_lo, s17
.LBB136_32:                             ;   in Loop: Header=BB136_5 Depth=1
	s_delay_alu instid0(SALU_CYCLE_1)
	s_or_b32 exec_lo, exec_lo, s3
	s_mov_b32 s31, s16
	s_mov_b32 s17, s16
	;; [unrolled: 1-line block ×15, first 2 shown]
	s_delay_alu instid0(SALU_CYCLE_1)
	v_dual_mov_b32 v32, s31 :: v_dual_mov_b32 v31, s30
	v_dual_mov_b32 v30, s29 :: v_dual_mov_b32 v29, s28
	v_dual_mov_b32 v28, s27 :: v_dual_mov_b32 v27, s26
	v_dual_mov_b32 v26, s25 :: v_dual_mov_b32 v25, s24
	v_dual_mov_b32 v24, s23 :: v_dual_mov_b32 v23, s22
	v_dual_mov_b32 v22, s21 :: v_dual_mov_b32 v21, s20
	v_dual_mov_b32 v20, s19 :: v_dual_mov_b32 v19, s18
	v_dual_mov_b32 v18, s17 :: v_dual_mov_b32 v17, s16
	v_dual_mov_b32 v48, v32 :: v_dual_mov_b32 v47, v31
	v_dual_mov_b32 v46, v30 :: v_dual_mov_b32 v45, v29
	v_dual_mov_b32 v44, v28 :: v_dual_mov_b32 v43, v27
	v_dual_mov_b32 v42, v26 :: v_dual_mov_b32 v41, v25
	v_dual_mov_b32 v40, v24 :: v_dual_mov_b32 v39, v23
	v_dual_mov_b32 v38, v22 :: v_dual_mov_b32 v37, v21
	v_dual_mov_b32 v36, v20 :: v_dual_mov_b32 v35, v19
	v_dual_mov_b32 v34, v18 :: v_dual_mov_b32 v33, v17
	s_and_saveexec_b32 s3, s2
	s_cbranch_execnz .LBB136_40
; %bb.33:                               ;   in Loop: Header=BB136_5 Depth=1
	s_or_b32 exec_lo, exec_lo, s3
	s_and_saveexec_b32 s3, s2
	s_cbranch_execnz .LBB136_41
.LBB136_34:                             ;   in Loop: Header=BB136_5 Depth=1
	s_or_b32 exec_lo, exec_lo, s3
	s_and_saveexec_b32 s3, s2
	s_cbranch_execnz .LBB136_42
.LBB136_35:                             ;   in Loop: Header=BB136_5 Depth=1
	s_or_b32 exec_lo, exec_lo, s3
	s_and_saveexec_b32 s3, s2
	s_cbranch_execnz .LBB136_43
.LBB136_36:                             ;   in Loop: Header=BB136_5 Depth=1
	s_or_b32 exec_lo, exec_lo, s3
	s_and_saveexec_b32 s3, s2
	s_cbranch_execnz .LBB136_44
.LBB136_37:                             ;   in Loop: Header=BB136_5 Depth=1
	s_or_b32 exec_lo, exec_lo, s3
	s_and_saveexec_b32 s3, s2
	s_cbranch_execnz .LBB136_45
.LBB136_38:                             ;   in Loop: Header=BB136_5 Depth=1
	s_or_b32 exec_lo, exec_lo, s3
	s_and_saveexec_b32 s3, s2
	s_cbranch_execnz .LBB136_46
.LBB136_39:                             ;   in Loop: Header=BB136_5 Depth=1
	s_or_b32 exec_lo, exec_lo, s3
	s_and_saveexec_b32 s3, s2
	s_cbranch_execz .LBB136_3
	s_branch .LBB136_47
.LBB136_40:                             ;   in Loop: Header=BB136_5 Depth=1
	v_add_co_u32 v1, vcc_lo, v86, v49
	v_add_co_ci_u32_e32 v2, vcc_lo, v87, v50, vcc_lo
	v_add_co_u32 v4, vcc_lo, v88, v49
	v_add_co_ci_u32_e32 v5, vcc_lo, v89, v50, vcc_lo
	global_load_b64 v[1:2], v[1:2], off
	v_mov_b32_e32 v16, v3
	v_mov_b32_e32 v6, v3
	global_load_b64 v[17:18], v[4:5], off
	v_mov_b32_e32 v4, v3
	v_mov_b32_e32 v5, v3
	;; [unrolled: 1-line block ×11, first 2 shown]
	s_waitcnt vmcnt(1)
	v_dual_mov_b32 v19, v3 :: v_dual_mov_b32 v48, v16
	v_dual_mov_b32 v20, v3 :: v_dual_mov_b32 v45, v13
	;; [unrolled: 1-line block ×7, first 2 shown]
	v_mov_b32_e32 v26, v3
	v_dual_mov_b32 v27, v3 :: v_dual_mov_b32 v40, v8
	v_mov_b32_e32 v28, v3
	v_dual_mov_b32 v29, v3 :: v_dual_mov_b32 v38, v6
	v_mov_b32_e32 v30, v3
	v_dual_mov_b32 v31, v3 :: v_dual_mov_b32 v36, v4
	v_mov_b32_e32 v47, v15
	v_mov_b32_e32 v43, v11
	;; [unrolled: 1-line block ×5, first 2 shown]
	v_dual_mov_b32 v34, v2 :: v_dual_mov_b32 v33, v1
	s_or_b32 exec_lo, exec_lo, s3
	s_and_saveexec_b32 s3, s2
	s_cbranch_execz .LBB136_34
.LBB136_41:                             ;   in Loop: Header=BB136_5 Depth=1
	v_add_co_u32 v1, vcc_lo, v82, v49
	v_add_co_ci_u32_e32 v2, vcc_lo, v83, v50, vcc_lo
	v_add_co_u32 v4, vcc_lo, v84, v49
	v_add_co_ci_u32_e32 v5, vcc_lo, v85, v50, vcc_lo
	global_load_b64 v[35:36], v[1:2], off
	global_load_b64 v[19:20], v[4:5], off
	s_or_b32 exec_lo, exec_lo, s3
	s_and_saveexec_b32 s3, s2
	s_cbranch_execz .LBB136_35
.LBB136_42:                             ;   in Loop: Header=BB136_5 Depth=1
	v_add_co_u32 v1, vcc_lo, v78, v49
	v_add_co_ci_u32_e32 v2, vcc_lo, v79, v50, vcc_lo
	v_add_co_u32 v4, vcc_lo, v80, v49
	v_add_co_ci_u32_e32 v5, vcc_lo, v81, v50, vcc_lo
	global_load_b64 v[37:38], v[1:2], off
	global_load_b64 v[21:22], v[4:5], off
	s_or_b32 exec_lo, exec_lo, s3
	s_and_saveexec_b32 s3, s2
	s_cbranch_execz .LBB136_36
.LBB136_43:                             ;   in Loop: Header=BB136_5 Depth=1
	v_add_co_u32 v1, vcc_lo, v74, v49
	v_add_co_ci_u32_e32 v2, vcc_lo, v75, v50, vcc_lo
	v_add_co_u32 v4, vcc_lo, v76, v49
	v_add_co_ci_u32_e32 v5, vcc_lo, v77, v50, vcc_lo
	global_load_b64 v[39:40], v[1:2], off
	global_load_b64 v[23:24], v[4:5], off
	s_or_b32 exec_lo, exec_lo, s3
	s_and_saveexec_b32 s3, s2
	s_cbranch_execz .LBB136_37
.LBB136_44:                             ;   in Loop: Header=BB136_5 Depth=1
	v_add_co_u32 v1, vcc_lo, v70, v49
	v_add_co_ci_u32_e32 v2, vcc_lo, v71, v50, vcc_lo
	v_add_co_u32 v4, vcc_lo, v72, v49
	v_add_co_ci_u32_e32 v5, vcc_lo, v73, v50, vcc_lo
	global_load_b64 v[41:42], v[1:2], off
	global_load_b64 v[25:26], v[4:5], off
	s_or_b32 exec_lo, exec_lo, s3
	s_and_saveexec_b32 s3, s2
	s_cbranch_execz .LBB136_38
.LBB136_45:                             ;   in Loop: Header=BB136_5 Depth=1
	v_add_co_u32 v1, vcc_lo, v66, v49
	v_add_co_ci_u32_e32 v2, vcc_lo, v67, v50, vcc_lo
	v_add_co_u32 v4, vcc_lo, v68, v49
	v_add_co_ci_u32_e32 v5, vcc_lo, v69, v50, vcc_lo
	global_load_b64 v[43:44], v[1:2], off
	global_load_b64 v[27:28], v[4:5], off
	s_or_b32 exec_lo, exec_lo, s3
	s_and_saveexec_b32 s3, s2
	s_cbranch_execz .LBB136_39
.LBB136_46:                             ;   in Loop: Header=BB136_5 Depth=1
	v_add_co_u32 v1, vcc_lo, v62, v49
	v_add_co_ci_u32_e32 v2, vcc_lo, v63, v50, vcc_lo
	v_add_co_u32 v4, vcc_lo, v64, v49
	v_add_co_ci_u32_e32 v5, vcc_lo, v65, v50, vcc_lo
	global_load_b64 v[45:46], v[1:2], off
	global_load_b64 v[29:30], v[4:5], off
	s_or_b32 exec_lo, exec_lo, s3
	s_and_saveexec_b32 s3, s2
	s_cbranch_execz .LBB136_3
.LBB136_47:                             ;   in Loop: Header=BB136_5 Depth=1
	v_add_co_u32 v1, vcc_lo, v58, v49
	v_add_co_ci_u32_e32 v2, vcc_lo, v59, v50, vcc_lo
	v_add_co_u32 v4, vcc_lo, v60, v49
	v_add_co_ci_u32_e32 v5, vcc_lo, v61, v50, vcc_lo
	global_load_b64 v[47:48], v[1:2], off
	global_load_b64 v[31:32], v[4:5], off
	s_branch .LBB136_3
.LBB136_48:
                                        ; implicit-def: $vgpr51_vgpr52
	s_branch .LBB136_50
.LBB136_49:
	s_cbranch_execnz .LBB136_82
.LBB136_50:
	v_mov_b32_e32 v51, 0
	v_mov_b32_e32 v52, 0
	s_and_not1_b32 vcc_lo, exec_lo, s15
	s_cbranch_vccnz .LBB136_82
; %bb.51:
	s_load_b32 s2, s[0:1], 0x44
	v_bfe_u32 v84, v0, 10, 10
	v_and_b32_e32 v83, 0x3ff, v0
	s_add_u32 s36, s0, 64
	s_addc_u32 s37, s1, 0
	v_mov_b32_e32 v81, 0
	v_dual_mov_b32 v82, 0 :: v_dual_lshlrev_b32 v1, 6, v84
	v_dual_mov_b32 v3, 0 :: v_dual_add_nc_u32 v2, s33, v83
	v_lshlrev_b32_e32 v85, 3, v84
	s_delay_alu instid0(VALU_DEP_2)
	v_lshlrev_b64 v[49:50], 3, v[2:3]
	s_waitcnt lgkmcnt(0)
	s_lshl_b32 s15, s2, 7
	s_add_u32 s38, s34, 0x7f
	s_addc_u32 s39, 0, 0
	s_lshl_b64 s[2:3], s[34:35], 3
	s_mul_i32 s16, s7, s15
	v_add_co_u32 v1, s2, v1, s2
	s_delay_alu instid0(VALU_DEP_1) | instskip(SKIP_1) | instid1(VALU_DEP_3)
	v_add_co_ci_u32_e64 v2, null, 0, s3, s2
	v_add_co_u32 v24, s3, v85, s34
	v_add_co_u32 v6, vcc_lo, v1, 8
	s_delay_alu instid0(VALU_DEP_3) | instskip(SKIP_3) | instid1(VALU_DEP_4)
	v_add_co_ci_u32_e32 v4, vcc_lo, 0, v2, vcc_lo
	v_add_co_u32 v7, vcc_lo, v1, 16
	v_add_co_ci_u32_e32 v5, vcc_lo, 0, v2, vcc_lo
	v_add_co_u32 v10, vcc_lo, v1, 24
	v_mul_lo_u32 v8, s6, v4
	v_add_co_ci_u32_e32 v4, vcc_lo, 0, v2, vcc_lo
	v_add_co_u32 v13, vcc_lo, v1, 32
	v_mul_lo_u32 v11, s6, v5
	;; [unrolled: 3-line block ×4, first 2 shown]
	v_add_co_ci_u32_e32 v5, vcc_lo, 0, v2, vcc_lo
	v_add_co_ci_u32_e64 v25, null, 0, 0, s3
	v_add_co_u32 v26, vcc_lo, v1, 56
	v_mul_lo_u32 v20, s6, v4
	s_delay_alu instid0(VALU_DEP_4) | instskip(SKIP_4) | instid1(VALU_DEP_4)
	v_mul_lo_u32 v22, s6, v5
	v_add_co_ci_u32_e32 v4, vcc_lo, 0, v2, vcc_lo
	v_mul_lo_u32 v5, s7, v24
	v_mul_lo_u32 v27, s6, v25
	v_mad_u64_u32 v[1:2], null, s6, v24, 0
	v_mul_lo_u32 v28, s6, v4
	v_mad_u64_u32 v[53:54], null, s6, v6, s[8:9]
	;; [unrolled: 2-line block ×3, first 2 shown]
	v_add3_u32 v2, v2, v27, v5
	v_mad_u64_u32 v[55:56], null, s6, v7, s[8:9]
	v_mul_lo_u32 v12, s7, v7
	v_mad_u64_u32 v[69:70], null, s6, v7, s[10:11]
	s_delay_alu instid0(VALU_DEP_4)
	v_lshlrev_b64 v[4:5], 3, v[1:2]
	v_add3_u32 v54, v9, v54, v8
	v_add3_u32 v68, v9, v68, v8
	v_mad_u64_u32 v[57:58], null, s6, v10, s[8:9]
	v_mul_lo_u32 v15, s7, v10
	v_add_co_u32 v86, vcc_lo, s8, v4
	v_add_co_ci_u32_e32 v87, vcc_lo, s9, v5, vcc_lo
	v_add_co_u32 v8, vcc_lo, v24, 7
	v_add_co_ci_u32_e32 v6, vcc_lo, 0, v25, vcc_lo
	v_mad_u64_u32 v[71:72], null, s6, v10, s[10:11]
	v_add3_u32 v56, v12, v56, v11
	v_add3_u32 v70, v12, v70, v11
	v_add_co_u32 v12, vcc_lo, v24, 6
	v_mul_lo_u32 v10, s7, v8
	v_mul_lo_u32 v11, s6, v6
	v_mad_u64_u32 v[6:7], null, s6, v8, 0
	v_add_co_ci_u32_e32 v9, vcc_lo, 0, v25, vcc_lo
	v_mad_u64_u32 v[59:60], null, s6, v13, s[8:9]
	v_mul_lo_u32 v18, s7, v13
	v_add3_u32 v58, v15, v58, v14
	v_mad_u64_u32 v[73:74], null, s6, v13, s[10:11]
	v_add3_u32 v72, v15, v72, v14
	v_mul_lo_u32 v13, s7, v12
	v_mul_lo_u32 v14, s6, v9
	v_mad_u64_u32 v[8:9], null, s6, v12, 0
	v_add3_u32 v7, v7, v11, v10
	v_add_co_u32 v88, vcc_lo, s10, v4
	v_add_co_ci_u32_e32 v89, vcc_lo, s11, v5, vcc_lo
	s_delay_alu instid0(VALU_DEP_3) | instskip(SKIP_3) | instid1(VALU_DEP_4)
	v_lshlrev_b64 v[4:5], 3, v[6:7]
	v_add3_u32 v9, v9, v14, v13
	v_add_co_u32 v10, vcc_lo, v24, 5
	v_add_co_ci_u32_e32 v11, vcc_lo, 0, v25, vcc_lo
	v_add_co_u32 v90, vcc_lo, s8, v4
	s_delay_alu instid0(VALU_DEP_4)
	v_lshlrev_b64 v[6:7], 3, v[8:9]
	v_add_co_ci_u32_e32 v91, vcc_lo, s9, v5, vcc_lo
	v_mul_lo_u32 v12, s7, v10
	v_mul_lo_u32 v11, s6, v11
	v_mad_u64_u32 v[8:9], null, s6, v10, 0
	v_add_co_u32 v92, vcc_lo, s10, v4
	v_add_co_ci_u32_e32 v93, vcc_lo, s11, v5, vcc_lo
	v_add_co_u32 v94, vcc_lo, s8, v6
	v_add_co_ci_u32_e32 v95, vcc_lo, s9, v7, vcc_lo
	s_mul_hi_u32 s2, s6, s15
	v_add_co_u32 v10, vcc_lo, v24, 4
	v_add3_u32 v9, v9, v11, v12
	s_add_i32 s3, s2, s16
	v_add_co_u32 v96, s2, s10, v6
	v_add_co_ci_u32_e32 v6, vcc_lo, 0, v25, vcc_lo
	v_add_co_u32 v12, vcc_lo, v24, 3
	v_lshlrev_b64 v[4:5], 3, v[8:9]
	v_add_co_ci_u32_e32 v8, vcc_lo, 0, v25, vcc_lo
	v_add_co_ci_u32_e64 v97, s2, s11, v7, s2
	v_mul_lo_u32 v11, s7, v10
	v_mul_lo_u32 v13, s6, v6
	v_mad_u64_u32 v[6:7], null, s6, v10, 0
	v_mul_lo_u32 v10, s7, v12
	v_mul_lo_u32 v14, s6, v8
	v_mad_u64_u32 v[8:9], null, s6, v12, 0
	v_add_co_u32 v98, vcc_lo, s8, v4
	v_add_co_ci_u32_e32 v99, vcc_lo, s9, v5, vcc_lo
	v_add3_u32 v7, v7, v13, v11
	v_add_co_u32 v100, vcc_lo, s10, v4
	v_add_co_ci_u32_e32 v101, vcc_lo, s11, v5, vcc_lo
	v_add3_u32 v9, v9, v14, v10
	v_add_co_u32 v10, vcc_lo, v24, 2
	v_lshlrev_b64 v[4:5], 3, v[6:7]
	v_add_co_ci_u32_e32 v11, vcc_lo, 0, v25, vcc_lo
	s_delay_alu instid0(VALU_DEP_4) | instskip(NEXT) | instid1(VALU_DEP_4)
	v_lshlrev_b64 v[6:7], 3, v[8:9]
	v_mul_lo_u32 v12, s7, v10
	v_mad_u64_u32 v[8:9], null, s6, v10, 0
	v_add_co_u32 v102, vcc_lo, s8, v4
	v_mul_lo_u32 v11, s6, v11
	v_add_co_ci_u32_e32 v103, vcc_lo, s9, v5, vcc_lo
	v_add_co_u32 v104, vcc_lo, s10, v4
	v_add_co_ci_u32_e32 v105, vcc_lo, s11, v5, vcc_lo
	v_add_co_u32 v106, vcc_lo, s8, v6
	v_add_co_ci_u32_e32 v107, vcc_lo, s9, v7, vcc_lo
	v_add3_u32 v9, v9, v11, v12
	v_add_co_u32 v108, vcc_lo, s10, v6
	v_add_co_ci_u32_e32 v109, vcc_lo, s11, v7, vcc_lo
	v_add_co_u32 v1, vcc_lo, v1, s6
	s_delay_alu instid0(VALU_DEP_4) | instskip(SKIP_3) | instid1(VALU_DEP_4)
	v_lshlrev_b64 v[4:5], 3, v[8:9]
	v_add_co_ci_u32_e32 v2, vcc_lo, s7, v2, vcc_lo
	v_mad_u64_u32 v[61:62], null, s6, v17, s[8:9]
	v_mul_lo_u32 v21, s7, v17
	v_add_co_u32 v110, vcc_lo, s8, v4
	s_delay_alu instid0(VALU_DEP_4)
	v_lshlrev_b64 v[1:2], 3, v[1:2]
	v_add_co_ci_u32_e32 v111, vcc_lo, s9, v5, vcc_lo
	v_mad_u64_u32 v[63:64], null, s6, v19, s[8:9]
	v_mul_lo_u32 v23, s7, v19
	v_mad_u64_u32 v[65:66], null, s6, v26, s[8:9]
	v_mul_lo_u32 v29, s7, v26
	v_mad_u64_u32 v[75:76], null, s6, v17, s[10:11]
	v_mad_u64_u32 v[77:78], null, s6, v19, s[10:11]
	;; [unrolled: 1-line block ×3, first 2 shown]
	v_add_co_u32 v112, vcc_lo, s10, v4
	v_add_co_ci_u32_e32 v113, vcc_lo, s11, v5, vcc_lo
	v_add_co_u32 v114, vcc_lo, s8, v1
	v_add_co_ci_u32_e32 v115, vcc_lo, s9, v2, vcc_lo
	v_add_co_u32 v116, vcc_lo, s10, v1
	v_add3_u32 v60, v18, v60, v16
	v_add3_u32 v62, v21, v62, v20
	;; [unrolled: 1-line block ×8, first 2 shown]
	v_add_co_ci_u32_e32 v117, vcc_lo, s11, v2, vcc_lo
	s_mul_i32 s2, s6, s15
	s_mov_b32 s16, 0
	s_lshl_b64 s[2:3], s[2:3], 3
.LBB136_52:                             ; =>This Inner Loop Header: Depth=1
	v_cmp_ge_i64_e64 s8, s[38:39], s[4:5]
	v_add_co_u32 v118, s9, v85, s38
	s_delay_alu instid0(VALU_DEP_1) | instskip(NEXT) | instid1(VALU_DEP_3)
	v_add_co_ci_u32_e64 v119, null, 0, s39, s9
	s_and_b32 vcc_lo, exec_lo, s8
	s_cbranch_vccz .LBB136_74
; %bb.53:                               ;   in Loop: Header=BB136_52 Depth=1
	s_load_b32 s8, s[36:37], 0xc
	v_mov_b32_e32 v51, 0
	v_mov_b32_e32 v52, 0
	s_waitcnt lgkmcnt(0)
	s_and_b32 s8, s8, 0xffff
	s_delay_alu instid0(SALU_CYCLE_1) | instskip(SKIP_1) | instid1(VALU_DEP_1)
	v_mad_u32_u24 v1, v84, s8, v83
	s_mov_b32 s8, exec_lo
	v_and_b32_e32 v1, 31, v1
	s_delay_alu instid0(VALU_DEP_1)
	v_cmpx_gt_u32_e32 8, v1
	s_cbranch_execz .LBB136_57
; %bb.54:                               ;   in Loop: Header=BB136_52 Depth=1
	v_add_co_u32 v1, vcc_lo, v118, v1
	v_add_co_ci_u32_e32 v2, vcc_lo, 0, v119, vcc_lo
	v_mov_b32_e32 v51, 0
	s_delay_alu instid0(VALU_DEP_3) | instskip(NEXT) | instid1(VALU_DEP_3)
	v_add_co_u32 v1, vcc_lo, 0xffffff81, v1
	v_add_co_ci_u32_e32 v2, vcc_lo, -1, v2, vcc_lo
	v_mov_b32_e32 v52, 0
	s_mov_b32 s9, exec_lo
	s_delay_alu instid0(VALU_DEP_2)
	v_cmpx_gt_i64_e64 s[4:5], v[1:2]
	s_cbranch_execz .LBB136_56
; %bb.55:                               ;   in Loop: Header=BB136_52 Depth=1
	v_lshlrev_b64 v[1:2], 3, v[1:2]
	s_delay_alu instid0(VALU_DEP_1) | instskip(NEXT) | instid1(VALU_DEP_2)
	v_add_co_u32 v1, vcc_lo, s12, v1
	v_add_co_ci_u32_e32 v2, vcc_lo, s13, v2, vcc_lo
	global_load_b64 v[51:52], v[1:2], off
.LBB136_56:                             ;   in Loop: Header=BB136_52 Depth=1
	s_or_b32 exec_lo, exec_lo, s9
.LBB136_57:                             ;   in Loop: Header=BB136_52 Depth=1
	s_delay_alu instid0(SALU_CYCLE_1)
	s_or_b32 exec_lo, exec_lo, s8
	s_mov_b32 s31, s16
	s_mov_b32 s17, s16
	;; [unrolled: 1-line block ×15, first 2 shown]
	s_delay_alu instid0(SALU_CYCLE_1)
	v_dual_mov_b32 v32, s31 :: v_dual_mov_b32 v31, s30
	v_dual_mov_b32 v30, s29 :: v_dual_mov_b32 v29, s28
	;; [unrolled: 1-line block ×8, first 2 shown]
	v_add_co_u32 v1, vcc_lo, 0xffffff81, v118
	v_dual_mov_b32 v48, v32 :: v_dual_mov_b32 v47, v31
	v_add_co_ci_u32_e32 v2, vcc_lo, -1, v119, vcc_lo
	v_dual_mov_b32 v46, v30 :: v_dual_mov_b32 v45, v29
	v_dual_mov_b32 v44, v28 :: v_dual_mov_b32 v43, v27
	;; [unrolled: 1-line block ×7, first 2 shown]
	s_mov_b32 s8, exec_lo
	v_cmpx_gt_i64_e64 s[4:5], v[1:2]
	s_cbranch_execz .LBB136_59
; %bb.58:                               ;   in Loop: Header=BB136_52 Depth=1
	v_add_co_u32 v1, vcc_lo, v86, v49
	v_add_co_ci_u32_e32 v2, vcc_lo, v87, v50, vcc_lo
	v_add_co_u32 v4, vcc_lo, v88, v49
	v_add_co_ci_u32_e32 v5, vcc_lo, v89, v50, vcc_lo
	global_load_b64 v[1:2], v[1:2], off
	v_mov_b32_e32 v16, v3
	v_mov_b32_e32 v6, v3
	global_load_b64 v[17:18], v[4:5], off
	v_mov_b32_e32 v4, v3
	v_mov_b32_e32 v5, v3
	;; [unrolled: 1-line block ×11, first 2 shown]
	s_waitcnt vmcnt(1)
	v_dual_mov_b32 v19, v3 :: v_dual_mov_b32 v48, v16
	v_dual_mov_b32 v20, v3 :: v_dual_mov_b32 v45, v13
	;; [unrolled: 1-line block ×7, first 2 shown]
	v_mov_b32_e32 v26, v3
	v_dual_mov_b32 v27, v3 :: v_dual_mov_b32 v40, v8
	v_mov_b32_e32 v28, v3
	v_dual_mov_b32 v29, v3 :: v_dual_mov_b32 v38, v6
	;; [unrolled: 2-line block ×3, first 2 shown]
	v_mov_b32_e32 v47, v15
	v_mov_b32_e32 v43, v11
	;; [unrolled: 1-line block ×5, first 2 shown]
	v_dual_mov_b32 v34, v2 :: v_dual_mov_b32 v33, v1
.LBB136_59:                             ;   in Loop: Header=BB136_52 Depth=1
	s_or_b32 exec_lo, exec_lo, s8
	v_add_co_u32 v1, vcc_lo, 0xffffff82, v118
	v_add_co_ci_u32_e32 v2, vcc_lo, -1, v119, vcc_lo
	s_mov_b32 s8, exec_lo
	s_delay_alu instid0(VALU_DEP_1)
	v_cmpx_gt_i64_e64 s[4:5], v[1:2]
	s_cbranch_execz .LBB136_61
; %bb.60:                               ;   in Loop: Header=BB136_52 Depth=1
	v_add_co_u32 v1, vcc_lo, v114, v49
	v_add_co_ci_u32_e32 v2, vcc_lo, v115, v50, vcc_lo
	v_add_co_u32 v4, vcc_lo, v116, v49
	v_add_co_ci_u32_e32 v5, vcc_lo, v117, v50, vcc_lo
	global_load_b64 v[35:36], v[1:2], off
	global_load_b64 v[19:20], v[4:5], off
.LBB136_61:                             ;   in Loop: Header=BB136_52 Depth=1
	s_or_b32 exec_lo, exec_lo, s8
	v_add_co_u32 v1, vcc_lo, 0xffffff83, v118
	v_add_co_ci_u32_e32 v2, vcc_lo, -1, v119, vcc_lo
	s_mov_b32 s8, exec_lo
	s_delay_alu instid0(VALU_DEP_1)
	v_cmpx_gt_i64_e64 s[4:5], v[1:2]
	s_cbranch_execz .LBB136_63
; %bb.62:                               ;   in Loop: Header=BB136_52 Depth=1
	v_add_co_u32 v1, vcc_lo, v110, v49
	v_add_co_ci_u32_e32 v2, vcc_lo, v111, v50, vcc_lo
	v_add_co_u32 v4, vcc_lo, v112, v49
	v_add_co_ci_u32_e32 v5, vcc_lo, v113, v50, vcc_lo
	global_load_b64 v[37:38], v[1:2], off
	global_load_b64 v[21:22], v[4:5], off
.LBB136_63:                             ;   in Loop: Header=BB136_52 Depth=1
	;; [unrolled: 15-line block ×7, first 2 shown]
	s_or_b32 exec_lo, exec_lo, s8
	s_waitcnt vmcnt(0)
	v_mul_f64 v[1:2], v[17:18], v[33:34]
	ds_bpermute_b32 v4, v3, v51
	ds_bpermute_b32 v5, v3, v52
	v_mul_f64 v[6:7], v[19:20], v[35:36]
	v_mul_f64 v[8:9], v[21:22], v[37:38]
	s_waitcnt lgkmcnt(0)
	v_fma_f64 v[1:2], v[1:2], v[4:5], v[81:82]
	ds_bpermute_b32 v4, v3, v51 offset:4
	ds_bpermute_b32 v5, v3, v52 offset:4
	s_waitcnt lgkmcnt(0)
	v_fma_f64 v[1:2], v[6:7], v[4:5], v[1:2]
	ds_bpermute_b32 v4, v3, v51 offset:8
	ds_bpermute_b32 v5, v3, v52 offset:8
	v_mul_f64 v[6:7], v[23:24], v[39:40]
	s_waitcnt lgkmcnt(0)
	v_fma_f64 v[1:2], v[8:9], v[4:5], v[1:2]
	ds_bpermute_b32 v4, v3, v51 offset:12
	ds_bpermute_b32 v5, v3, v52 offset:12
	v_mul_f64 v[8:9], v[25:26], v[41:42]
	s_waitcnt lgkmcnt(0)
	v_fma_f64 v[1:2], v[6:7], v[4:5], v[1:2]
	ds_bpermute_b32 v4, v3, v51 offset:16
	ds_bpermute_b32 v5, v3, v52 offset:16
	v_mul_f64 v[6:7], v[27:28], v[43:44]
	s_waitcnt lgkmcnt(0)
	v_fma_f64 v[1:2], v[8:9], v[4:5], v[1:2]
	ds_bpermute_b32 v4, v3, v51 offset:20
	ds_bpermute_b32 v5, v3, v52 offset:20
	v_mul_f64 v[8:9], v[29:30], v[45:46]
	s_waitcnt lgkmcnt(0)
	v_fma_f64 v[1:2], v[6:7], v[4:5], v[1:2]
	ds_bpermute_b32 v4, v3, v51 offset:24
	ds_bpermute_b32 v5, v3, v52 offset:24
	;; [unrolled: 1-line block ×4, first 2 shown]
	s_waitcnt lgkmcnt(2)
	v_fma_f64 v[1:2], v[8:9], v[4:5], v[1:2]
	v_mul_f64 v[4:5], v[31:32], v[47:48]
	s_waitcnt lgkmcnt(0)
	s_delay_alu instid0(VALU_DEP_1)
	v_fma_f64 v[51:52], v[4:5], v[6:7], v[1:2]
	s_branch .LBB136_80
.LBB136_74:                             ;   in Loop: Header=BB136_52 Depth=1
                                        ; implicit-def: $vgpr51_vgpr52
	s_cbranch_execz .LBB136_80
; %bb.75:                               ;   in Loop: Header=BB136_52 Depth=1
	s_load_b32 s8, s[36:37], 0x0
	s_waitcnt lgkmcnt(0)
	s_cmp_lt_u32 s14, s8
	s_cselect_b32 s8, 12, 18
	s_delay_alu instid0(SALU_CYCLE_1)
	s_add_u32 s8, s36, s8
	s_addc_u32 s9, s37, 0
	global_load_u16 v1, v3, s[8:9]
	s_mov_b32 s8, exec_lo
	s_waitcnt vmcnt(0)
	v_mad_u32_u24 v1, v84, v1, v83
	s_delay_alu instid0(VALU_DEP_1) | instskip(SKIP_1) | instid1(VALU_DEP_2)
	v_dual_mov_b32 v1, 0 :: v_dual_and_b32 v4, 31, v1
	v_mov_b32_e32 v2, 0
	v_cmpx_gt_u32_e32 8, v4
	s_cbranch_execz .LBB136_79
; %bb.76:                               ;   in Loop: Header=BB136_52 Depth=1
	v_add_co_u32 v1, vcc_lo, v118, v4
	v_add_co_ci_u32_e32 v2, vcc_lo, 0, v119, vcc_lo
	s_mov_b32 s9, exec_lo
	s_delay_alu instid0(VALU_DEP_2) | instskip(NEXT) | instid1(VALU_DEP_2)
	v_add_co_u32 v4, vcc_lo, 0xffffff81, v1
	v_add_co_ci_u32_e32 v5, vcc_lo, -1, v2, vcc_lo
	v_mov_b32_e32 v1, 0
	v_mov_b32_e32 v2, 0
	s_delay_alu instid0(VALU_DEP_3)
	v_cmpx_gt_i64_e64 s[4:5], v[4:5]
	s_cbranch_execz .LBB136_78
; %bb.77:                               ;   in Loop: Header=BB136_52 Depth=1
	v_lshlrev_b64 v[1:2], 3, v[4:5]
	s_delay_alu instid0(VALU_DEP_1) | instskip(NEXT) | instid1(VALU_DEP_2)
	v_add_co_u32 v1, vcc_lo, s12, v1
	v_add_co_ci_u32_e32 v2, vcc_lo, s13, v2, vcc_lo
	global_load_b64 v[1:2], v[1:2], off
.LBB136_78:                             ;   in Loop: Header=BB136_52 Depth=1
	s_or_b32 exec_lo, exec_lo, s9
.LBB136_79:                             ;   in Loop: Header=BB136_52 Depth=1
	s_delay_alu instid0(SALU_CYCLE_1)
	s_or_b32 exec_lo, exec_lo, s8
	v_add_co_u32 v4, vcc_lo, v86, v49
	v_add_co_ci_u32_e32 v5, vcc_lo, v87, v50, vcc_lo
	v_add_co_u32 v6, vcc_lo, v88, v49
	v_add_co_ci_u32_e32 v7, vcc_lo, v89, v50, vcc_lo
	v_add_co_u32 v8, vcc_lo, v53, v49
	global_load_b64 v[4:5], v[4:5], off
	global_load_b64 v[6:7], v[6:7], off
	v_add_co_ci_u32_e32 v9, vcc_lo, v54, v50, vcc_lo
	v_add_co_u32 v10, vcc_lo, v67, v49
	v_add_co_ci_u32_e32 v11, vcc_lo, v68, v50, vcc_lo
	global_load_b64 v[8:9], v[8:9], off
	global_load_b64 v[10:11], v[10:11], off
	v_add_co_u32 v12, vcc_lo, v55, v49
	v_add_co_ci_u32_e32 v13, vcc_lo, v56, v50, vcc_lo
	v_add_co_u32 v14, vcc_lo, v69, v49
	v_add_co_ci_u32_e32 v15, vcc_lo, v70, v50, vcc_lo
	global_load_b64 v[12:13], v[12:13], off
	global_load_b64 v[14:15], v[14:15], off
	v_add_co_u32 v16, vcc_lo, v57, v49
	;; [unrolled: 6-line block ×6, first 2 shown]
	v_add_co_ci_u32_e32 v33, vcc_lo, v66, v50, vcc_lo
	v_add_co_u32 v34, vcc_lo, v79, v49
	v_add_co_ci_u32_e32 v35, vcc_lo, v80, v50, vcc_lo
	global_load_b64 v[32:33], v[32:33], off
	global_load_b64 v[34:35], v[34:35], off
	s_waitcnt vmcnt(14)
	v_mul_f64 v[4:5], v[4:5], v[6:7]
	ds_bpermute_b32 v6, v3, v1
	ds_bpermute_b32 v7, v3, v2
	s_waitcnt vmcnt(12)
	v_mul_f64 v[8:9], v[8:9], v[10:11]
	s_waitcnt vmcnt(10)
	v_mul_f64 v[10:11], v[12:13], v[14:15]
	s_waitcnt lgkmcnt(0)
	v_fma_f64 v[4:5], v[4:5], v[6:7], v[81:82]
	ds_bpermute_b32 v6, v3, v1 offset:4
	ds_bpermute_b32 v7, v3, v2 offset:4
	s_waitcnt lgkmcnt(0)
	v_fma_f64 v[4:5], v[8:9], v[6:7], v[4:5]
	ds_bpermute_b32 v6, v3, v1 offset:8
	ds_bpermute_b32 v7, v3, v2 offset:8
	s_waitcnt vmcnt(8)
	v_mul_f64 v[8:9], v[16:17], v[18:19]
	s_waitcnt lgkmcnt(0)
	v_fma_f64 v[4:5], v[10:11], v[6:7], v[4:5]
	ds_bpermute_b32 v6, v3, v1 offset:12
	ds_bpermute_b32 v7, v3, v2 offset:12
	s_waitcnt vmcnt(6)
	v_mul_f64 v[10:11], v[20:21], v[22:23]
	;; [unrolled: 6-line block ×4, first 2 shown]
	s_waitcnt lgkmcnt(0)
	v_fma_f64 v[4:5], v[8:9], v[6:7], v[4:5]
	ds_bpermute_b32 v6, v3, v1 offset:24
	ds_bpermute_b32 v7, v3, v2 offset:24
	ds_bpermute_b32 v1, v3, v1 offset:28
	ds_bpermute_b32 v2, v3, v2 offset:28
	s_waitcnt lgkmcnt(2)
	v_fma_f64 v[4:5], v[10:11], v[6:7], v[4:5]
	s_waitcnt vmcnt(0)
	v_mul_f64 v[6:7], v[32:33], v[34:35]
	s_waitcnt lgkmcnt(0)
	s_delay_alu instid0(VALU_DEP_1)
	v_fma_f64 v[51:52], v[6:7], v[1:2], v[4:5]
.LBB136_80:                             ;   in Loop: Header=BB136_52 Depth=1
	v_add_co_u32 v53, vcc_lo, v53, s2
	v_add_co_ci_u32_e32 v54, vcc_lo, s3, v54, vcc_lo
	v_add_co_u32 v55, vcc_lo, v55, s2
	v_add_co_ci_u32_e32 v56, vcc_lo, s3, v56, vcc_lo
	;; [unrolled: 2-line block ×27, first 2 shown]
	v_add_co_u32 v112, vcc_lo, v112, s2
	s_add_u32 s34, s34, s15
	v_add_co_ci_u32_e32 v113, vcc_lo, s3, v113, vcc_lo
	s_addc_u32 s35, s35, 0
	v_add_co_u32 v114, vcc_lo, v114, s2
	v_cmp_ge_i64_e64 s8, s[34:35], s[4:5]
	v_add_co_ci_u32_e32 v115, vcc_lo, s3, v115, vcc_lo
	v_add_co_u32 v116, vcc_lo, v116, s2
	v_add_co_ci_u32_e32 v117, vcc_lo, s3, v117, vcc_lo
	s_add_u32 s38, s38, s15
	s_addc_u32 s39, s39, 0
	s_and_b32 vcc_lo, exec_lo, s8
	s_cbranch_vccnz .LBB136_82
; %bb.81:                               ;   in Loop: Header=BB136_52 Depth=1
	v_dual_mov_b32 v82, v52 :: v_dual_mov_b32 v81, v51
	s_branch .LBB136_52
.LBB136_82:
	v_dual_mov_b32 v4, 0 :: v_dual_and_b32 v3, 0x3ff, v0
	v_bfe_u32 v0, v0, 10, 10
	s_mov_b32 s15, 0
	s_mov_b32 s2, exec_lo
	s_delay_alu instid0(VALU_DEP_2) | instskip(NEXT) | instid1(VALU_DEP_2)
	v_lshrrev_b32_e32 v2, 5, v3
	v_mad_u32_u24 v5, v0, 33, v3
	s_delay_alu instid0(VALU_DEP_2) | instskip(NEXT) | instid1(VALU_DEP_2)
	v_add_nc_u32_e32 v1, v2, v0
	v_lshl_add_u32 v6, v5, 3, 0
	v_mov_b32_e32 v5, v4
	ds_store_b64 v6, v[51:52]
	ds_store_b64 v6, v[4:5] offset:4224
	s_waitcnt lgkmcnt(0)
	s_barrier
	buffer_gl0_inv
	v_cmpx_gt_u32_e32 32, v1
	s_cbranch_execz .LBB136_89
; %bb.83:
	v_mbcnt_lo_u32_b32 v7, -1, 0
	v_and_b32_e32 v4, 31, v3
	s_load_b64 s[2:3], s[0:1], 0x30
	v_cmp_ne_u32_e32 vcc_lo, 0, v3
	s_lshl_b64 s[4:5], s[14:15], 5
	v_xor_b32_e32 v5, 8, v7
	v_xor_b32_e32 v3, 4, v7
	v_cmp_gt_u32_e64 s0, 16, v4
	v_mul_u32_u24_e32 v10, 0x108, v4
	v_xor_b32_e32 v8, 2, v7
	v_cmp_gt_i32_e64 s1, 32, v5
	v_lshlrev_b32_e32 v12, 3, v1
	s_delay_alu instid0(VALU_DEP_2) | instskip(SKIP_1) | instid1(VALU_DEP_3)
	v_cndmask_b32_e64 v5, v7, v5, s1
	v_cmp_gt_i32_e64 s1, 32, v3
	v_add3_u32 v10, v10, v12, 0
	s_delay_alu instid0(VALU_DEP_3) | instskip(NEXT) | instid1(VALU_DEP_3)
	v_lshlrev_b32_e32 v4, 2, v5
	v_cndmask_b32_e64 v9, v7, v3, s1
	v_add_co_u32 v5, s1, v2, v0
	s_delay_alu instid0(VALU_DEP_1) | instskip(SKIP_1) | instid1(VALU_DEP_3)
	v_add_co_ci_u32_e64 v6, null, 0, 0, s1
	v_xor_b32_e32 v0, 1, v7
	v_add_co_u32 v2, s1, v5, s4
	s_delay_alu instid0(VALU_DEP_1) | instskip(SKIP_3) | instid1(VALU_DEP_1)
	v_add_co_ci_u32_e64 v3, s1, s5, v6, s1
	v_cmp_gt_i32_e64 s1, 32, v8
	s_waitcnt lgkmcnt(0)
	s_cmp_eq_u64 s[2:3], 0
	v_cndmask_b32_e64 v8, v7, v8, s1
	v_cmp_gt_i32_e64 s1, 32, v0
	s_delay_alu instid0(VALU_DEP_2) | instskip(NEXT) | instid1(VALU_DEP_2)
	v_lshlrev_b32_e32 v8, 2, v8
	v_cndmask_b32_e64 v11, v7, v0, s1
	v_lshlrev_b64 v[0:1], 3, v[2:3]
	v_lshlrev_b32_e32 v7, 2, v9
                                        ; implicit-def: $vgpr2_vgpr3
	s_delay_alu instid0(VALU_DEP_3) | instskip(NEXT) | instid1(VALU_DEP_3)
	v_lshlrev_b32_e32 v9, 2, v11
	v_add_co_u32 v0, s1, s2, v0
	s_delay_alu instid0(VALU_DEP_1)
	v_add_co_ci_u32_e64 v1, s1, s3, v1, s1
	s_cselect_b32 s3, -1, 0
	s_branch .LBB136_85
.LBB136_84:                             ;   in Loop: Header=BB136_85 Depth=1
	s_or_b32 exec_lo, exec_lo, s1
	v_add_co_u32 v5, s1, v5, 16
	s_delay_alu instid0(VALU_DEP_1) | instskip(SKIP_1) | instid1(VALU_DEP_3)
	v_add_co_ci_u32_e64 v6, s1, 0, v6, s1
	v_add_co_u32 v0, s2, 0x80, v0
	v_add_nc_u32_e32 v11, -16, v5
	v_add_nc_u32_e32 v10, 0x80, v10
	v_add_co_ci_u32_e64 v1, s2, 0, v1, s2
	s_delay_alu instid0(VALU_DEP_3) | instskip(NEXT) | instid1(VALU_DEP_1)
	v_cmp_lt_u32_e64 s1, 15, v11
	s_or_b32 s15, s1, s15
	s_delay_alu instid0(SALU_CYCLE_1)
	s_and_not1_b32 exec_lo, exec_lo, s15
	s_cbranch_execz .LBB136_89
.LBB136_85:                             ; =>This Inner Loop Header: Depth=1
	s_and_saveexec_b32 s1, s0
	s_cbranch_execz .LBB136_87
; %bb.86:                               ;   in Loop: Header=BB136_85 Depth=1
	ds_load_b64 v[2:3], v10
.LBB136_87:                             ;   in Loop: Header=BB136_85 Depth=1
	s_or_b32 exec_lo, exec_lo, s1
	s_waitcnt lgkmcnt(0)
	ds_bpermute_b32 v11, v4, v2
	ds_bpermute_b32 v12, v4, v3
	s_waitcnt lgkmcnt(0)
	v_add_f64 v[2:3], v[2:3], v[11:12]
	ds_bpermute_b32 v11, v7, v2
	ds_bpermute_b32 v12, v7, v3
	s_waitcnt lgkmcnt(0)
	v_add_f64 v[2:3], v[2:3], v[11:12]
	;; [unrolled: 4-line block ×4, first 2 shown]
	v_add_co_u32 v11, s1, s4, v5
	s_delay_alu instid0(VALU_DEP_1) | instskip(NEXT) | instid1(VALU_DEP_1)
	v_add_co_ci_u32_e64 v12, s1, s5, v6, s1
	v_cmp_le_i64_e64 s1, s[6:7], v[11:12]
	s_delay_alu instid0(VALU_DEP_1) | instskip(NEXT) | instid1(SALU_CYCLE_1)
	s_or_b32 s1, vcc_lo, s1
	s_or_b32 s1, s3, s1
	s_delay_alu instid0(SALU_CYCLE_1) | instskip(NEXT) | instid1(SALU_CYCLE_1)
	s_xor_b32 s2, s1, -1
	s_and_saveexec_b32 s1, s2
	s_cbranch_execz .LBB136_84
; %bb.88:                               ;   in Loop: Header=BB136_85 Depth=1
	global_store_b64 v[0:1], v[2:3], off
	s_branch .LBB136_84
.LBB136_89:
	s_nop 0
	s_sendmsg sendmsg(MSG_DEALLOC_VGPRS)
	s_endpgm
	.section	.rodata,"a",@progbits
	.p2align	6, 0x0
	.amdhsa_kernel _ZN2at6native12_GLOBAL__N_135GammaBetaBackwardCUDAKernelTemplateIddLj32ELj16ELj128ELb0ELb0ELb1EEEvllPKT_S5_PKT0_S8_PS3_S9_
		.amdhsa_group_segment_fixed_size 0
		.amdhsa_private_segment_fixed_size 0
		.amdhsa_kernarg_size 320
		.amdhsa_user_sgpr_count 14
		.amdhsa_user_sgpr_dispatch_ptr 0
		.amdhsa_user_sgpr_queue_ptr 0
		.amdhsa_user_sgpr_kernarg_segment_ptr 1
		.amdhsa_user_sgpr_dispatch_id 0
		.amdhsa_user_sgpr_private_segment_size 0
		.amdhsa_wavefront_size32 1
		.amdhsa_uses_dynamic_stack 0
		.amdhsa_enable_private_segment 0
		.amdhsa_system_sgpr_workgroup_id_x 1
		.amdhsa_system_sgpr_workgroup_id_y 1
		.amdhsa_system_sgpr_workgroup_id_z 0
		.amdhsa_system_sgpr_workgroup_info 0
		.amdhsa_system_vgpr_workitem_id 1
		.amdhsa_next_free_vgpr 120
		.amdhsa_next_free_sgpr 45
		.amdhsa_reserve_vcc 1
		.amdhsa_float_round_mode_32 0
		.amdhsa_float_round_mode_16_64 0
		.amdhsa_float_denorm_mode_32 3
		.amdhsa_float_denorm_mode_16_64 3
		.amdhsa_dx10_clamp 1
		.amdhsa_ieee_mode 1
		.amdhsa_fp16_overflow 0
		.amdhsa_workgroup_processor_mode 1
		.amdhsa_memory_ordered 1
		.amdhsa_forward_progress 0
		.amdhsa_shared_vgpr_count 0
		.amdhsa_exception_fp_ieee_invalid_op 0
		.amdhsa_exception_fp_denorm_src 0
		.amdhsa_exception_fp_ieee_div_zero 0
		.amdhsa_exception_fp_ieee_overflow 0
		.amdhsa_exception_fp_ieee_underflow 0
		.amdhsa_exception_fp_ieee_inexact 0
		.amdhsa_exception_int_div_zero 0
	.end_amdhsa_kernel
	.section	.text._ZN2at6native12_GLOBAL__N_135GammaBetaBackwardCUDAKernelTemplateIddLj32ELj16ELj128ELb0ELb0ELb1EEEvllPKT_S5_PKT0_S8_PS3_S9_,"axG",@progbits,_ZN2at6native12_GLOBAL__N_135GammaBetaBackwardCUDAKernelTemplateIddLj32ELj16ELj128ELb0ELb0ELb1EEEvllPKT_S5_PKT0_S8_PS3_S9_,comdat
.Lfunc_end136:
	.size	_ZN2at6native12_GLOBAL__N_135GammaBetaBackwardCUDAKernelTemplateIddLj32ELj16ELj128ELb0ELb0ELb1EEEvllPKT_S5_PKT0_S8_PS3_S9_, .Lfunc_end136-_ZN2at6native12_GLOBAL__N_135GammaBetaBackwardCUDAKernelTemplateIddLj32ELj16ELj128ELb0ELb0ELb1EEEvllPKT_S5_PKT0_S8_PS3_S9_
                                        ; -- End function
	.section	.AMDGPU.csdata,"",@progbits
; Kernel info:
; codeLenInByte = 8524
; NumSgprs: 47
; NumVgprs: 120
; ScratchSize: 0
; MemoryBound: 1
; FloatMode: 240
; IeeeMode: 1
; LDSByteSize: 0 bytes/workgroup (compile time only)
; SGPRBlocks: 5
; VGPRBlocks: 14
; NumSGPRsForWavesPerEU: 47
; NumVGPRsForWavesPerEU: 120
; Occupancy: 12
; WaveLimiterHint : 0
; COMPUTE_PGM_RSRC2:SCRATCH_EN: 0
; COMPUTE_PGM_RSRC2:USER_SGPR: 14
; COMPUTE_PGM_RSRC2:TRAP_HANDLER: 0
; COMPUTE_PGM_RSRC2:TGID_X_EN: 1
; COMPUTE_PGM_RSRC2:TGID_Y_EN: 1
; COMPUTE_PGM_RSRC2:TGID_Z_EN: 0
; COMPUTE_PGM_RSRC2:TIDIG_COMP_CNT: 1
	.section	.text._ZN2at6native12_GLOBAL__N_135GammaBetaBackwardCUDAKernelTemplateIddLj32ELj32ELj256ELb0ELb1ELb1EEEvllPKT_S5_PKT0_S8_PS3_S9_,"axG",@progbits,_ZN2at6native12_GLOBAL__N_135GammaBetaBackwardCUDAKernelTemplateIddLj32ELj32ELj256ELb0ELb1ELb1EEEvllPKT_S5_PKT0_S8_PS3_S9_,comdat
	.globl	_ZN2at6native12_GLOBAL__N_135GammaBetaBackwardCUDAKernelTemplateIddLj32ELj32ELj256ELb0ELb1ELb1EEEvllPKT_S5_PKT0_S8_PS3_S9_ ; -- Begin function _ZN2at6native12_GLOBAL__N_135GammaBetaBackwardCUDAKernelTemplateIddLj32ELj32ELj256ELb0ELb1ELb1EEEvllPKT_S5_PKT0_S8_PS3_S9_
	.p2align	8
	.type	_ZN2at6native12_GLOBAL__N_135GammaBetaBackwardCUDAKernelTemplateIddLj32ELj32ELj256ELb0ELb1ELb1EEEvllPKT_S5_PKT0_S8_PS3_S9_,@function
_ZN2at6native12_GLOBAL__N_135GammaBetaBackwardCUDAKernelTemplateIddLj32ELj32ELj256ELb0ELb1ELb1EEEvllPKT_S5_PKT0_S8_PS3_S9_: ; @_ZN2at6native12_GLOBAL__N_135GammaBetaBackwardCUDAKernelTemplateIddLj32ELj32ELj256ELb0ELb1ELb1EEEvllPKT_S5_PKT0_S8_PS3_S9_
; %bb.0:
	s_load_b128 s[4:7], s[0:1], 0x0
	s_mov_b32 s13, 0
	s_lshl_b32 s12, s15, 8
	v_bfe_u32 v13, v0, 10, 10
	s_waitcnt lgkmcnt(0)
	v_cmp_lt_i64_e64 s2, s[12:13], s[4:5]
	s_delay_alu instid0(VALU_DEP_1)
	s_and_b32 vcc_lo, exec_lo, s2
	s_cbranch_vccnz .LBB137_2
; %bb.1:
	v_bfe_u32 v1, v0, 10, 10
	s_mov_b64 s[8:9], 0
	s_mov_b32 s10, s13
	s_branch .LBB137_3
.LBB137_2:
	s_mov_b32 s10, -1
                                        ; implicit-def: $sgpr8_sgpr9
                                        ; implicit-def: $vgpr1
.LBB137_3:
	s_load_b64 s[2:3], s[0:1], 0x30
	v_mov_b32_e32 v8, s8
	v_dual_mov_b32 v9, s9 :: v_dual_and_b32 v12, 0x3ff, v0
	s_and_not1_b32 vcc_lo, exec_lo, s10
	s_cbranch_vccnz .LBB137_11
; %bb.4:
	s_clause 0x3
	s_load_b32 s15, s[0:1], 0x4c
	s_load_b32 s16, s[0:1], 0x44
	s_load_b128 s[8:11], s[0:1], 0x10
	s_load_b64 s[18:19], s[0:1], 0x28
	v_dual_mov_b32 v1, 0 :: v_dual_lshlrev_b32 v2, 3, v13
	v_lshl_add_u32 v0, s14, 5, v12
	v_dual_mov_b32 v14, 4 :: v_dual_mov_b32 v15, 8
	s_delay_alu instid0(VALU_DEP_3) | instskip(NEXT) | instid1(VALU_DEP_1)
	v_add_co_u32 v2, s1, v2, s12
	v_add_co_ci_u32_e64 v3, null, 0, 0, s1
	s_delay_alu instid0(VALU_DEP_4) | instskip(NEXT) | instid1(VALU_DEP_3)
	v_lshlrev_b64 v[8:9], 3, v[0:1]
	v_mul_lo_u32 v10, s7, v2
	v_mad_u64_u32 v[6:7], null, s6, v2, 0
	s_delay_alu instid0(VALU_DEP_4)
	v_mul_lo_u32 v11, s6, v3
	v_dual_mov_b32 v16, 12 :: v_dual_mov_b32 v17, 16
	s_waitcnt lgkmcnt(0)
	s_and_b32 s0, s15, 0xffff
	s_lshl_b32 s16, s16, 8
	v_mad_u32_u24 v4, v13, s0, v12
	s_mul_i32 s1, s7, s16
	s_mul_hi_u32 s15, s6, s16
	v_add3_u32 v7, v7, v11, v10
	v_dual_mov_b32 v18, 20 :: v_dual_mov_b32 v19, 24
	v_dual_mov_b32 v20, 28 :: v_dual_and_b32 v23, 31, v4
	s_delay_alu instid0(VALU_DEP_3) | instskip(SKIP_2) | instid1(VALU_DEP_4)
	v_lshlrev_b64 v[21:22], 3, v[6:7]
	v_mov_b32_e32 v4, 0
	v_mov_b32_e32 v5, 0
	v_add_co_u32 v2, vcc_lo, v2, v23
	v_add_co_ci_u32_e32 v3, vcc_lo, 0, v3, vcc_lo
	v_cmp_gt_u32_e64 s0, 8, v23
	s_mov_b32 s17, 0
	s_add_i32 s21, s15, s1
	s_delay_alu instid0(VALU_DEP_2) | instskip(SKIP_3) | instid1(VALU_DEP_1)
	v_lshlrev_b64 v[10:11], 3, v[2:3]
	s_mul_i32 s20, s6, s16
	s_lshl_b64 s[6:7], s[6:7], 3
	s_lshl_b64 s[20:21], s[20:21], 3
	v_add_co_u32 v6, vcc_lo, s18, v10
	s_delay_alu instid0(VALU_DEP_2)
	v_add_co_ci_u32_e32 v7, vcc_lo, s19, v11, vcc_lo
	v_add_co_u32 v0, vcc_lo, v21, v8
	v_add_co_ci_u32_e32 v21, vcc_lo, v22, v9, vcc_lo
	v_dual_mov_b32 v9, v5 :: v_dual_mov_b32 v8, v4
	s_lshl_b64 s[18:19], s[16:17], 3
	s_branch .LBB137_7
.LBB137_5:                              ;   in Loop: Header=BB137_7 Depth=1
	s_or_b32 exec_lo, exec_lo, s15
.LBB137_6:                              ;   in Loop: Header=BB137_7 Depth=1
	s_delay_alu instid0(SALU_CYCLE_1)
	s_or_b32 exec_lo, exec_lo, s1
	v_add_co_u32 v22, vcc_lo, s8, v0
	v_add_co_ci_u32_e32 v23, vcc_lo, s9, v21, vcc_lo
	v_add_co_u32 v24, vcc_lo, s10, v0
	v_add_co_ci_u32_e32 v25, vcc_lo, s11, v21, vcc_lo
	s_add_u32 s12, s12, s16
	global_load_b64 v[26:27], v[22:23], off
	global_load_b64 v[28:29], v[24:25], off
	v_add_co_u32 v22, vcc_lo, v22, s6
	v_add_co_ci_u32_e32 v23, vcc_lo, s7, v23, vcc_lo
	v_add_co_u32 v24, vcc_lo, v24, s6
	v_add_co_ci_u32_e32 v25, vcc_lo, s7, v25, vcc_lo
	global_load_b64 v[30:31], v[22:23], off
	global_load_b64 v[32:33], v[24:25], off
	v_add_co_u32 v22, vcc_lo, v22, s6
	v_add_co_ci_u32_e32 v23, vcc_lo, s7, v23, vcc_lo
	v_add_co_u32 v24, vcc_lo, v24, s6
	v_add_co_ci_u32_e32 v25, vcc_lo, s7, v25, vcc_lo
	;; [unrolled: 6-line block ×7, first 2 shown]
	global_load_b64 v[22:23], v[22:23], off
	global_load_b64 v[24:25], v[24:25], off
	v_add_co_u32 v6, vcc_lo, v6, s18
	v_add_co_ci_u32_e32 v7, vcc_lo, s19, v7, vcc_lo
	s_addc_u32 s13, s13, 0
	v_add_co_u32 v2, vcc_lo, v2, s16
	v_cmp_lt_i64_e64 s1, s[12:13], s[4:5]
	v_add_co_ci_u32_e32 v3, vcc_lo, 0, v3, vcc_lo
	v_add_co_u32 v0, vcc_lo, v0, s20
	v_add_co_ci_u32_e32 v21, vcc_lo, s21, v21, vcc_lo
	s_delay_alu instid0(VALU_DEP_4)
	s_and_b32 vcc_lo, exec_lo, s1
	s_waitcnt vmcnt(14)
	v_mul_f64 v[26:27], v[26:27], v[28:29]
	ds_bpermute_b32 v28, v1, v10
	ds_bpermute_b32 v29, v1, v11
	s_waitcnt vmcnt(12)
	v_mul_f64 v[30:31], v[30:31], v[32:33]
	s_waitcnt lgkmcnt(0)
	v_fma_f64 v[8:9], v[26:27], v[28:29], v[8:9]
	ds_bpermute_b32 v26, v14, v10
	ds_bpermute_b32 v27, v14, v11
	s_waitcnt vmcnt(10)
	v_mul_f64 v[28:29], v[34:35], v[36:37]
	s_waitcnt lgkmcnt(0)
	v_fma_f64 v[8:9], v[30:31], v[26:27], v[8:9]
	ds_bpermute_b32 v26, v15, v10
	ds_bpermute_b32 v27, v15, v11
	s_waitcnt vmcnt(8)
	v_mul_f64 v[30:31], v[38:39], v[40:41]
	s_waitcnt vmcnt(0)
	v_mul_f64 v[22:23], v[22:23], v[24:25]
	s_waitcnt lgkmcnt(0)
	v_fma_f64 v[8:9], v[28:29], v[26:27], v[8:9]
	ds_bpermute_b32 v26, v16, v10
	ds_bpermute_b32 v27, v16, v11
	v_mul_f64 v[28:29], v[42:43], v[44:45]
	s_waitcnt lgkmcnt(0)
	v_fma_f64 v[8:9], v[30:31], v[26:27], v[8:9]
	ds_bpermute_b32 v26, v17, v10
	ds_bpermute_b32 v27, v17, v11
	;; [unrolled: 5-line block ×4, first 2 shown]
	ds_bpermute_b32 v10, v20, v10
	ds_bpermute_b32 v11, v20, v11
	s_waitcnt lgkmcnt(2)
	v_fma_f64 v[8:9], v[28:29], v[26:27], v[8:9]
	s_waitcnt lgkmcnt(0)
	s_delay_alu instid0(VALU_DEP_1)
	v_fma_f64 v[8:9], v[22:23], v[10:11], v[8:9]
	s_cbranch_vccz .LBB137_10
.LBB137_7:                              ; =>This Inner Loop Header: Depth=1
	v_dual_mov_b32 v11, v5 :: v_dual_mov_b32 v10, v4
	s_and_saveexec_b32 s1, s0
	s_cbranch_execz .LBB137_6
; %bb.8:                                ;   in Loop: Header=BB137_7 Depth=1
	v_mov_b32_e32 v10, 0
	v_mov_b32_e32 v11, 0
	s_mov_b32 s15, exec_lo
	v_cmpx_gt_i64_e64 s[4:5], v[2:3]
	s_cbranch_execz .LBB137_5
; %bb.9:                                ;   in Loop: Header=BB137_7 Depth=1
	global_load_b64 v[10:11], v[6:7], off
	s_branch .LBB137_5
.LBB137_10:
	v_mov_b32_e32 v1, v13
.LBB137_11:
	s_delay_alu instid0(VALU_DEP_1) | instskip(NEXT) | instid1(VALU_DEP_2)
	v_lshrrev_b32_e32 v0, 5, v12
	v_mad_u32_u24 v3, v1, 33, v12
	v_mov_b32_e32 v2, 0
	s_mov_b32 s0, exec_lo
	s_delay_alu instid0(VALU_DEP_3) | instskip(NEXT) | instid1(VALU_DEP_3)
	v_add_nc_u32_e32 v0, v0, v1
	v_lshl_add_u32 v1, v3, 3, 0
	s_delay_alu instid0(VALU_DEP_3)
	v_mov_b32_e32 v3, v2
	ds_store_b64 v1, v[8:9]
	ds_store_b64 v1, v[2:3] offset:8448
	s_waitcnt lgkmcnt(0)
	s_barrier
	buffer_gl0_inv
	v_cmpx_gt_u32_e32 32, v0
	s_cbranch_execz .LBB137_14
; %bb.12:
	v_mbcnt_lo_u32_b32 v5, -1, 0
	v_and_b32_e32 v1, 31, v12
	s_cmp_lg_u64 s[2:3], 0
	s_cselect_b32 s0, -1, 0
	s_delay_alu instid0(VALU_DEP_2) | instskip(NEXT) | instid1(VALU_DEP_2)
	v_xor_b32_e32 v3, 16, v5
	v_mul_u32_u24_e32 v1, 0x108, v1
	s_delay_alu instid0(VALU_DEP_2) | instskip(SKIP_1) | instid1(VALU_DEP_1)
	v_cmp_gt_i32_e32 vcc_lo, 32, v3
	v_dual_cndmask_b32 v3, v5, v3 :: v_dual_lshlrev_b32 v2, 3, v0
	v_add3_u32 v1, 0, v2, v1
	s_delay_alu instid0(VALU_DEP_2)
	v_lshlrev_b32_e32 v4, 2, v3
	ds_load_b64 v[1:2], v1
	s_waitcnt lgkmcnt(0)
	ds_bpermute_b32 v3, v4, v1
	ds_bpermute_b32 v4, v4, v2
	s_waitcnt lgkmcnt(0)
	v_add_f64 v[1:2], v[1:2], v[3:4]
	v_xor_b32_e32 v3, 8, v5
	s_delay_alu instid0(VALU_DEP_1) | instskip(SKIP_1) | instid1(VALU_DEP_1)
	v_cmp_gt_i32_e32 vcc_lo, 32, v3
	v_cndmask_b32_e32 v3, v5, v3, vcc_lo
	v_lshlrev_b32_e32 v4, 2, v3
	ds_bpermute_b32 v3, v4, v1
	ds_bpermute_b32 v4, v4, v2
	s_waitcnt lgkmcnt(0)
	v_add_f64 v[1:2], v[1:2], v[3:4]
	v_xor_b32_e32 v3, 4, v5
	s_delay_alu instid0(VALU_DEP_1) | instskip(SKIP_1) | instid1(VALU_DEP_1)
	v_cmp_gt_i32_e32 vcc_lo, 32, v3
	v_cndmask_b32_e32 v3, v5, v3, vcc_lo
	v_lshlrev_b32_e32 v4, 2, v3
	;; [unrolled: 9-line block ×3, first 2 shown]
	ds_bpermute_b32 v3, v4, v1
	ds_bpermute_b32 v4, v4, v2
	s_waitcnt lgkmcnt(0)
	v_add_f64 v[1:2], v[1:2], v[3:4]
	v_xor_b32_e32 v3, 1, v5
	s_delay_alu instid0(VALU_DEP_1) | instskip(SKIP_2) | instid1(VALU_DEP_2)
	v_cmp_gt_i32_e32 vcc_lo, 32, v3
	v_cndmask_b32_e32 v3, v5, v3, vcc_lo
	v_cmp_eq_u32_e32 vcc_lo, 0, v12
	v_lshlrev_b32_e32 v4, 2, v3
	s_and_b32 s0, vcc_lo, s0
	ds_bpermute_b32 v3, v4, v1
	ds_bpermute_b32 v4, v4, v2
	s_and_b32 exec_lo, exec_lo, s0
	s_cbranch_execz .LBB137_14
; %bb.13:
	s_waitcnt lgkmcnt(0)
	v_add_f64 v[2:3], v[1:2], v[3:4]
	v_mov_b32_e32 v1, 0
	s_mov_b32 s15, 0
	s_delay_alu instid0(SALU_CYCLE_1) | instskip(NEXT) | instid1(VALU_DEP_1)
	s_lshl_b64 s[0:1], s[14:15], 8
	v_lshlrev_b64 v[0:1], 3, v[0:1]
	s_add_u32 s0, s2, s0
	s_addc_u32 s1, s3, s1
	s_delay_alu instid0(VALU_DEP_1) | instskip(NEXT) | instid1(VALU_DEP_2)
	v_add_co_u32 v0, vcc_lo, s0, v0
	v_add_co_ci_u32_e32 v1, vcc_lo, s1, v1, vcc_lo
	global_store_b64 v[0:1], v[2:3], off
.LBB137_14:
	s_nop 0
	s_sendmsg sendmsg(MSG_DEALLOC_VGPRS)
	s_endpgm
	.section	.rodata,"a",@progbits
	.p2align	6, 0x0
	.amdhsa_kernel _ZN2at6native12_GLOBAL__N_135GammaBetaBackwardCUDAKernelTemplateIddLj32ELj32ELj256ELb0ELb1ELb1EEEvllPKT_S5_PKT0_S8_PS3_S9_
		.amdhsa_group_segment_fixed_size 0
		.amdhsa_private_segment_fixed_size 0
		.amdhsa_kernarg_size 320
		.amdhsa_user_sgpr_count 14
		.amdhsa_user_sgpr_dispatch_ptr 0
		.amdhsa_user_sgpr_queue_ptr 0
		.amdhsa_user_sgpr_kernarg_segment_ptr 1
		.amdhsa_user_sgpr_dispatch_id 0
		.amdhsa_user_sgpr_private_segment_size 0
		.amdhsa_wavefront_size32 1
		.amdhsa_uses_dynamic_stack 0
		.amdhsa_enable_private_segment 0
		.amdhsa_system_sgpr_workgroup_id_x 1
		.amdhsa_system_sgpr_workgroup_id_y 1
		.amdhsa_system_sgpr_workgroup_id_z 0
		.amdhsa_system_sgpr_workgroup_info 0
		.amdhsa_system_vgpr_workitem_id 1
		.amdhsa_next_free_vgpr 54
		.amdhsa_next_free_sgpr 22
		.amdhsa_reserve_vcc 1
		.amdhsa_float_round_mode_32 0
		.amdhsa_float_round_mode_16_64 0
		.amdhsa_float_denorm_mode_32 3
		.amdhsa_float_denorm_mode_16_64 3
		.amdhsa_dx10_clamp 1
		.amdhsa_ieee_mode 1
		.amdhsa_fp16_overflow 0
		.amdhsa_workgroup_processor_mode 1
		.amdhsa_memory_ordered 1
		.amdhsa_forward_progress 0
		.amdhsa_shared_vgpr_count 0
		.amdhsa_exception_fp_ieee_invalid_op 0
		.amdhsa_exception_fp_denorm_src 0
		.amdhsa_exception_fp_ieee_div_zero 0
		.amdhsa_exception_fp_ieee_overflow 0
		.amdhsa_exception_fp_ieee_underflow 0
		.amdhsa_exception_fp_ieee_inexact 0
		.amdhsa_exception_int_div_zero 0
	.end_amdhsa_kernel
	.section	.text._ZN2at6native12_GLOBAL__N_135GammaBetaBackwardCUDAKernelTemplateIddLj32ELj32ELj256ELb0ELb1ELb1EEEvllPKT_S5_PKT0_S8_PS3_S9_,"axG",@progbits,_ZN2at6native12_GLOBAL__N_135GammaBetaBackwardCUDAKernelTemplateIddLj32ELj32ELj256ELb0ELb1ELb1EEEvllPKT_S5_PKT0_S8_PS3_S9_,comdat
.Lfunc_end137:
	.size	_ZN2at6native12_GLOBAL__N_135GammaBetaBackwardCUDAKernelTemplateIddLj32ELj32ELj256ELb0ELb1ELb1EEEvllPKT_S5_PKT0_S8_PS3_S9_, .Lfunc_end137-_ZN2at6native12_GLOBAL__N_135GammaBetaBackwardCUDAKernelTemplateIddLj32ELj32ELj256ELb0ELb1ELb1EEEvllPKT_S5_PKT0_S8_PS3_S9_
                                        ; -- End function
	.section	.AMDGPU.csdata,"",@progbits
; Kernel info:
; codeLenInByte = 1640
; NumSgprs: 24
; NumVgprs: 54
; ScratchSize: 0
; MemoryBound: 0
; FloatMode: 240
; IeeeMode: 1
; LDSByteSize: 0 bytes/workgroup (compile time only)
; SGPRBlocks: 2
; VGPRBlocks: 6
; NumSGPRsForWavesPerEU: 24
; NumVGPRsForWavesPerEU: 54
; Occupancy: 16
; WaveLimiterHint : 0
; COMPUTE_PGM_RSRC2:SCRATCH_EN: 0
; COMPUTE_PGM_RSRC2:USER_SGPR: 14
; COMPUTE_PGM_RSRC2:TRAP_HANDLER: 0
; COMPUTE_PGM_RSRC2:TGID_X_EN: 1
; COMPUTE_PGM_RSRC2:TGID_Y_EN: 1
; COMPUTE_PGM_RSRC2:TGID_Z_EN: 0
; COMPUTE_PGM_RSRC2:TIDIG_COMP_CNT: 1
	.section	.text._ZN2at6native12_GLOBAL__N_135GammaBetaBackwardCUDAKernelTemplateIddLj32ELj32ELj256ELb0ELb0ELb1EEEvllPKT_S5_PKT0_S8_PS3_S9_,"axG",@progbits,_ZN2at6native12_GLOBAL__N_135GammaBetaBackwardCUDAKernelTemplateIddLj32ELj32ELj256ELb0ELb0ELb1EEEvllPKT_S5_PKT0_S8_PS3_S9_,comdat
	.globl	_ZN2at6native12_GLOBAL__N_135GammaBetaBackwardCUDAKernelTemplateIddLj32ELj32ELj256ELb0ELb0ELb1EEEvllPKT_S5_PKT0_S8_PS3_S9_ ; -- Begin function _ZN2at6native12_GLOBAL__N_135GammaBetaBackwardCUDAKernelTemplateIddLj32ELj32ELj256ELb0ELb0ELb1EEEvllPKT_S5_PKT0_S8_PS3_S9_
	.p2align	8
	.type	_ZN2at6native12_GLOBAL__N_135GammaBetaBackwardCUDAKernelTemplateIddLj32ELj32ELj256ELb0ELb0ELb1EEEvllPKT_S5_PKT0_S8_PS3_S9_,@function
_ZN2at6native12_GLOBAL__N_135GammaBetaBackwardCUDAKernelTemplateIddLj32ELj32ELj256ELb0ELb0ELb1EEEvllPKT_S5_PKT0_S8_PS3_S9_: ; @_ZN2at6native12_GLOBAL__N_135GammaBetaBackwardCUDAKernelTemplateIddLj32ELj32ELj256ELb0ELb0ELb1EEEvllPKT_S5_PKT0_S8_PS3_S9_
; %bb.0:
	s_clause 0x1
	s_load_b256 s[4:11], s[0:1], 0x0
	s_load_b64 s[12:13], s[0:1], 0x28
	s_lshl_b32 s33, s14, 5
	s_mov_b32 s35, 0
	s_or_b32 s34, s33, 31
	s_waitcnt lgkmcnt(0)
	v_cmp_ge_i64_e64 s2, s[34:35], s[6:7]
	s_lshl_b32 s34, s15, 8
	s_delay_alu instid0(SALU_CYCLE_1) | instskip(NEXT) | instid1(VALU_DEP_2)
	v_cmp_lt_i64_e64 s15, s[34:35], s[4:5]
	s_and_b32 vcc_lo, exec_lo, s2
	s_delay_alu instid0(VALU_DEP_1) | instskip(NEXT) | instid1(VALU_DEP_1)
	v_cndmask_b32_e64 v1, 0, 1, s15
	v_cmp_ne_u32_e64 s2, 1, v1
	s_cbranch_vccz .LBB138_48
; %bb.1:
	v_mov_b32_e32 v51, 0
	v_mov_b32_e32 v52, 0
	s_delay_alu instid0(VALU_DEP_3)
	s_and_b32 vcc_lo, exec_lo, s2
	s_cbranch_vccnz .LBB138_49
; %bb.2:
	v_bfe_u32 v55, v0, 10, 10
	s_load_b32 s3, s[0:1], 0x44
	v_and_b32_e32 v57, 0x3ff, v0
	v_mov_b32_e32 v51, 0
	v_mov_b32_e32 v52, 0
	v_dual_mov_b32 v3, 0 :: v_dual_lshlrev_b32 v56, 3, v55
	s_delay_alu instid0(VALU_DEP_4) | instskip(SKIP_2) | instid1(VALU_DEP_2)
	v_add_nc_u32_e32 v2, s33, v57
	s_add_u32 s36, s0, 64
	s_addc_u32 s37, s1, 0
	v_add_co_u32 v8, s2, v56, s34
	s_delay_alu instid0(VALU_DEP_1) | instskip(SKIP_1) | instid1(VALU_DEP_3)
	v_add_co_ci_u32_e64 v9, null, 0, 0, s2
	v_cmp_gt_i64_e64 s2, s[6:7], v[2:3]
	v_add_co_u32 v1, vcc_lo, v8, 7
	s_delay_alu instid0(VALU_DEP_3) | instskip(SKIP_1) | instid1(VALU_DEP_3)
	v_add_co_ci_u32_e32 v4, vcc_lo, 0, v9, vcc_lo
	v_add_co_u32 v10, vcc_lo, v8, 6
	v_mul_lo_u32 v6, s7, v1
	s_delay_alu instid0(VALU_DEP_3)
	v_mul_lo_u32 v7, s6, v4
	v_mad_u64_u32 v[4:5], null, s6, v1, 0
	v_add_co_ci_u32_e32 v1, vcc_lo, 0, v9, vcc_lo
	v_lshlrev_b64 v[49:50], 3, v[2:3]
	s_waitcnt lgkmcnt(0)
	s_lshl_b32 s44, s3, 8
	s_mov_b32 s16, 0
	s_mul_i32 s3, s7, s44
	s_delay_alu instid0(VALU_DEP_3) | instskip(SKIP_3) | instid1(VALU_DEP_4)
	v_add3_u32 v5, v5, v7, v6
	v_mul_lo_u32 v6, s7, v10
	v_mul_lo_u32 v7, s6, v1
	v_mad_u64_u32 v[1:2], null, s6, v10, 0
	v_lshlrev_b64 v[4:5], 3, v[4:5]
	s_mul_hi_u32 s17, s6, s44
	s_mul_i32 s18, s6, s44
	s_add_i32 s19, s17, s3
	s_mov_b64 s[42:43], s[34:35]
	s_lshl_b64 s[38:39], s[18:19], 3
	v_add_co_u32 v58, vcc_lo, s8, v4
	v_add_co_ci_u32_e32 v59, vcc_lo, s9, v5, vcc_lo
	v_add3_u32 v2, v2, v7, v6
	v_add_co_u32 v6, vcc_lo, v8, 5
	v_add_co_u32 v60, s3, s10, v4
	v_add_co_ci_u32_e32 v4, vcc_lo, 0, v9, vcc_lo
	v_add_co_u32 v11, vcc_lo, v8, 4
	v_add_co_ci_u32_e64 v61, s3, s11, v5, s3
	v_mul_lo_u32 v10, s7, v6
	s_delay_alu instid0(VALU_DEP_4)
	v_mul_lo_u32 v12, s6, v4
	v_mad_u64_u32 v[4:5], null, s6, v6, 0
	v_add_co_ci_u32_e32 v7, vcc_lo, 0, v9, vcc_lo
	v_lshlrev_b64 v[1:2], 3, v[1:2]
	v_mul_lo_u32 v13, s7, v11
	s_add_u32 s40, s34, 0xff
	s_delay_alu instid0(VALU_DEP_3) | instskip(SKIP_1) | instid1(VALU_DEP_4)
	v_mul_lo_u32 v14, s6, v7
	v_mad_u64_u32 v[6:7], null, s6, v11, 0
	v_add_co_u32 v62, vcc_lo, s8, v1
	v_add3_u32 v5, v5, v12, v10
	v_add_co_ci_u32_e32 v63, vcc_lo, s9, v2, vcc_lo
	v_add_co_u32 v64, vcc_lo, s10, v1
	v_add_co_ci_u32_e32 v65, vcc_lo, s11, v2, vcc_lo
	s_delay_alu instid0(VALU_DEP_4) | instskip(SKIP_3) | instid1(VALU_DEP_4)
	v_lshlrev_b64 v[1:2], 3, v[4:5]
	v_add3_u32 v7, v7, v14, v13
	v_add_co_u32 v10, vcc_lo, v8, 3
	v_add_co_ci_u32_e32 v11, vcc_lo, 0, v9, vcc_lo
	v_add_co_u32 v66, vcc_lo, s8, v1
	s_delay_alu instid0(VALU_DEP_4)
	v_lshlrev_b64 v[4:5], 3, v[6:7]
	v_add_co_ci_u32_e32 v67, vcc_lo, s9, v2, vcc_lo
	v_mul_lo_u32 v12, s7, v10
	v_mul_lo_u32 v11, s6, v11
	v_mad_u64_u32 v[6:7], null, s6, v10, 0
	v_add_co_u32 v68, vcc_lo, s10, v1
	v_add_co_ci_u32_e32 v69, vcc_lo, s11, v2, vcc_lo
	v_add_co_u32 v70, vcc_lo, s8, v4
	v_add_co_ci_u32_e32 v71, vcc_lo, s9, v5, vcc_lo
	v_add_co_u32 v10, vcc_lo, v8, 2
	v_add3_u32 v7, v7, v11, v12
	v_add_co_ci_u32_e32 v11, vcc_lo, 0, v9, vcc_lo
	v_add_co_u32 v72, vcc_lo, s10, v4
	v_add_co_ci_u32_e32 v73, vcc_lo, s11, v5, vcc_lo
	v_mul_lo_u32 v12, s7, v10
	s_delay_alu instid0(VALU_DEP_4)
	v_mul_lo_u32 v11, s6, v11
	v_mad_u64_u32 v[4:5], null, s6, v10, 0
	v_lshlrev_b64 v[1:2], 3, v[6:7]
	v_mul_lo_u32 v10, s7, v8
	v_mul_lo_u32 v9, s6, v9
	v_mad_u64_u32 v[6:7], null, s6, v8, 0
	s_addc_u32 s41, 0, 0
	s_delay_alu instid0(VALU_DEP_4)
	v_add_co_u32 v74, vcc_lo, s8, v1
	v_add3_u32 v5, v5, v11, v12
	v_add_co_ci_u32_e32 v75, vcc_lo, s9, v2, vcc_lo
	v_add_co_u32 v76, vcc_lo, s10, v1
	v_add3_u32 v7, v7, v9, v10
	v_add_co_ci_u32_e32 v77, vcc_lo, s11, v2, vcc_lo
	v_lshlrev_b64 v[1:2], 3, v[4:5]
	v_add_co_u32 v4, vcc_lo, v6, s6
	s_delay_alu instid0(VALU_DEP_4) | instskip(NEXT) | instid1(VALU_DEP_3)
	v_add_co_ci_u32_e32 v5, vcc_lo, s7, v7, vcc_lo
	v_add_co_u32 v78, vcc_lo, s8, v1
	s_delay_alu instid0(VALU_DEP_2) | instskip(SKIP_3) | instid1(VALU_DEP_4)
	v_lshlrev_b64 v[4:5], 3, v[4:5]
	v_add_co_ci_u32_e32 v79, vcc_lo, s9, v2, vcc_lo
	v_add_co_u32 v80, vcc_lo, s10, v1
	v_add_co_ci_u32_e32 v81, vcc_lo, s11, v2, vcc_lo
	v_add_co_u32 v82, vcc_lo, s8, v4
	v_lshlrev_b64 v[1:2], 3, v[6:7]
	v_add_co_ci_u32_e32 v83, vcc_lo, s9, v5, vcc_lo
	v_add_co_u32 v84, vcc_lo, s10, v4
	v_add_co_ci_u32_e32 v85, vcc_lo, s11, v5, vcc_lo
	s_delay_alu instid0(VALU_DEP_4)
	v_add_co_u32 v86, vcc_lo, s8, v1
	v_add_co_ci_u32_e32 v87, vcc_lo, s9, v2, vcc_lo
	v_add_co_u32 v88, vcc_lo, s10, v1
	v_add_co_ci_u32_e32 v89, vcc_lo, s11, v2, vcc_lo
	s_branch .LBB138_5
.LBB138_3:                              ;   in Loop: Header=BB138_5 Depth=1
	s_or_b32 exec_lo, exec_lo, s3
	s_waitcnt vmcnt(0)
	v_mul_f64 v[1:2], v[17:18], v[33:34]
	ds_bpermute_b32 v4, v3, v53
	ds_bpermute_b32 v5, v3, v54
	v_mul_f64 v[6:7], v[19:20], v[35:36]
	v_mul_f64 v[8:9], v[21:22], v[37:38]
	s_waitcnt lgkmcnt(0)
	v_fma_f64 v[1:2], v[1:2], v[4:5], v[51:52]
	ds_bpermute_b32 v4, v3, v53 offset:4
	ds_bpermute_b32 v5, v3, v54 offset:4
	s_waitcnt lgkmcnt(0)
	v_fma_f64 v[1:2], v[6:7], v[4:5], v[1:2]
	ds_bpermute_b32 v4, v3, v53 offset:8
	ds_bpermute_b32 v5, v3, v54 offset:8
	v_mul_f64 v[6:7], v[23:24], v[39:40]
	s_waitcnt lgkmcnt(0)
	v_fma_f64 v[1:2], v[8:9], v[4:5], v[1:2]
	ds_bpermute_b32 v4, v3, v53 offset:12
	ds_bpermute_b32 v5, v3, v54 offset:12
	v_mul_f64 v[8:9], v[25:26], v[41:42]
	;; [unrolled: 5-line block ×3, first 2 shown]
	s_waitcnt lgkmcnt(0)
	v_fma_f64 v[1:2], v[8:9], v[4:5], v[1:2]
	ds_bpermute_b32 v4, v3, v53 offset:20
	ds_bpermute_b32 v5, v3, v54 offset:20
	s_waitcnt lgkmcnt(0)
	v_fma_f64 v[1:2], v[6:7], v[4:5], v[1:2]
	v_mul_f64 v[4:5], v[29:30], v[45:46]
	ds_bpermute_b32 v6, v3, v53 offset:24
	ds_bpermute_b32 v7, v3, v54 offset:24
	s_waitcnt lgkmcnt(0)
	v_fma_f64 v[1:2], v[4:5], v[6:7], v[1:2]
	ds_bpermute_b32 v4, v3, v53 offset:28
	ds_bpermute_b32 v5, v3, v54 offset:28
.LBB138_4:                              ;   in Loop: Header=BB138_5 Depth=1
	v_mul_f64 v[6:7], v[47:48], v[31:32]
	v_add_co_u32 v58, vcc_lo, v58, s38
	v_add_co_ci_u32_e32 v59, vcc_lo, s39, v59, vcc_lo
	v_add_co_u32 v60, vcc_lo, v60, s38
	v_add_co_ci_u32_e32 v61, vcc_lo, s39, v61, vcc_lo
	;; [unrolled: 2-line block ×9, first 2 shown]
	v_add_co_u32 v76, vcc_lo, v76, s38
	s_waitcnt lgkmcnt(0)
	v_fma_f64 v[51:52], v[6:7], v[4:5], v[1:2]
	v_add_co_ci_u32_e32 v77, vcc_lo, s39, v77, vcc_lo
	v_add_co_u32 v78, vcc_lo, v78, s38
	v_add_co_ci_u32_e32 v79, vcc_lo, s39, v79, vcc_lo
	v_add_co_u32 v80, vcc_lo, v80, s38
	;; [unrolled: 2-line block ×4, first 2 shown]
	s_add_u32 s42, s42, s44
	v_add_co_ci_u32_e32 v85, vcc_lo, s39, v85, vcc_lo
	s_addc_u32 s43, s43, 0
	v_add_co_u32 v86, vcc_lo, v86, s38
	v_cmp_lt_i64_e64 s3, s[42:43], s[4:5]
	v_add_co_ci_u32_e32 v87, vcc_lo, s39, v87, vcc_lo
	v_add_co_u32 v88, vcc_lo, v88, s38
	v_add_co_ci_u32_e32 v89, vcc_lo, s39, v89, vcc_lo
	s_add_u32 s40, s40, s44
	s_addc_u32 s41, s41, 0
	s_and_b32 vcc_lo, exec_lo, s3
	s_cbranch_vccz .LBB138_49
.LBB138_5:                              ; =>This Inner Loop Header: Depth=1
	v_cmp_ge_i64_e64 s3, s[40:41], s[4:5]
	v_add_co_u32 v90, s17, v56, s40
	s_delay_alu instid0(VALU_DEP_1) | instskip(NEXT) | instid1(VALU_DEP_3)
	v_add_co_ci_u32_e64 v91, null, 0, s41, s17
	s_and_b32 vcc_lo, exec_lo, s3
	s_cbranch_vccz .LBB138_27
; %bb.6:                                ;   in Loop: Header=BB138_5 Depth=1
	s_load_b32 s3, s[36:37], 0xc
	v_mov_b32_e32 v53, 0
	v_mov_b32_e32 v54, 0
	s_waitcnt lgkmcnt(0)
	s_and_b32 s3, s3, 0xffff
	s_delay_alu instid0(SALU_CYCLE_1) | instskip(SKIP_1) | instid1(VALU_DEP_1)
	v_mad_u32_u24 v1, v55, s3, v57
	s_mov_b32 s3, exec_lo
	v_and_b32_e32 v1, 31, v1
	s_delay_alu instid0(VALU_DEP_1)
	v_cmpx_gt_u32_e32 8, v1
	s_cbranch_execz .LBB138_10
; %bb.7:                                ;   in Loop: Header=BB138_5 Depth=1
	v_add_co_u32 v1, vcc_lo, v90, v1
	v_add_co_ci_u32_e32 v2, vcc_lo, 0, v91, vcc_lo
	v_mov_b32_e32 v53, 0
	s_delay_alu instid0(VALU_DEP_3) | instskip(NEXT) | instid1(VALU_DEP_3)
	v_add_co_u32 v1, vcc_lo, 0xffffff01, v1
	v_add_co_ci_u32_e32 v2, vcc_lo, -1, v2, vcc_lo
	v_mov_b32_e32 v54, 0
	s_mov_b32 s17, exec_lo
	s_delay_alu instid0(VALU_DEP_2)
	v_cmpx_gt_i64_e64 s[4:5], v[1:2]
	s_cbranch_execz .LBB138_9
; %bb.8:                                ;   in Loop: Header=BB138_5 Depth=1
	v_lshlrev_b64 v[1:2], 3, v[1:2]
	s_delay_alu instid0(VALU_DEP_1) | instskip(NEXT) | instid1(VALU_DEP_2)
	v_add_co_u32 v1, vcc_lo, s12, v1
	v_add_co_ci_u32_e32 v2, vcc_lo, s13, v2, vcc_lo
	global_load_b64 v[53:54], v[1:2], off
.LBB138_9:                              ;   in Loop: Header=BB138_5 Depth=1
	s_or_b32 exec_lo, exec_lo, s17
.LBB138_10:                             ;   in Loop: Header=BB138_5 Depth=1
	s_delay_alu instid0(SALU_CYCLE_1)
	s_or_b32 exec_lo, exec_lo, s3
	v_add_co_u32 v1, vcc_lo, 0xffffff01, v90
	s_mov_b32 s31, s16
	v_add_co_ci_u32_e32 v2, vcc_lo, -1, v91, vcc_lo
	s_mov_b32 s17, s16
	s_mov_b32 s18, s16
	;; [unrolled: 1-line block ×14, first 2 shown]
	s_delay_alu instid0(SALU_CYCLE_1)
	v_dual_mov_b32 v32, s31 :: v_dual_mov_b32 v31, s30
	v_dual_mov_b32 v30, s29 :: v_dual_mov_b32 v29, s28
	;; [unrolled: 1-line block ×8, first 2 shown]
	v_cmp_gt_i64_e32 vcc_lo, s[4:5], v[1:2]
	v_dual_mov_b32 v48, v32 :: v_dual_mov_b32 v47, v31
	v_dual_mov_b32 v46, v30 :: v_dual_mov_b32 v45, v29
	;; [unrolled: 1-line block ×8, first 2 shown]
	s_and_b32 s17, s2, vcc_lo
	s_delay_alu instid0(SALU_CYCLE_1)
	s_and_saveexec_b32 s3, s17
	s_cbranch_execz .LBB138_12
; %bb.11:                               ;   in Loop: Header=BB138_5 Depth=1
	v_add_co_u32 v1, vcc_lo, v86, v49
	v_add_co_ci_u32_e32 v2, vcc_lo, v87, v50, vcc_lo
	v_add_co_u32 v4, vcc_lo, v88, v49
	v_add_co_ci_u32_e32 v5, vcc_lo, v89, v50, vcc_lo
	global_load_b64 v[1:2], v[1:2], off
	v_mov_b32_e32 v16, v3
	v_mov_b32_e32 v6, v3
	global_load_b64 v[17:18], v[4:5], off
	v_mov_b32_e32 v4, v3
	v_mov_b32_e32 v5, v3
	;; [unrolled: 1-line block ×11, first 2 shown]
	s_waitcnt vmcnt(1)
	v_dual_mov_b32 v19, v3 :: v_dual_mov_b32 v48, v16
	v_dual_mov_b32 v20, v3 :: v_dual_mov_b32 v45, v13
	;; [unrolled: 1-line block ×7, first 2 shown]
	v_mov_b32_e32 v26, v3
	v_dual_mov_b32 v27, v3 :: v_dual_mov_b32 v40, v8
	v_mov_b32_e32 v28, v3
	v_dual_mov_b32 v29, v3 :: v_dual_mov_b32 v38, v6
	;; [unrolled: 2-line block ×3, first 2 shown]
	v_mov_b32_e32 v47, v15
	v_mov_b32_e32 v43, v11
	;; [unrolled: 1-line block ×5, first 2 shown]
	v_dual_mov_b32 v34, v2 :: v_dual_mov_b32 v33, v1
.LBB138_12:                             ;   in Loop: Header=BB138_5 Depth=1
	s_or_b32 exec_lo, exec_lo, s3
	v_add_co_u32 v1, vcc_lo, 0xffffff02, v90
	v_add_co_ci_u32_e32 v2, vcc_lo, -1, v91, vcc_lo
	s_delay_alu instid0(VALU_DEP_1) | instskip(SKIP_1) | instid1(SALU_CYCLE_1)
	v_cmp_gt_i64_e32 vcc_lo, s[4:5], v[1:2]
	s_and_b32 s17, s2, vcc_lo
	s_and_saveexec_b32 s3, s17
	s_cbranch_execz .LBB138_14
; %bb.13:                               ;   in Loop: Header=BB138_5 Depth=1
	v_add_co_u32 v1, vcc_lo, v82, v49
	v_add_co_ci_u32_e32 v2, vcc_lo, v83, v50, vcc_lo
	v_add_co_u32 v4, vcc_lo, v84, v49
	v_add_co_ci_u32_e32 v5, vcc_lo, v85, v50, vcc_lo
	global_load_b64 v[35:36], v[1:2], off
	global_load_b64 v[19:20], v[4:5], off
.LBB138_14:                             ;   in Loop: Header=BB138_5 Depth=1
	s_or_b32 exec_lo, exec_lo, s3
	v_add_co_u32 v1, vcc_lo, 0xffffff03, v90
	v_add_co_ci_u32_e32 v2, vcc_lo, -1, v91, vcc_lo
	s_delay_alu instid0(VALU_DEP_1) | instskip(SKIP_1) | instid1(SALU_CYCLE_1)
	v_cmp_gt_i64_e32 vcc_lo, s[4:5], v[1:2]
	s_and_b32 s17, s2, vcc_lo
	s_and_saveexec_b32 s3, s17
	s_cbranch_execz .LBB138_16
; %bb.15:                               ;   in Loop: Header=BB138_5 Depth=1
	v_add_co_u32 v1, vcc_lo, v78, v49
	v_add_co_ci_u32_e32 v2, vcc_lo, v79, v50, vcc_lo
	v_add_co_u32 v4, vcc_lo, v80, v49
	v_add_co_ci_u32_e32 v5, vcc_lo, v81, v50, vcc_lo
	global_load_b64 v[37:38], v[1:2], off
	global_load_b64 v[21:22], v[4:5], off
.LBB138_16:                             ;   in Loop: Header=BB138_5 Depth=1
	;; [unrolled: 16-line block ×7, first 2 shown]
	s_or_b32 exec_lo, exec_lo, s3
	s_waitcnt vmcnt(0)
	v_mul_f64 v[1:2], v[17:18], v[33:34]
	ds_bpermute_b32 v4, v3, v53
	ds_bpermute_b32 v5, v3, v54
	v_mul_f64 v[6:7], v[19:20], v[35:36]
	v_mul_f64 v[8:9], v[21:22], v[37:38]
	s_waitcnt lgkmcnt(0)
	v_fma_f64 v[1:2], v[1:2], v[4:5], v[51:52]
	ds_bpermute_b32 v4, v3, v53 offset:4
	ds_bpermute_b32 v5, v3, v54 offset:4
	s_waitcnt lgkmcnt(0)
	v_fma_f64 v[1:2], v[6:7], v[4:5], v[1:2]
	ds_bpermute_b32 v4, v3, v53 offset:8
	ds_bpermute_b32 v5, v3, v54 offset:8
	v_mul_f64 v[6:7], v[23:24], v[39:40]
	s_waitcnt lgkmcnt(0)
	v_fma_f64 v[1:2], v[8:9], v[4:5], v[1:2]
	ds_bpermute_b32 v4, v3, v53 offset:12
	ds_bpermute_b32 v5, v3, v54 offset:12
	v_mul_f64 v[8:9], v[25:26], v[41:42]
	;; [unrolled: 5-line block ×3, first 2 shown]
	s_waitcnt lgkmcnt(0)
	v_fma_f64 v[1:2], v[8:9], v[4:5], v[1:2]
	ds_bpermute_b32 v4, v3, v53 offset:20
	ds_bpermute_b32 v5, v3, v54 offset:20
	s_waitcnt lgkmcnt(0)
	v_fma_f64 v[1:2], v[6:7], v[4:5], v[1:2]
	v_mul_f64 v[4:5], v[29:30], v[45:46]
	ds_bpermute_b32 v6, v3, v53 offset:24
	ds_bpermute_b32 v7, v3, v54 offset:24
	s_waitcnt lgkmcnt(0)
	v_fma_f64 v[1:2], v[4:5], v[6:7], v[1:2]
	ds_bpermute_b32 v4, v3, v53 offset:28
	ds_bpermute_b32 v5, v3, v54 offset:28
	s_branch .LBB138_4
.LBB138_27:                             ;   in Loop: Header=BB138_5 Depth=1
                                        ; implicit-def: $vgpr1_vgpr2
                                        ; implicit-def: $vgpr17_vgpr18_vgpr19_vgpr20_vgpr21_vgpr22_vgpr23_vgpr24_vgpr25_vgpr26_vgpr27_vgpr28_vgpr29_vgpr30_vgpr31_vgpr32
                                        ; implicit-def: $vgpr33_vgpr34_vgpr35_vgpr36_vgpr37_vgpr38_vgpr39_vgpr40_vgpr41_vgpr42_vgpr43_vgpr44_vgpr45_vgpr46_vgpr47_vgpr48
                                        ; implicit-def: $vgpr4
	s_cbranch_execz .LBB138_4
; %bb.28:                               ;   in Loop: Header=BB138_5 Depth=1
	s_load_b32 s3, s[36:37], 0x0
	v_mov_b32_e32 v53, 0
	v_mov_b32_e32 v54, 0
	s_waitcnt lgkmcnt(0)
	s_cmp_lt_u32 s14, s3
	s_cselect_b32 s3, 12, 18
	s_delay_alu instid0(SALU_CYCLE_1)
	s_add_u32 s18, s36, s3
	s_addc_u32 s19, s37, 0
	s_mov_b32 s3, exec_lo
	global_load_u16 v1, v3, s[18:19]
	s_waitcnt vmcnt(0)
	v_mad_u32_u24 v1, v55, v1, v57
	s_delay_alu instid0(VALU_DEP_1) | instskip(NEXT) | instid1(VALU_DEP_1)
	v_and_b32_e32 v1, 31, v1
	v_cmpx_gt_u32_e32 8, v1
	s_cbranch_execz .LBB138_32
; %bb.29:                               ;   in Loop: Header=BB138_5 Depth=1
	v_add_co_u32 v1, vcc_lo, v90, v1
	v_add_co_ci_u32_e32 v2, vcc_lo, 0, v91, vcc_lo
	v_mov_b32_e32 v53, 0
	s_delay_alu instid0(VALU_DEP_3) | instskip(NEXT) | instid1(VALU_DEP_3)
	v_add_co_u32 v1, vcc_lo, 0xffffff01, v1
	v_add_co_ci_u32_e32 v2, vcc_lo, -1, v2, vcc_lo
	v_mov_b32_e32 v54, 0
	s_mov_b32 s17, exec_lo
	s_delay_alu instid0(VALU_DEP_2)
	v_cmpx_gt_i64_e64 s[4:5], v[1:2]
	s_cbranch_execz .LBB138_31
; %bb.30:                               ;   in Loop: Header=BB138_5 Depth=1
	v_lshlrev_b64 v[1:2], 3, v[1:2]
	s_delay_alu instid0(VALU_DEP_1) | instskip(NEXT) | instid1(VALU_DEP_2)
	v_add_co_u32 v1, vcc_lo, s12, v1
	v_add_co_ci_u32_e32 v2, vcc_lo, s13, v2, vcc_lo
	global_load_b64 v[53:54], v[1:2], off
.LBB138_31:                             ;   in Loop: Header=BB138_5 Depth=1
	s_or_b32 exec_lo, exec_lo, s17
.LBB138_32:                             ;   in Loop: Header=BB138_5 Depth=1
	s_delay_alu instid0(SALU_CYCLE_1)
	s_or_b32 exec_lo, exec_lo, s3
	s_mov_b32 s31, s16
	s_mov_b32 s17, s16
	;; [unrolled: 1-line block ×15, first 2 shown]
	s_delay_alu instid0(SALU_CYCLE_1)
	v_dual_mov_b32 v32, s31 :: v_dual_mov_b32 v31, s30
	v_dual_mov_b32 v30, s29 :: v_dual_mov_b32 v29, s28
	;; [unrolled: 1-line block ×16, first 2 shown]
	s_and_saveexec_b32 s3, s2
	s_cbranch_execnz .LBB138_40
; %bb.33:                               ;   in Loop: Header=BB138_5 Depth=1
	s_or_b32 exec_lo, exec_lo, s3
	s_and_saveexec_b32 s3, s2
	s_cbranch_execnz .LBB138_41
.LBB138_34:                             ;   in Loop: Header=BB138_5 Depth=1
	s_or_b32 exec_lo, exec_lo, s3
	s_and_saveexec_b32 s3, s2
	s_cbranch_execnz .LBB138_42
.LBB138_35:                             ;   in Loop: Header=BB138_5 Depth=1
	s_or_b32 exec_lo, exec_lo, s3
	s_and_saveexec_b32 s3, s2
	s_cbranch_execnz .LBB138_43
.LBB138_36:                             ;   in Loop: Header=BB138_5 Depth=1
	s_or_b32 exec_lo, exec_lo, s3
	s_and_saveexec_b32 s3, s2
	s_cbranch_execnz .LBB138_44
.LBB138_37:                             ;   in Loop: Header=BB138_5 Depth=1
	s_or_b32 exec_lo, exec_lo, s3
	s_and_saveexec_b32 s3, s2
	s_cbranch_execnz .LBB138_45
.LBB138_38:                             ;   in Loop: Header=BB138_5 Depth=1
	s_or_b32 exec_lo, exec_lo, s3
	s_and_saveexec_b32 s3, s2
	s_cbranch_execnz .LBB138_46
.LBB138_39:                             ;   in Loop: Header=BB138_5 Depth=1
	s_or_b32 exec_lo, exec_lo, s3
	s_and_saveexec_b32 s3, s2
	s_cbranch_execz .LBB138_3
	s_branch .LBB138_47
.LBB138_40:                             ;   in Loop: Header=BB138_5 Depth=1
	v_add_co_u32 v1, vcc_lo, v86, v49
	v_add_co_ci_u32_e32 v2, vcc_lo, v87, v50, vcc_lo
	v_add_co_u32 v4, vcc_lo, v88, v49
	v_add_co_ci_u32_e32 v5, vcc_lo, v89, v50, vcc_lo
	global_load_b64 v[1:2], v[1:2], off
	v_mov_b32_e32 v16, v3
	v_mov_b32_e32 v6, v3
	global_load_b64 v[17:18], v[4:5], off
	v_mov_b32_e32 v4, v3
	v_mov_b32_e32 v5, v3
	;; [unrolled: 1-line block ×11, first 2 shown]
	s_waitcnt vmcnt(1)
	v_dual_mov_b32 v19, v3 :: v_dual_mov_b32 v48, v16
	v_dual_mov_b32 v20, v3 :: v_dual_mov_b32 v45, v13
	;; [unrolled: 1-line block ×7, first 2 shown]
	v_mov_b32_e32 v26, v3
	v_dual_mov_b32 v27, v3 :: v_dual_mov_b32 v40, v8
	v_mov_b32_e32 v28, v3
	v_dual_mov_b32 v29, v3 :: v_dual_mov_b32 v38, v6
	;; [unrolled: 2-line block ×3, first 2 shown]
	v_mov_b32_e32 v47, v15
	v_mov_b32_e32 v43, v11
	;; [unrolled: 1-line block ×5, first 2 shown]
	v_dual_mov_b32 v34, v2 :: v_dual_mov_b32 v33, v1
	s_or_b32 exec_lo, exec_lo, s3
	s_and_saveexec_b32 s3, s2
	s_cbranch_execz .LBB138_34
.LBB138_41:                             ;   in Loop: Header=BB138_5 Depth=1
	v_add_co_u32 v1, vcc_lo, v82, v49
	v_add_co_ci_u32_e32 v2, vcc_lo, v83, v50, vcc_lo
	v_add_co_u32 v4, vcc_lo, v84, v49
	v_add_co_ci_u32_e32 v5, vcc_lo, v85, v50, vcc_lo
	global_load_b64 v[35:36], v[1:2], off
	global_load_b64 v[19:20], v[4:5], off
	s_or_b32 exec_lo, exec_lo, s3
	s_and_saveexec_b32 s3, s2
	s_cbranch_execz .LBB138_35
.LBB138_42:                             ;   in Loop: Header=BB138_5 Depth=1
	v_add_co_u32 v1, vcc_lo, v78, v49
	v_add_co_ci_u32_e32 v2, vcc_lo, v79, v50, vcc_lo
	v_add_co_u32 v4, vcc_lo, v80, v49
	v_add_co_ci_u32_e32 v5, vcc_lo, v81, v50, vcc_lo
	global_load_b64 v[37:38], v[1:2], off
	global_load_b64 v[21:22], v[4:5], off
	s_or_b32 exec_lo, exec_lo, s3
	s_and_saveexec_b32 s3, s2
	s_cbranch_execz .LBB138_36
.LBB138_43:                             ;   in Loop: Header=BB138_5 Depth=1
	v_add_co_u32 v1, vcc_lo, v74, v49
	v_add_co_ci_u32_e32 v2, vcc_lo, v75, v50, vcc_lo
	v_add_co_u32 v4, vcc_lo, v76, v49
	v_add_co_ci_u32_e32 v5, vcc_lo, v77, v50, vcc_lo
	global_load_b64 v[39:40], v[1:2], off
	global_load_b64 v[23:24], v[4:5], off
	s_or_b32 exec_lo, exec_lo, s3
	s_and_saveexec_b32 s3, s2
	s_cbranch_execz .LBB138_37
.LBB138_44:                             ;   in Loop: Header=BB138_5 Depth=1
	v_add_co_u32 v1, vcc_lo, v70, v49
	v_add_co_ci_u32_e32 v2, vcc_lo, v71, v50, vcc_lo
	v_add_co_u32 v4, vcc_lo, v72, v49
	v_add_co_ci_u32_e32 v5, vcc_lo, v73, v50, vcc_lo
	global_load_b64 v[41:42], v[1:2], off
	global_load_b64 v[25:26], v[4:5], off
	s_or_b32 exec_lo, exec_lo, s3
	s_and_saveexec_b32 s3, s2
	s_cbranch_execz .LBB138_38
.LBB138_45:                             ;   in Loop: Header=BB138_5 Depth=1
	v_add_co_u32 v1, vcc_lo, v66, v49
	v_add_co_ci_u32_e32 v2, vcc_lo, v67, v50, vcc_lo
	v_add_co_u32 v4, vcc_lo, v68, v49
	v_add_co_ci_u32_e32 v5, vcc_lo, v69, v50, vcc_lo
	global_load_b64 v[43:44], v[1:2], off
	global_load_b64 v[27:28], v[4:5], off
	s_or_b32 exec_lo, exec_lo, s3
	s_and_saveexec_b32 s3, s2
	s_cbranch_execz .LBB138_39
.LBB138_46:                             ;   in Loop: Header=BB138_5 Depth=1
	v_add_co_u32 v1, vcc_lo, v62, v49
	v_add_co_ci_u32_e32 v2, vcc_lo, v63, v50, vcc_lo
	v_add_co_u32 v4, vcc_lo, v64, v49
	v_add_co_ci_u32_e32 v5, vcc_lo, v65, v50, vcc_lo
	global_load_b64 v[45:46], v[1:2], off
	global_load_b64 v[29:30], v[4:5], off
	s_or_b32 exec_lo, exec_lo, s3
	s_and_saveexec_b32 s3, s2
	s_cbranch_execz .LBB138_3
.LBB138_47:                             ;   in Loop: Header=BB138_5 Depth=1
	v_add_co_u32 v1, vcc_lo, v58, v49
	v_add_co_ci_u32_e32 v2, vcc_lo, v59, v50, vcc_lo
	v_add_co_u32 v4, vcc_lo, v60, v49
	v_add_co_ci_u32_e32 v5, vcc_lo, v61, v50, vcc_lo
	global_load_b64 v[47:48], v[1:2], off
	global_load_b64 v[31:32], v[4:5], off
	s_branch .LBB138_3
.LBB138_48:
                                        ; implicit-def: $vgpr51_vgpr52
	s_branch .LBB138_50
.LBB138_49:
	s_cbranch_execnz .LBB138_82
.LBB138_50:
	v_mov_b32_e32 v51, 0
	v_mov_b32_e32 v52, 0
	s_and_not1_b32 vcc_lo, exec_lo, s15
	s_cbranch_vccnz .LBB138_82
; %bb.51:
	s_load_b32 s2, s[0:1], 0x44
	v_bfe_u32 v84, v0, 10, 10
	v_and_b32_e32 v83, 0x3ff, v0
	s_add_u32 s36, s0, 64
	s_addc_u32 s37, s1, 0
	v_mov_b32_e32 v81, 0
	v_dual_mov_b32 v82, 0 :: v_dual_lshlrev_b32 v1, 6, v84
	v_dual_mov_b32 v3, 0 :: v_dual_add_nc_u32 v2, s33, v83
	v_lshlrev_b32_e32 v85, 3, v84
	s_delay_alu instid0(VALU_DEP_2)
	v_lshlrev_b64 v[49:50], 3, v[2:3]
	s_waitcnt lgkmcnt(0)
	s_lshl_b32 s15, s2, 8
	s_add_u32 s38, s34, 0xff
	s_addc_u32 s39, 0, 0
	s_lshl_b64 s[2:3], s[34:35], 3
	s_mul_i32 s16, s7, s15
	v_add_co_u32 v1, s2, v1, s2
	s_delay_alu instid0(VALU_DEP_1) | instskip(SKIP_1) | instid1(VALU_DEP_3)
	v_add_co_ci_u32_e64 v2, null, 0, s3, s2
	v_add_co_u32 v24, s3, v85, s34
	v_add_co_u32 v6, vcc_lo, v1, 8
	s_delay_alu instid0(VALU_DEP_3) | instskip(SKIP_3) | instid1(VALU_DEP_4)
	v_add_co_ci_u32_e32 v4, vcc_lo, 0, v2, vcc_lo
	v_add_co_u32 v7, vcc_lo, v1, 16
	v_add_co_ci_u32_e32 v5, vcc_lo, 0, v2, vcc_lo
	v_add_co_u32 v10, vcc_lo, v1, 24
	v_mul_lo_u32 v8, s6, v4
	v_add_co_ci_u32_e32 v4, vcc_lo, 0, v2, vcc_lo
	v_add_co_u32 v13, vcc_lo, v1, 32
	v_mul_lo_u32 v11, s6, v5
	;; [unrolled: 3-line block ×4, first 2 shown]
	v_add_co_ci_u32_e32 v5, vcc_lo, 0, v2, vcc_lo
	v_add_co_ci_u32_e64 v25, null, 0, 0, s3
	v_add_co_u32 v26, vcc_lo, v1, 56
	v_mul_lo_u32 v20, s6, v4
	s_delay_alu instid0(VALU_DEP_4) | instskip(SKIP_4) | instid1(VALU_DEP_4)
	v_mul_lo_u32 v22, s6, v5
	v_add_co_ci_u32_e32 v4, vcc_lo, 0, v2, vcc_lo
	v_mul_lo_u32 v5, s7, v24
	v_mul_lo_u32 v27, s6, v25
	v_mad_u64_u32 v[1:2], null, s6, v24, 0
	v_mul_lo_u32 v28, s6, v4
	v_mad_u64_u32 v[53:54], null, s6, v6, s[8:9]
	;; [unrolled: 2-line block ×3, first 2 shown]
	v_add3_u32 v2, v2, v27, v5
	v_mad_u64_u32 v[55:56], null, s6, v7, s[8:9]
	v_mul_lo_u32 v12, s7, v7
	v_mad_u64_u32 v[69:70], null, s6, v7, s[10:11]
	s_delay_alu instid0(VALU_DEP_4)
	v_lshlrev_b64 v[4:5], 3, v[1:2]
	v_add3_u32 v54, v9, v54, v8
	v_add3_u32 v68, v9, v68, v8
	v_mad_u64_u32 v[57:58], null, s6, v10, s[8:9]
	v_mul_lo_u32 v15, s7, v10
	v_add_co_u32 v86, vcc_lo, s8, v4
	v_add_co_ci_u32_e32 v87, vcc_lo, s9, v5, vcc_lo
	v_add_co_u32 v8, vcc_lo, v24, 7
	v_add_co_ci_u32_e32 v6, vcc_lo, 0, v25, vcc_lo
	v_mad_u64_u32 v[71:72], null, s6, v10, s[10:11]
	v_add3_u32 v56, v12, v56, v11
	v_add3_u32 v70, v12, v70, v11
	v_add_co_u32 v12, vcc_lo, v24, 6
	v_mul_lo_u32 v10, s7, v8
	v_mul_lo_u32 v11, s6, v6
	v_mad_u64_u32 v[6:7], null, s6, v8, 0
	v_add_co_ci_u32_e32 v9, vcc_lo, 0, v25, vcc_lo
	v_mad_u64_u32 v[59:60], null, s6, v13, s[8:9]
	v_mul_lo_u32 v18, s7, v13
	v_add3_u32 v58, v15, v58, v14
	v_mad_u64_u32 v[73:74], null, s6, v13, s[10:11]
	v_add3_u32 v72, v15, v72, v14
	v_mul_lo_u32 v13, s7, v12
	v_mul_lo_u32 v14, s6, v9
	v_mad_u64_u32 v[8:9], null, s6, v12, 0
	v_add3_u32 v7, v7, v11, v10
	v_add_co_u32 v88, vcc_lo, s10, v4
	v_add_co_ci_u32_e32 v89, vcc_lo, s11, v5, vcc_lo
	s_delay_alu instid0(VALU_DEP_3) | instskip(SKIP_3) | instid1(VALU_DEP_4)
	v_lshlrev_b64 v[4:5], 3, v[6:7]
	v_add3_u32 v9, v9, v14, v13
	v_add_co_u32 v10, vcc_lo, v24, 5
	v_add_co_ci_u32_e32 v11, vcc_lo, 0, v25, vcc_lo
	v_add_co_u32 v90, vcc_lo, s8, v4
	s_delay_alu instid0(VALU_DEP_4)
	v_lshlrev_b64 v[6:7], 3, v[8:9]
	v_add_co_ci_u32_e32 v91, vcc_lo, s9, v5, vcc_lo
	v_mul_lo_u32 v12, s7, v10
	v_mul_lo_u32 v11, s6, v11
	v_mad_u64_u32 v[8:9], null, s6, v10, 0
	v_add_co_u32 v92, vcc_lo, s10, v4
	v_add_co_ci_u32_e32 v93, vcc_lo, s11, v5, vcc_lo
	v_add_co_u32 v94, vcc_lo, s8, v6
	v_add_co_ci_u32_e32 v95, vcc_lo, s9, v7, vcc_lo
	s_mul_hi_u32 s2, s6, s15
	v_add_co_u32 v10, vcc_lo, v24, 4
	v_add3_u32 v9, v9, v11, v12
	s_add_i32 s3, s2, s16
	v_add_co_u32 v96, s2, s10, v6
	v_add_co_ci_u32_e32 v6, vcc_lo, 0, v25, vcc_lo
	v_add_co_u32 v12, vcc_lo, v24, 3
	v_lshlrev_b64 v[4:5], 3, v[8:9]
	v_add_co_ci_u32_e32 v8, vcc_lo, 0, v25, vcc_lo
	v_add_co_ci_u32_e64 v97, s2, s11, v7, s2
	v_mul_lo_u32 v11, s7, v10
	v_mul_lo_u32 v13, s6, v6
	v_mad_u64_u32 v[6:7], null, s6, v10, 0
	v_mul_lo_u32 v10, s7, v12
	v_mul_lo_u32 v14, s6, v8
	v_mad_u64_u32 v[8:9], null, s6, v12, 0
	v_add_co_u32 v98, vcc_lo, s8, v4
	v_add_co_ci_u32_e32 v99, vcc_lo, s9, v5, vcc_lo
	v_add3_u32 v7, v7, v13, v11
	v_add_co_u32 v100, vcc_lo, s10, v4
	v_add_co_ci_u32_e32 v101, vcc_lo, s11, v5, vcc_lo
	v_add3_u32 v9, v9, v14, v10
	v_add_co_u32 v10, vcc_lo, v24, 2
	v_lshlrev_b64 v[4:5], 3, v[6:7]
	v_add_co_ci_u32_e32 v11, vcc_lo, 0, v25, vcc_lo
	s_delay_alu instid0(VALU_DEP_4) | instskip(NEXT) | instid1(VALU_DEP_4)
	v_lshlrev_b64 v[6:7], 3, v[8:9]
	v_mul_lo_u32 v12, s7, v10
	v_mad_u64_u32 v[8:9], null, s6, v10, 0
	v_add_co_u32 v102, vcc_lo, s8, v4
	v_mul_lo_u32 v11, s6, v11
	v_add_co_ci_u32_e32 v103, vcc_lo, s9, v5, vcc_lo
	v_add_co_u32 v104, vcc_lo, s10, v4
	v_add_co_ci_u32_e32 v105, vcc_lo, s11, v5, vcc_lo
	v_add_co_u32 v106, vcc_lo, s8, v6
	v_add_co_ci_u32_e32 v107, vcc_lo, s9, v7, vcc_lo
	v_add3_u32 v9, v9, v11, v12
	v_add_co_u32 v108, vcc_lo, s10, v6
	v_add_co_ci_u32_e32 v109, vcc_lo, s11, v7, vcc_lo
	v_add_co_u32 v1, vcc_lo, v1, s6
	s_delay_alu instid0(VALU_DEP_4) | instskip(SKIP_3) | instid1(VALU_DEP_4)
	v_lshlrev_b64 v[4:5], 3, v[8:9]
	v_add_co_ci_u32_e32 v2, vcc_lo, s7, v2, vcc_lo
	v_mad_u64_u32 v[61:62], null, s6, v17, s[8:9]
	v_mul_lo_u32 v21, s7, v17
	v_add_co_u32 v110, vcc_lo, s8, v4
	s_delay_alu instid0(VALU_DEP_4)
	v_lshlrev_b64 v[1:2], 3, v[1:2]
	v_add_co_ci_u32_e32 v111, vcc_lo, s9, v5, vcc_lo
	v_mad_u64_u32 v[63:64], null, s6, v19, s[8:9]
	v_mul_lo_u32 v23, s7, v19
	v_mad_u64_u32 v[65:66], null, s6, v26, s[8:9]
	v_mul_lo_u32 v29, s7, v26
	v_mad_u64_u32 v[75:76], null, s6, v17, s[10:11]
	v_mad_u64_u32 v[77:78], null, s6, v19, s[10:11]
	;; [unrolled: 1-line block ×3, first 2 shown]
	v_add_co_u32 v112, vcc_lo, s10, v4
	v_add_co_ci_u32_e32 v113, vcc_lo, s11, v5, vcc_lo
	v_add_co_u32 v114, vcc_lo, s8, v1
	v_add_co_ci_u32_e32 v115, vcc_lo, s9, v2, vcc_lo
	v_add_co_u32 v116, vcc_lo, s10, v1
	v_add3_u32 v60, v18, v60, v16
	v_add3_u32 v62, v21, v62, v20
	;; [unrolled: 1-line block ×8, first 2 shown]
	v_add_co_ci_u32_e32 v117, vcc_lo, s11, v2, vcc_lo
	s_mul_i32 s2, s6, s15
	s_mov_b32 s16, 0
	s_lshl_b64 s[2:3], s[2:3], 3
.LBB138_52:                             ; =>This Inner Loop Header: Depth=1
	v_cmp_ge_i64_e64 s8, s[38:39], s[4:5]
	v_add_co_u32 v118, s9, v85, s38
	s_delay_alu instid0(VALU_DEP_1) | instskip(NEXT) | instid1(VALU_DEP_3)
	v_add_co_ci_u32_e64 v119, null, 0, s39, s9
	s_and_b32 vcc_lo, exec_lo, s8
	s_cbranch_vccz .LBB138_74
; %bb.53:                               ;   in Loop: Header=BB138_52 Depth=1
	s_load_b32 s8, s[36:37], 0xc
	v_mov_b32_e32 v51, 0
	v_mov_b32_e32 v52, 0
	s_waitcnt lgkmcnt(0)
	s_and_b32 s8, s8, 0xffff
	s_delay_alu instid0(SALU_CYCLE_1) | instskip(SKIP_1) | instid1(VALU_DEP_1)
	v_mad_u32_u24 v1, v84, s8, v83
	s_mov_b32 s8, exec_lo
	v_and_b32_e32 v1, 31, v1
	s_delay_alu instid0(VALU_DEP_1)
	v_cmpx_gt_u32_e32 8, v1
	s_cbranch_execz .LBB138_57
; %bb.54:                               ;   in Loop: Header=BB138_52 Depth=1
	v_add_co_u32 v1, vcc_lo, v118, v1
	v_add_co_ci_u32_e32 v2, vcc_lo, 0, v119, vcc_lo
	v_mov_b32_e32 v51, 0
	s_delay_alu instid0(VALU_DEP_3) | instskip(NEXT) | instid1(VALU_DEP_3)
	v_add_co_u32 v1, vcc_lo, 0xffffff01, v1
	v_add_co_ci_u32_e32 v2, vcc_lo, -1, v2, vcc_lo
	v_mov_b32_e32 v52, 0
	s_mov_b32 s9, exec_lo
	s_delay_alu instid0(VALU_DEP_2)
	v_cmpx_gt_i64_e64 s[4:5], v[1:2]
	s_cbranch_execz .LBB138_56
; %bb.55:                               ;   in Loop: Header=BB138_52 Depth=1
	v_lshlrev_b64 v[1:2], 3, v[1:2]
	s_delay_alu instid0(VALU_DEP_1) | instskip(NEXT) | instid1(VALU_DEP_2)
	v_add_co_u32 v1, vcc_lo, s12, v1
	v_add_co_ci_u32_e32 v2, vcc_lo, s13, v2, vcc_lo
	global_load_b64 v[51:52], v[1:2], off
.LBB138_56:                             ;   in Loop: Header=BB138_52 Depth=1
	s_or_b32 exec_lo, exec_lo, s9
.LBB138_57:                             ;   in Loop: Header=BB138_52 Depth=1
	s_delay_alu instid0(SALU_CYCLE_1)
	s_or_b32 exec_lo, exec_lo, s8
	s_mov_b32 s31, s16
	s_mov_b32 s17, s16
	;; [unrolled: 1-line block ×15, first 2 shown]
	s_delay_alu instid0(SALU_CYCLE_1)
	v_dual_mov_b32 v32, s31 :: v_dual_mov_b32 v31, s30
	v_dual_mov_b32 v30, s29 :: v_dual_mov_b32 v29, s28
	;; [unrolled: 1-line block ×8, first 2 shown]
	v_add_co_u32 v1, vcc_lo, 0xffffff01, v118
	v_dual_mov_b32 v48, v32 :: v_dual_mov_b32 v47, v31
	v_add_co_ci_u32_e32 v2, vcc_lo, -1, v119, vcc_lo
	v_dual_mov_b32 v46, v30 :: v_dual_mov_b32 v45, v29
	v_dual_mov_b32 v44, v28 :: v_dual_mov_b32 v43, v27
	;; [unrolled: 1-line block ×7, first 2 shown]
	s_mov_b32 s8, exec_lo
	v_cmpx_gt_i64_e64 s[4:5], v[1:2]
	s_cbranch_execz .LBB138_59
; %bb.58:                               ;   in Loop: Header=BB138_52 Depth=1
	v_add_co_u32 v1, vcc_lo, v86, v49
	v_add_co_ci_u32_e32 v2, vcc_lo, v87, v50, vcc_lo
	v_add_co_u32 v4, vcc_lo, v88, v49
	v_add_co_ci_u32_e32 v5, vcc_lo, v89, v50, vcc_lo
	global_load_b64 v[1:2], v[1:2], off
	v_mov_b32_e32 v16, v3
	v_mov_b32_e32 v6, v3
	global_load_b64 v[17:18], v[4:5], off
	v_mov_b32_e32 v4, v3
	v_mov_b32_e32 v5, v3
	;; [unrolled: 1-line block ×11, first 2 shown]
	s_waitcnt vmcnt(1)
	v_dual_mov_b32 v19, v3 :: v_dual_mov_b32 v48, v16
	v_dual_mov_b32 v20, v3 :: v_dual_mov_b32 v45, v13
	;; [unrolled: 1-line block ×7, first 2 shown]
	v_mov_b32_e32 v26, v3
	v_dual_mov_b32 v27, v3 :: v_dual_mov_b32 v40, v8
	v_mov_b32_e32 v28, v3
	v_dual_mov_b32 v29, v3 :: v_dual_mov_b32 v38, v6
	;; [unrolled: 2-line block ×3, first 2 shown]
	v_mov_b32_e32 v47, v15
	v_mov_b32_e32 v43, v11
	;; [unrolled: 1-line block ×5, first 2 shown]
	v_dual_mov_b32 v34, v2 :: v_dual_mov_b32 v33, v1
.LBB138_59:                             ;   in Loop: Header=BB138_52 Depth=1
	s_or_b32 exec_lo, exec_lo, s8
	v_add_co_u32 v1, vcc_lo, 0xffffff02, v118
	v_add_co_ci_u32_e32 v2, vcc_lo, -1, v119, vcc_lo
	s_mov_b32 s8, exec_lo
	s_delay_alu instid0(VALU_DEP_1)
	v_cmpx_gt_i64_e64 s[4:5], v[1:2]
	s_cbranch_execz .LBB138_61
; %bb.60:                               ;   in Loop: Header=BB138_52 Depth=1
	v_add_co_u32 v1, vcc_lo, v114, v49
	v_add_co_ci_u32_e32 v2, vcc_lo, v115, v50, vcc_lo
	v_add_co_u32 v4, vcc_lo, v116, v49
	v_add_co_ci_u32_e32 v5, vcc_lo, v117, v50, vcc_lo
	global_load_b64 v[35:36], v[1:2], off
	global_load_b64 v[19:20], v[4:5], off
.LBB138_61:                             ;   in Loop: Header=BB138_52 Depth=1
	s_or_b32 exec_lo, exec_lo, s8
	v_add_co_u32 v1, vcc_lo, 0xffffff03, v118
	v_add_co_ci_u32_e32 v2, vcc_lo, -1, v119, vcc_lo
	s_mov_b32 s8, exec_lo
	s_delay_alu instid0(VALU_DEP_1)
	v_cmpx_gt_i64_e64 s[4:5], v[1:2]
	s_cbranch_execz .LBB138_63
; %bb.62:                               ;   in Loop: Header=BB138_52 Depth=1
	v_add_co_u32 v1, vcc_lo, v110, v49
	v_add_co_ci_u32_e32 v2, vcc_lo, v111, v50, vcc_lo
	v_add_co_u32 v4, vcc_lo, v112, v49
	v_add_co_ci_u32_e32 v5, vcc_lo, v113, v50, vcc_lo
	global_load_b64 v[37:38], v[1:2], off
	global_load_b64 v[21:22], v[4:5], off
.LBB138_63:                             ;   in Loop: Header=BB138_52 Depth=1
	;; [unrolled: 15-line block ×7, first 2 shown]
	s_or_b32 exec_lo, exec_lo, s8
	s_waitcnt vmcnt(0)
	v_mul_f64 v[1:2], v[17:18], v[33:34]
	ds_bpermute_b32 v4, v3, v51
	ds_bpermute_b32 v5, v3, v52
	v_mul_f64 v[6:7], v[19:20], v[35:36]
	v_mul_f64 v[8:9], v[21:22], v[37:38]
	s_waitcnt lgkmcnt(0)
	v_fma_f64 v[1:2], v[1:2], v[4:5], v[81:82]
	ds_bpermute_b32 v4, v3, v51 offset:4
	ds_bpermute_b32 v5, v3, v52 offset:4
	s_waitcnt lgkmcnt(0)
	v_fma_f64 v[1:2], v[6:7], v[4:5], v[1:2]
	ds_bpermute_b32 v4, v3, v51 offset:8
	ds_bpermute_b32 v5, v3, v52 offset:8
	v_mul_f64 v[6:7], v[23:24], v[39:40]
	s_waitcnt lgkmcnt(0)
	v_fma_f64 v[1:2], v[8:9], v[4:5], v[1:2]
	ds_bpermute_b32 v4, v3, v51 offset:12
	ds_bpermute_b32 v5, v3, v52 offset:12
	v_mul_f64 v[8:9], v[25:26], v[41:42]
	;; [unrolled: 5-line block ×4, first 2 shown]
	s_waitcnt lgkmcnt(0)
	v_fma_f64 v[1:2], v[6:7], v[4:5], v[1:2]
	ds_bpermute_b32 v4, v3, v51 offset:24
	ds_bpermute_b32 v5, v3, v52 offset:24
	;; [unrolled: 1-line block ×4, first 2 shown]
	s_waitcnt lgkmcnt(2)
	v_fma_f64 v[1:2], v[8:9], v[4:5], v[1:2]
	v_mul_f64 v[4:5], v[31:32], v[47:48]
	s_waitcnt lgkmcnt(0)
	s_delay_alu instid0(VALU_DEP_1)
	v_fma_f64 v[51:52], v[4:5], v[6:7], v[1:2]
	s_branch .LBB138_80
.LBB138_74:                             ;   in Loop: Header=BB138_52 Depth=1
                                        ; implicit-def: $vgpr51_vgpr52
	s_cbranch_execz .LBB138_80
; %bb.75:                               ;   in Loop: Header=BB138_52 Depth=1
	s_load_b32 s8, s[36:37], 0x0
	s_waitcnt lgkmcnt(0)
	s_cmp_lt_u32 s14, s8
	s_cselect_b32 s8, 12, 18
	s_delay_alu instid0(SALU_CYCLE_1)
	s_add_u32 s8, s36, s8
	s_addc_u32 s9, s37, 0
	global_load_u16 v1, v3, s[8:9]
	s_mov_b32 s8, exec_lo
	s_waitcnt vmcnt(0)
	v_mad_u32_u24 v1, v84, v1, v83
	s_delay_alu instid0(VALU_DEP_1) | instskip(SKIP_1) | instid1(VALU_DEP_2)
	v_dual_mov_b32 v1, 0 :: v_dual_and_b32 v4, 31, v1
	v_mov_b32_e32 v2, 0
	v_cmpx_gt_u32_e32 8, v4
	s_cbranch_execz .LBB138_79
; %bb.76:                               ;   in Loop: Header=BB138_52 Depth=1
	v_add_co_u32 v1, vcc_lo, v118, v4
	v_add_co_ci_u32_e32 v2, vcc_lo, 0, v119, vcc_lo
	s_mov_b32 s9, exec_lo
	s_delay_alu instid0(VALU_DEP_2) | instskip(NEXT) | instid1(VALU_DEP_2)
	v_add_co_u32 v4, vcc_lo, 0xffffff01, v1
	v_add_co_ci_u32_e32 v5, vcc_lo, -1, v2, vcc_lo
	v_mov_b32_e32 v1, 0
	v_mov_b32_e32 v2, 0
	s_delay_alu instid0(VALU_DEP_3)
	v_cmpx_gt_i64_e64 s[4:5], v[4:5]
	s_cbranch_execz .LBB138_78
; %bb.77:                               ;   in Loop: Header=BB138_52 Depth=1
	v_lshlrev_b64 v[1:2], 3, v[4:5]
	s_delay_alu instid0(VALU_DEP_1) | instskip(NEXT) | instid1(VALU_DEP_2)
	v_add_co_u32 v1, vcc_lo, s12, v1
	v_add_co_ci_u32_e32 v2, vcc_lo, s13, v2, vcc_lo
	global_load_b64 v[1:2], v[1:2], off
.LBB138_78:                             ;   in Loop: Header=BB138_52 Depth=1
	s_or_b32 exec_lo, exec_lo, s9
.LBB138_79:                             ;   in Loop: Header=BB138_52 Depth=1
	s_delay_alu instid0(SALU_CYCLE_1)
	s_or_b32 exec_lo, exec_lo, s8
	v_add_co_u32 v4, vcc_lo, v86, v49
	v_add_co_ci_u32_e32 v5, vcc_lo, v87, v50, vcc_lo
	v_add_co_u32 v6, vcc_lo, v88, v49
	v_add_co_ci_u32_e32 v7, vcc_lo, v89, v50, vcc_lo
	v_add_co_u32 v8, vcc_lo, v53, v49
	global_load_b64 v[4:5], v[4:5], off
	global_load_b64 v[6:7], v[6:7], off
	v_add_co_ci_u32_e32 v9, vcc_lo, v54, v50, vcc_lo
	v_add_co_u32 v10, vcc_lo, v67, v49
	v_add_co_ci_u32_e32 v11, vcc_lo, v68, v50, vcc_lo
	global_load_b64 v[8:9], v[8:9], off
	global_load_b64 v[10:11], v[10:11], off
	v_add_co_u32 v12, vcc_lo, v55, v49
	v_add_co_ci_u32_e32 v13, vcc_lo, v56, v50, vcc_lo
	v_add_co_u32 v14, vcc_lo, v69, v49
	v_add_co_ci_u32_e32 v15, vcc_lo, v70, v50, vcc_lo
	global_load_b64 v[12:13], v[12:13], off
	global_load_b64 v[14:15], v[14:15], off
	v_add_co_u32 v16, vcc_lo, v57, v49
	;; [unrolled: 6-line block ×6, first 2 shown]
	v_add_co_ci_u32_e32 v33, vcc_lo, v66, v50, vcc_lo
	v_add_co_u32 v34, vcc_lo, v79, v49
	v_add_co_ci_u32_e32 v35, vcc_lo, v80, v50, vcc_lo
	global_load_b64 v[32:33], v[32:33], off
	global_load_b64 v[34:35], v[34:35], off
	s_waitcnt vmcnt(14)
	v_mul_f64 v[4:5], v[4:5], v[6:7]
	ds_bpermute_b32 v6, v3, v1
	ds_bpermute_b32 v7, v3, v2
	s_waitcnt vmcnt(12)
	v_mul_f64 v[8:9], v[8:9], v[10:11]
	s_waitcnt vmcnt(10)
	v_mul_f64 v[10:11], v[12:13], v[14:15]
	s_waitcnt lgkmcnt(0)
	v_fma_f64 v[4:5], v[4:5], v[6:7], v[81:82]
	ds_bpermute_b32 v6, v3, v1 offset:4
	ds_bpermute_b32 v7, v3, v2 offset:4
	s_waitcnt lgkmcnt(0)
	v_fma_f64 v[4:5], v[8:9], v[6:7], v[4:5]
	ds_bpermute_b32 v6, v3, v1 offset:8
	ds_bpermute_b32 v7, v3, v2 offset:8
	s_waitcnt vmcnt(8)
	v_mul_f64 v[8:9], v[16:17], v[18:19]
	s_waitcnt lgkmcnt(0)
	v_fma_f64 v[4:5], v[10:11], v[6:7], v[4:5]
	ds_bpermute_b32 v6, v3, v1 offset:12
	ds_bpermute_b32 v7, v3, v2 offset:12
	s_waitcnt vmcnt(6)
	v_mul_f64 v[10:11], v[20:21], v[22:23]
	;; [unrolled: 6-line block ×4, first 2 shown]
	s_waitcnt lgkmcnt(0)
	v_fma_f64 v[4:5], v[8:9], v[6:7], v[4:5]
	ds_bpermute_b32 v6, v3, v1 offset:24
	ds_bpermute_b32 v7, v3, v2 offset:24
	;; [unrolled: 1-line block ×4, first 2 shown]
	s_waitcnt lgkmcnt(2)
	v_fma_f64 v[4:5], v[10:11], v[6:7], v[4:5]
	s_waitcnt vmcnt(0)
	v_mul_f64 v[6:7], v[32:33], v[34:35]
	s_waitcnt lgkmcnt(0)
	s_delay_alu instid0(VALU_DEP_1)
	v_fma_f64 v[51:52], v[6:7], v[1:2], v[4:5]
.LBB138_80:                             ;   in Loop: Header=BB138_52 Depth=1
	v_add_co_u32 v53, vcc_lo, v53, s2
	v_add_co_ci_u32_e32 v54, vcc_lo, s3, v54, vcc_lo
	v_add_co_u32 v55, vcc_lo, v55, s2
	v_add_co_ci_u32_e32 v56, vcc_lo, s3, v56, vcc_lo
	;; [unrolled: 2-line block ×27, first 2 shown]
	v_add_co_u32 v112, vcc_lo, v112, s2
	s_add_u32 s34, s34, s15
	v_add_co_ci_u32_e32 v113, vcc_lo, s3, v113, vcc_lo
	s_addc_u32 s35, s35, 0
	v_add_co_u32 v114, vcc_lo, v114, s2
	v_cmp_ge_i64_e64 s8, s[34:35], s[4:5]
	v_add_co_ci_u32_e32 v115, vcc_lo, s3, v115, vcc_lo
	v_add_co_u32 v116, vcc_lo, v116, s2
	v_add_co_ci_u32_e32 v117, vcc_lo, s3, v117, vcc_lo
	s_add_u32 s38, s38, s15
	s_addc_u32 s39, s39, 0
	s_and_b32 vcc_lo, exec_lo, s8
	s_cbranch_vccnz .LBB138_82
; %bb.81:                               ;   in Loop: Header=BB138_52 Depth=1
	v_dual_mov_b32 v82, v52 :: v_dual_mov_b32 v81, v51
	s_branch .LBB138_52
.LBB138_82:
	v_and_b32_e32 v6, 0x3ff, v0
	v_bfe_u32 v1, v0, 10, 10
	v_mov_b32_e32 v0, 0
	s_mov_b32 s15, 0
	s_mov_b32 s2, exec_lo
	v_lshrrev_b32_e32 v2, 5, v6
	v_mad_u32_u24 v3, v1, 33, v6
	s_delay_alu instid0(VALU_DEP_2) | instskip(NEXT) | instid1(VALU_DEP_2)
	v_dual_mov_b32 v1, v0 :: v_dual_add_nc_u32 v4, v2, v1
	v_lshl_add_u32 v2, v3, 3, 0
	ds_store_b64 v2, v[51:52]
	ds_store_b64 v2, v[0:1] offset:8448
	s_waitcnt lgkmcnt(0)
	s_barrier
	buffer_gl0_inv
	v_cmpx_gt_u32_e32 32, v4
	s_cbranch_execz .LBB138_85
; %bb.83:
	v_mbcnt_lo_u32_b32 v5, -1, 0
	s_load_b64 s[2:3], s[0:1], 0x30
	s_lshl_b64 s[0:1], s[14:15], 5
	v_and_b32_e32 v0, 31, v6
	s_delay_alu instid0(VALU_DEP_2) | instskip(NEXT) | instid1(VALU_DEP_2)
	v_xor_b32_e32 v2, 16, v5
	v_mul_u32_u24_e32 v0, 0x108, v0
	s_delay_alu instid0(VALU_DEP_2) | instskip(SKIP_4) | instid1(VALU_DEP_4)
	v_cmp_gt_i32_e32 vcc_lo, 32, v2
	v_lshlrev_b32_e32 v1, 3, v4
	v_or_b32_e32 v4, s0, v4
	v_cmp_eq_u32_e64 s0, 0, v6
	v_cndmask_b32_e32 v2, v5, v2, vcc_lo
	v_add3_u32 v0, 0, v1, v0
	s_delay_alu instid0(VALU_DEP_2)
	v_lshlrev_b32_e32 v3, 2, v2
	ds_load_b64 v[0:1], v0
	s_waitcnt lgkmcnt(0)
	s_cmp_lg_u64 s[2:3], 0
	ds_bpermute_b32 v2, v3, v0
	ds_bpermute_b32 v3, v3, v1
	s_waitcnt lgkmcnt(0)
	v_add_f64 v[0:1], v[0:1], v[2:3]
	v_xor_b32_e32 v2, 8, v5
	s_delay_alu instid0(VALU_DEP_1) | instskip(SKIP_1) | instid1(VALU_DEP_1)
	v_cmp_gt_i32_e32 vcc_lo, 32, v2
	v_cndmask_b32_e32 v2, v5, v2, vcc_lo
	v_lshlrev_b32_e32 v3, 2, v2
	ds_bpermute_b32 v2, v3, v0
	ds_bpermute_b32 v3, v3, v1
	s_waitcnt lgkmcnt(0)
	v_add_f64 v[0:1], v[0:1], v[2:3]
	v_xor_b32_e32 v2, 4, v5
	s_delay_alu instid0(VALU_DEP_1) | instskip(SKIP_1) | instid1(VALU_DEP_1)
	v_cmp_gt_i32_e32 vcc_lo, 32, v2
	v_cndmask_b32_e32 v2, v5, v2, vcc_lo
	v_lshlrev_b32_e32 v3, 2, v2
	;; [unrolled: 9-line block ×3, first 2 shown]
	ds_bpermute_b32 v2, v3, v0
	ds_bpermute_b32 v3, v3, v1
	s_waitcnt lgkmcnt(0)
	v_add_f64 v[0:1], v[0:1], v[2:3]
	v_xor_b32_e32 v2, 1, v5
	s_delay_alu instid0(VALU_DEP_1) | instskip(SKIP_2) | instid1(VALU_DEP_1)
	v_cmp_gt_i32_e32 vcc_lo, 32, v2
	v_dual_cndmask_b32 v2, v5, v2 :: v_dual_mov_b32 v5, s1
	s_cselect_b32 s1, -1, 0
	v_lshlrev_b32_e32 v3, 2, v2
	s_delay_alu instid0(VALU_DEP_2) | instskip(SKIP_1) | instid1(SALU_CYCLE_1)
	v_cmp_gt_i64_e32 vcc_lo, s[6:7], v[4:5]
	s_and_b32 s0, s0, vcc_lo
	s_and_b32 s0, s1, s0
	ds_bpermute_b32 v2, v3, v0
	ds_bpermute_b32 v3, v3, v1
	s_and_b32 exec_lo, exec_lo, s0
	s_cbranch_execz .LBB138_85
; %bb.84:
	s_waitcnt lgkmcnt(0)
	v_add_f64 v[0:1], v[0:1], v[2:3]
	v_lshlrev_b64 v[2:3], 3, v[4:5]
	s_delay_alu instid0(VALU_DEP_1) | instskip(NEXT) | instid1(VALU_DEP_2)
	v_add_co_u32 v2, vcc_lo, s2, v2
	v_add_co_ci_u32_e32 v3, vcc_lo, s3, v3, vcc_lo
	global_store_b64 v[2:3], v[0:1], off
.LBB138_85:
	s_nop 0
	s_sendmsg sendmsg(MSG_DEALLOC_VGPRS)
	s_endpgm
	.section	.rodata,"a",@progbits
	.p2align	6, 0x0
	.amdhsa_kernel _ZN2at6native12_GLOBAL__N_135GammaBetaBackwardCUDAKernelTemplateIddLj32ELj32ELj256ELb0ELb0ELb1EEEvllPKT_S5_PKT0_S8_PS3_S9_
		.amdhsa_group_segment_fixed_size 0
		.amdhsa_private_segment_fixed_size 0
		.amdhsa_kernarg_size 320
		.amdhsa_user_sgpr_count 14
		.amdhsa_user_sgpr_dispatch_ptr 0
		.amdhsa_user_sgpr_queue_ptr 0
		.amdhsa_user_sgpr_kernarg_segment_ptr 1
		.amdhsa_user_sgpr_dispatch_id 0
		.amdhsa_user_sgpr_private_segment_size 0
		.amdhsa_wavefront_size32 1
		.amdhsa_uses_dynamic_stack 0
		.amdhsa_enable_private_segment 0
		.amdhsa_system_sgpr_workgroup_id_x 1
		.amdhsa_system_sgpr_workgroup_id_y 1
		.amdhsa_system_sgpr_workgroup_id_z 0
		.amdhsa_system_sgpr_workgroup_info 0
		.amdhsa_system_vgpr_workitem_id 1
		.amdhsa_next_free_vgpr 120
		.amdhsa_next_free_sgpr 45
		.amdhsa_reserve_vcc 1
		.amdhsa_float_round_mode_32 0
		.amdhsa_float_round_mode_16_64 0
		.amdhsa_float_denorm_mode_32 3
		.amdhsa_float_denorm_mode_16_64 3
		.amdhsa_dx10_clamp 1
		.amdhsa_ieee_mode 1
		.amdhsa_fp16_overflow 0
		.amdhsa_workgroup_processor_mode 1
		.amdhsa_memory_ordered 1
		.amdhsa_forward_progress 0
		.amdhsa_shared_vgpr_count 0
		.amdhsa_exception_fp_ieee_invalid_op 0
		.amdhsa_exception_fp_denorm_src 0
		.amdhsa_exception_fp_ieee_div_zero 0
		.amdhsa_exception_fp_ieee_overflow 0
		.amdhsa_exception_fp_ieee_underflow 0
		.amdhsa_exception_fp_ieee_inexact 0
		.amdhsa_exception_int_div_zero 0
	.end_amdhsa_kernel
	.section	.text._ZN2at6native12_GLOBAL__N_135GammaBetaBackwardCUDAKernelTemplateIddLj32ELj32ELj256ELb0ELb0ELb1EEEvllPKT_S5_PKT0_S8_PS3_S9_,"axG",@progbits,_ZN2at6native12_GLOBAL__N_135GammaBetaBackwardCUDAKernelTemplateIddLj32ELj32ELj256ELb0ELb0ELb1EEEvllPKT_S5_PKT0_S8_PS3_S9_,comdat
.Lfunc_end138:
	.size	_ZN2at6native12_GLOBAL__N_135GammaBetaBackwardCUDAKernelTemplateIddLj32ELj32ELj256ELb0ELb0ELb1EEEvllPKT_S5_PKT0_S8_PS3_S9_, .Lfunc_end138-_ZN2at6native12_GLOBAL__N_135GammaBetaBackwardCUDAKernelTemplateIddLj32ELj32ELj256ELb0ELb0ELb1EEEvllPKT_S5_PKT0_S8_PS3_S9_
                                        ; -- End function
	.section	.AMDGPU.csdata,"",@progbits
; Kernel info:
; codeLenInByte = 8364
; NumSgprs: 47
; NumVgprs: 120
; ScratchSize: 0
; MemoryBound: 1
; FloatMode: 240
; IeeeMode: 1
; LDSByteSize: 0 bytes/workgroup (compile time only)
; SGPRBlocks: 5
; VGPRBlocks: 14
; NumSGPRsForWavesPerEU: 47
; NumVGPRsForWavesPerEU: 120
; Occupancy: 12
; WaveLimiterHint : 0
; COMPUTE_PGM_RSRC2:SCRATCH_EN: 0
; COMPUTE_PGM_RSRC2:USER_SGPR: 14
; COMPUTE_PGM_RSRC2:TRAP_HANDLER: 0
; COMPUTE_PGM_RSRC2:TGID_X_EN: 1
; COMPUTE_PGM_RSRC2:TGID_Y_EN: 1
; COMPUTE_PGM_RSRC2:TGID_Z_EN: 0
; COMPUTE_PGM_RSRC2:TIDIG_COMP_CNT: 1
	.section	.text._ZN2at6native12_GLOBAL__N_118cuComputeGradInputIffLb1EEEvPKT_S5_llPKT0_S8_S5_PS3_,"axG",@progbits,_ZN2at6native12_GLOBAL__N_118cuComputeGradInputIffLb1EEEvPKT_S5_llPKT0_S8_S5_PS3_,comdat
	.globl	_ZN2at6native12_GLOBAL__N_118cuComputeGradInputIffLb1EEEvPKT_S5_llPKT0_S8_S5_PS3_ ; -- Begin function _ZN2at6native12_GLOBAL__N_118cuComputeGradInputIffLb1EEEvPKT_S5_llPKT0_S8_S5_PS3_
	.p2align	8
	.type	_ZN2at6native12_GLOBAL__N_118cuComputeGradInputIffLb1EEEvPKT_S5_llPKT0_S8_S5_PS3_,@function
_ZN2at6native12_GLOBAL__N_118cuComputeGradInputIffLb1EEEvPKT_S5_llPKT0_S8_S5_PS3_: ; @_ZN2at6native12_GLOBAL__N_118cuComputeGradInputIffLb1EEEvPKT_S5_llPKT0_S8_S5_PS3_
; %bb.0:
	s_load_b128 s[8:11], s[0:1], 0x10
	s_mov_b32 s6, s15
	s_ashr_i32 s7, s15, 31
	s_waitcnt lgkmcnt(0)
	v_cmp_ge_i64_e64 s2, s[6:7], s[8:9]
	s_delay_alu instid0(VALU_DEP_1)
	s_and_b32 vcc_lo, exec_lo, s2
	s_cbranch_vccnz .LBB139_47
; %bb.1:
	s_clause 0x2
	s_load_b32 s4, s[0:1], 0x4c
	s_load_b128 s[12:15], s[0:1], 0x30
	s_load_b32 s24, s[0:1], 0x44
	s_cls_i32 s3, s11
	v_and_b32_e32 v9, 0x3ff, v0
	v_bfe_u32 v10, v0, 10, 10
	s_clause 0x1
	s_load_b128 s[16:19], s[0:1], 0x0
	s_load_b64 s[20:21], s[0:1], 0x28
	v_cmp_gt_i64_e64 s28, s[10:11], 0
	v_mbcnt_lo_u32_b32 v12, -1, 0
	v_lshl_add_u32 v13, v9, 3, 0
	v_cmp_eq_u32_e64 s0, 0, v10
	v_cmp_ne_u32_e64 s1, 0, v10
	v_cndmask_b32_e64 v11, 0, 1, s28
	s_waitcnt lgkmcnt(0)
	s_lshr_b32 s25, s4, 16
	s_and_b32 s26, s4, 0xffff
	s_cmp_lg_u64 s[12:13], 0
	v_mad_u32_u24 v0, v10, s26, v9
	s_cselect_b32 s27, -1, 0
	s_xor_b32 s2, s10, s11
	s_add_i32 s3, s3, -1
	s_ashr_i32 s2, s2, 31
	s_mul_i32 s30, s25, s26
	s_add_i32 s2, s2, 32
	s_ashr_i32 s31, s30, 31
	s_min_u32 s5, s3, s2
	v_cmp_gt_u16_e64 s29, s4, 1
	s_lshl_b64 s[2:3], s[10:11], s5
	v_lshl_add_u32 v14, v0, 3, 0
	s_min_u32 s2, s2, 1
	v_cmp_gt_u16_e64 s33, s25, 1
	s_or_b32 s2, s3, s2
	s_delay_alu instid0(SALU_CYCLE_1)
	v_cvt_f32_i32_e32 v1, s2
	s_sub_i32 s2, 32, s5
	s_delay_alu instid0(VALU_DEP_1) | instid1(SALU_CYCLE_1)
	v_ldexp_f32 v8, v1, s2
	s_delay_alu instid0(VALU_DEP_1) | instskip(SKIP_1) | instid1(VALU_DEP_2)
	v_div_scale_f32 v2, null, v8, v8, 1.0
	v_div_scale_f32 v4, vcc_lo, 1.0, v8, 1.0
	v_rcp_f32_e32 v3, v2
	s_waitcnt_depctr 0xfff
	v_fma_f32 v1, -v2, v3, 1.0
	s_delay_alu instid0(VALU_DEP_1) | instskip(SKIP_1) | instid1(VALU_DEP_2)
	v_fmac_f32_e32 v3, v1, v3
	v_mov_b32_e32 v1, 0
	v_mul_f32_e32 v5, v4, v3
	s_delay_alu instid0(VALU_DEP_2) | instskip(NEXT) | instid1(VALU_DEP_2)
	v_cmp_gt_i64_e64 s2, s[10:11], v[0:1]
	v_fma_f32 v6, -v2, v5, v4
	s_delay_alu instid0(VALU_DEP_1) | instskip(NEXT) | instid1(VALU_DEP_1)
	v_dual_fmac_f32 v5, v6, v3 :: v_dual_add_nc_u32 v6, s30, v0
	v_fma_f32 v2, -v2, v5, v4
	s_delay_alu instid0(VALU_DEP_2) | instskip(NEXT) | instid1(VALU_DEP_2)
	v_ashrrev_i32_e32 v4, 31, v6
	v_div_fmas_f32 v5, v2, v3, v5
	v_sub_co_u32 v2, vcc_lo, v6, s30
	s_delay_alu instid0(VALU_DEP_3) | instskip(NEXT) | instid1(VALU_DEP_3)
	v_subrev_co_ci_u32_e32 v3, vcc_lo, s31, v4, vcc_lo
	v_div_fixup_f32 v15, v5, v8, 1.0
	s_branch .LBB139_4
.LBB139_2:                              ;   in Loop: Header=BB139_4 Depth=1
	s_set_inst_prefetch_distance 0x2
	s_or_b32 exec_lo, exec_lo, s22
.LBB139_3:                              ;   in Loop: Header=BB139_4 Depth=1
	s_add_i32 s6, s24, s6
	s_waitcnt_vscnt null, 0x0
	s_ashr_i32 s7, s6, 31
	s_barrier
	v_cmp_ge_i64_e64 s3, s[6:7], s[8:9]
	buffer_gl0_inv
	s_and_b32 vcc_lo, exec_lo, s3
	s_cbranch_vccnz .LBB139_47
.LBB139_4:                              ; =>This Loop Header: Depth=1
                                        ;     Child Loop BB139_8 Depth 2
                                        ;     Child Loop BB139_19 Depth 2
	;; [unrolled: 1-line block ×6, first 2 shown]
	s_mul_i32 s3, s6, s11
	s_mul_hi_u32 s4, s6, s10
	s_mul_i32 s22, s7, s10
	s_add_i32 s3, s4, s3
	s_lshl_b64 s[4:5], s[6:7], 2
	s_add_i32 s23, s3, s22
	s_add_u32 s4, s20, s4
	s_addc_u32 s5, s21, s5
	s_mul_i32 s22, s6, s10
	s_load_b32 s7, s[4:5], 0x0
	s_lshl_b64 s[22:23], s[22:23], 2
	v_cmp_ne_u32_e64 s3, 1, v11
	s_add_u32 s34, s18, s22
	s_addc_u32 s35, s19, s23
	s_add_u32 s36, s16, s22
	s_addc_u32 s37, s17, s23
	s_and_not1_b32 vcc_lo, exec_lo, s27
	s_cbranch_vccnz .LBB139_15
; %bb.5:                                ;   in Loop: Header=BB139_4 Depth=1
	v_mov_b32_e32 v16, 0
	s_and_b32 vcc_lo, exec_lo, s3
	s_cbranch_vccnz .LBB139_14
; %bb.6:                                ;   in Loop: Header=BB139_4 Depth=1
	s_mov_b32 s4, 0
	s_set_inst_prefetch_distance 0x1
	s_branch .LBB139_8
	.p2align	6
.LBB139_7:                              ;   in Loop: Header=BB139_8 Depth=2
	s_or_b32 exec_lo, exec_lo, s3
	s_waitcnt vmcnt(0)
	v_mul_f32_e32 v4, v6, v17
	s_add_i32 s4, s4, s30
	s_delay_alu instid0(SALU_CYCLE_1) | instskip(NEXT) | instid1(SALU_CYCLE_1)
	s_ashr_i32 s5, s4, 31
	v_cmp_ge_i64_e64 s3, s[4:5], s[10:11]
	s_delay_alu instid0(VALU_DEP_2) | instskip(SKIP_1) | instid1(VALU_DEP_1)
	v_mul_f32_e32 v4, v7, v4
	s_waitcnt lgkmcnt(0)
	v_fmac_f32_e32 v16, s7, v4
	s_delay_alu instid0(VALU_DEP_3)
	s_and_b32 vcc_lo, exec_lo, s3
	s_cbranch_vccnz .LBB139_14
.LBB139_8:                              ;   Parent Loop BB139_4 Depth=1
                                        ; =>  This Inner Loop Header: Depth=2
	v_add_nc_u32_e32 v4, s4, v0
	v_mov_b32_e32 v6, 0
	s_delay_alu instid0(VALU_DEP_2) | instskip(NEXT) | instid1(VALU_DEP_1)
	v_ashrrev_i32_e32 v5, 31, v4
	v_cmp_gt_i64_e32 vcc_lo, s[10:11], v[4:5]
	v_lshlrev_b64 v[4:5], 2, v[4:5]
	s_and_saveexec_b32 s5, vcc_lo
	s_cbranch_execz .LBB139_10
; %bb.9:                                ;   in Loop: Header=BB139_8 Depth=2
	s_delay_alu instid0(VALU_DEP_1) | instskip(NEXT) | instid1(VALU_DEP_1)
	v_add_co_u32 v6, s3, s12, v4
	v_add_co_ci_u32_e64 v7, s3, s13, v5, s3
	global_load_b32 v6, v[6:7], off
.LBB139_10:                             ;   in Loop: Header=BB139_8 Depth=2
	s_or_b32 exec_lo, exec_lo, s5
	v_mov_b32_e32 v17, 0
	v_mov_b32_e32 v7, 0
	s_and_saveexec_b32 s5, vcc_lo
	s_cbranch_execz .LBB139_12
; %bb.11:                               ;   in Loop: Header=BB139_8 Depth=2
	v_add_co_u32 v18, s3, s34, v4
	s_delay_alu instid0(VALU_DEP_1)
	v_add_co_ci_u32_e64 v19, s3, s35, v5, s3
	global_load_b32 v7, v[18:19], off
.LBB139_12:                             ;   in Loop: Header=BB139_8 Depth=2
	s_or_b32 exec_lo, exec_lo, s5
	s_and_saveexec_b32 s3, vcc_lo
	s_cbranch_execz .LBB139_7
; %bb.13:                               ;   in Loop: Header=BB139_8 Depth=2
	v_add_co_u32 v4, vcc_lo, s36, v4
	v_add_co_ci_u32_e32 v5, vcc_lo, s37, v5, vcc_lo
	global_load_b32 v17, v[4:5], off
	s_branch .LBB139_7
.LBB139_14:                             ;   in Loop: Header=BB139_4 Depth=1
	s_set_inst_prefetch_distance 0x2
	s_cbranch_execz .LBB139_16
	s_branch .LBB139_23
.LBB139_15:                             ;   in Loop: Header=BB139_4 Depth=1
                                        ; implicit-def: $vgpr16
.LBB139_16:                             ;   in Loop: Header=BB139_4 Depth=1
	v_mov_b32_e32 v16, 0
	s_and_not1_b32 vcc_lo, exec_lo, s28
	s_cbranch_vccnz .LBB139_23
; %bb.17:                               ;   in Loop: Header=BB139_4 Depth=1
	s_mov_b32 s4, 0
	s_set_inst_prefetch_distance 0x1
	s_branch .LBB139_19
	.p2align	6
.LBB139_18:                             ;   in Loop: Header=BB139_19 Depth=2
	s_or_b32 exec_lo, exec_lo, s3
	s_add_i32 s4, s4, s30
	s_waitcnt vmcnt(0)
	v_mul_f32_e32 v4, v6, v7
	s_ashr_i32 s5, s4, 31
	s_delay_alu instid0(SALU_CYCLE_1) | instskip(SKIP_1) | instid1(VALU_DEP_2)
	v_cmp_ge_i64_e64 s3, s[4:5], s[10:11]
	s_waitcnt lgkmcnt(0)
	v_fmac_f32_e32 v16, s7, v4
	s_delay_alu instid0(VALU_DEP_2)
	s_and_b32 vcc_lo, exec_lo, s3
	s_cbranch_vccnz .LBB139_23
.LBB139_19:                             ;   Parent Loop BB139_4 Depth=1
                                        ; =>  This Inner Loop Header: Depth=2
	v_add_nc_u32_e32 v4, s4, v0
	v_mov_b32_e32 v6, 0
	s_delay_alu instid0(VALU_DEP_2) | instskip(NEXT) | instid1(VALU_DEP_1)
	v_ashrrev_i32_e32 v5, 31, v4
	v_cmp_gt_i64_e32 vcc_lo, s[10:11], v[4:5]
	v_lshlrev_b64 v[4:5], 2, v[4:5]
	s_and_saveexec_b32 s5, vcc_lo
	s_cbranch_execz .LBB139_21
; %bb.20:                               ;   in Loop: Header=BB139_19 Depth=2
	s_delay_alu instid0(VALU_DEP_1) | instskip(NEXT) | instid1(VALU_DEP_1)
	v_add_co_u32 v6, s3, s34, v4
	v_add_co_ci_u32_e64 v7, s3, s35, v5, s3
	global_load_b32 v6, v[6:7], off
.LBB139_21:                             ;   in Loop: Header=BB139_19 Depth=2
	s_or_b32 exec_lo, exec_lo, s5
	v_mov_b32_e32 v7, 0
	s_and_saveexec_b32 s3, vcc_lo
	s_cbranch_execz .LBB139_18
; %bb.22:                               ;   in Loop: Header=BB139_19 Depth=2
	v_add_co_u32 v4, vcc_lo, s36, v4
	v_add_co_ci_u32_e32 v5, vcc_lo, s37, v5, vcc_lo
	global_load_b32 v7, v[4:5], off
	s_branch .LBB139_18
.LBB139_23:                             ;   in Loop: Header=BB139_4 Depth=1
	s_set_inst_prefetch_distance 0x2
	s_and_not1_b32 vcc_lo, exec_lo, s29
	s_cbranch_vccnz .LBB139_26
; %bb.24:                               ;   in Loop: Header=BB139_4 Depth=1
	s_mov_b32 s3, s26
.LBB139_25:                             ;   Parent Loop BB139_4 Depth=1
                                        ; =>  This Inner Loop Header: Depth=2
	s_delay_alu instid0(SALU_CYCLE_1) | instskip(SKIP_3) | instid1(VALU_DEP_1)
	s_lshr_b32 s4, s3, 1
	s_cmp_lt_u32 s3, 4
	v_xor_b32_e32 v4, s4, v12
	s_mov_b32 s3, s4
	v_cmp_gt_i32_e32 vcc_lo, 32, v4
	v_cndmask_b32_e32 v4, v12, v4, vcc_lo
	s_delay_alu instid0(VALU_DEP_1)
	v_lshlrev_b32_e32 v4, 2, v4
	ds_bpermute_b32 v4, v4, v16
	s_waitcnt lgkmcnt(0)
	v_add_f32_e32 v16, v16, v4
	s_cbranch_scc0 .LBB139_25
.LBB139_26:                             ;   in Loop: Header=BB139_4 Depth=1
	s_and_not1_b32 vcc_lo, exec_lo, s33
	s_mov_b32 s5, s25
	s_cbranch_vccnz .LBB139_38
	.p2align	6
.LBB139_27:                             ;   Parent Loop BB139_4 Depth=1
                                        ; =>  This Inner Loop Header: Depth=2
	s_lshr_b32 s38, s5, 1
	s_and_b32 s4, s5, 0xfffe
	v_cmp_le_u32_e64 s3, s38, v10
	v_cmp_gt_u32_e64 s4, s4, v10
	v_cmp_gt_u32_e32 vcc_lo, s38, v10
	s_delay_alu instid0(VALU_DEP_2) | instskip(NEXT) | instid1(SALU_CYCLE_1)
	s_and_b32 s4, s3, s4
	s_and_saveexec_b32 s3, s4
	s_cbranch_execz .LBB139_29
; %bb.28:                               ;   in Loop: Header=BB139_27 Depth=2
	v_subrev_nc_u32_e32 v4, s38, v10
	s_delay_alu instid0(VALU_DEP_1) | instskip(NEXT) | instid1(VALU_DEP_1)
	v_mad_i32_i24 v4, v4, s26, v9
	v_lshl_add_u32 v4, v4, 3, 0
	ds_store_b32 v4, v16 offset:4
.LBB139_29:                             ;   in Loop: Header=BB139_27 Depth=2
	s_or_b32 exec_lo, exec_lo, s3
	s_waitcnt lgkmcnt(0)
	s_barrier
	buffer_gl0_inv
	s_and_saveexec_b32 s3, vcc_lo
	s_cbranch_execz .LBB139_31
; %bb.30:                               ;   in Loop: Header=BB139_27 Depth=2
	ds_load_b32 v4, v14 offset:4
	s_waitcnt lgkmcnt(0)
	v_add_f32_e32 v16, v16, v4
.LBB139_31:                             ;   in Loop: Header=BB139_27 Depth=2
	s_or_b32 exec_lo, exec_lo, s3
	s_cmp_lt_u32 s5, 4
	s_barrier
	buffer_gl0_inv
	s_cbranch_scc1 .LBB139_33
; %bb.32:                               ;   in Loop: Header=BB139_27 Depth=2
	s_mov_b32 s5, s38
	s_branch .LBB139_27
.LBB139_33:                             ;   in Loop: Header=BB139_4 Depth=1
	s_and_saveexec_b32 s3, s0
	s_cbranch_execz .LBB139_35
; %bb.34:                               ;   in Loop: Header=BB139_4 Depth=1
	ds_store_b32 v13, v16 offset:4
.LBB139_35:                             ;   in Loop: Header=BB139_4 Depth=1
	s_or_b32 exec_lo, exec_lo, s3
	s_waitcnt lgkmcnt(0)
	s_barrier
	buffer_gl0_inv
	s_and_saveexec_b32 s3, s1
	s_cbranch_execz .LBB139_37
; %bb.36:                               ;   in Loop: Header=BB139_4 Depth=1
	ds_load_b32 v16, v13 offset:4
.LBB139_37:                             ;   in Loop: Header=BB139_4 Depth=1
	s_or_b32 exec_lo, exec_lo, s3
.LBB139_38:                             ;   in Loop: Header=BB139_4 Depth=1
	s_waitcnt lgkmcnt(0)
	v_mul_f32_e32 v17, s7, v15
	s_add_u32 s4, s14, s22
	s_addc_u32 s5, s15, s23
	s_and_not1_b32 vcc_lo, exec_lo, s27
	s_cbranch_vccnz .LBB139_43
; %bb.39:                               ;   in Loop: Header=BB139_4 Depth=1
	s_and_saveexec_b32 s22, s2
	s_cbranch_execz .LBB139_42
; %bb.40:                               ;   in Loop: Header=BB139_4 Depth=1
	v_dual_mov_b32 v5, v3 :: v_dual_mov_b32 v4, v2
	v_dual_mov_b32 v7, v1 :: v_dual_mov_b32 v6, v0
	s_mov_b32 s23, 0
	s_set_inst_prefetch_distance 0x1
	.p2align	6
.LBB139_41:                             ;   Parent Loop BB139_4 Depth=1
                                        ; =>  This Inner Loop Header: Depth=2
	s_delay_alu instid0(VALU_DEP_1) | instskip(NEXT) | instid1(VALU_DEP_1)
	v_lshlrev_b64 v[18:19], 2, v[6:7]
	v_add_co_u32 v6, vcc_lo, s34, v18
	s_delay_alu instid0(VALU_DEP_2)
	v_add_co_ci_u32_e32 v7, vcc_lo, s35, v19, vcc_lo
	v_add_co_u32 v20, vcc_lo, s36, v18
	v_add_co_ci_u32_e32 v21, vcc_lo, s37, v19, vcc_lo
	v_add_co_u32 v22, vcc_lo, s12, v18
	v_add_co_ci_u32_e32 v23, vcc_lo, s13, v19, vcc_lo
	global_load_b32 v6, v[6:7], off
	global_load_b32 v7, v[20:21], off
	global_load_b32 v20, v[22:23], off
	v_add_co_u32 v4, vcc_lo, v4, s30
	v_add_co_ci_u32_e32 v5, vcc_lo, s31, v5, vcc_lo
	v_add_co_u32 v18, s3, s4, v18
	s_delay_alu instid0(VALU_DEP_1) | instskip(NEXT) | instid1(VALU_DEP_3)
	v_add_co_ci_u32_e64 v19, s3, s5, v19, s3
	v_cmp_le_i64_e32 vcc_lo, s[10:11], v[4:5]
	s_or_b32 s23, vcc_lo, s23
	s_waitcnt vmcnt(1)
	v_dual_mul_f32 v6, s7, v6 :: v_dual_mul_f32 v21, v7, v8
	v_ashrrev_i32_e32 v7, 31, v4
	s_delay_alu instid0(VALU_DEP_2) | instskip(SKIP_1) | instid1(VALU_DEP_1)
	v_mul_f32_e32 v6, v16, v6
	s_waitcnt vmcnt(0)
	v_fma_f32 v6, v21, v20, -v6
	s_delay_alu instid0(VALU_DEP_1)
	v_mul_f32_e32 v20, v17, v6
	v_mov_b32_e32 v6, v4
	global_store_b32 v[18:19], v20, off
	s_and_not1_b32 exec_lo, exec_lo, s23
	s_cbranch_execnz .LBB139_41
.LBB139_42:                             ;   in Loop: Header=BB139_4 Depth=1
	s_set_inst_prefetch_distance 0x2
	s_or_b32 exec_lo, exec_lo, s22
	s_cbranch_execnz .LBB139_3
	s_branch .LBB139_44
.LBB139_43:                             ;   in Loop: Header=BB139_4 Depth=1
.LBB139_44:                             ;   in Loop: Header=BB139_4 Depth=1
	s_and_saveexec_b32 s22, s2
	s_cbranch_execz .LBB139_2
; %bb.45:                               ;   in Loop: Header=BB139_4 Depth=1
	v_dual_mov_b32 v5, v3 :: v_dual_mov_b32 v4, v2
	v_dual_mov_b32 v7, v1 :: v_dual_mov_b32 v6, v0
	s_mov_b32 s23, 0
	s_set_inst_prefetch_distance 0x1
	.p2align	6
.LBB139_46:                             ;   Parent Loop BB139_4 Depth=1
                                        ; =>  This Inner Loop Header: Depth=2
	s_delay_alu instid0(VALU_DEP_1) | instskip(NEXT) | instid1(VALU_DEP_1)
	v_lshlrev_b64 v[18:19], 2, v[6:7]
	v_add_co_u32 v6, vcc_lo, s34, v18
	s_delay_alu instid0(VALU_DEP_2)
	v_add_co_ci_u32_e32 v7, vcc_lo, s35, v19, vcc_lo
	global_load_b32 v20, v[6:7], off
	v_add_co_u32 v6, vcc_lo, s36, v18
	v_add_co_ci_u32_e32 v7, vcc_lo, s37, v19, vcc_lo
	v_add_co_u32 v4, vcc_lo, v4, s30
	v_add_co_ci_u32_e32 v5, vcc_lo, s31, v5, vcc_lo
	global_load_b32 v6, v[6:7], off
	v_add_co_u32 v18, s3, s4, v18
	v_cmp_le_i64_e32 vcc_lo, s[10:11], v[4:5]
	v_add_co_ci_u32_e64 v19, s3, s5, v19, s3
	s_or_b32 s23, vcc_lo, s23
	s_waitcnt vmcnt(1)
	v_mul_f32_e32 v7, s7, v20
	s_delay_alu instid0(VALU_DEP_1) | instskip(SKIP_2) | instid1(VALU_DEP_2)
	v_mul_f32_e32 v20, v16, v7
	v_ashrrev_i32_e32 v7, 31, v4
	s_waitcnt vmcnt(0)
	v_fma_f32 v6, v6, v8, -v20
	s_delay_alu instid0(VALU_DEP_1)
	v_mul_f32_e32 v20, v17, v6
	v_mov_b32_e32 v6, v4
	global_store_b32 v[18:19], v20, off
	s_and_not1_b32 exec_lo, exec_lo, s23
	s_cbranch_execnz .LBB139_46
	s_branch .LBB139_2
.LBB139_47:
	s_endpgm
	.section	.rodata,"a",@progbits
	.p2align	6, 0x0
	.amdhsa_kernel _ZN2at6native12_GLOBAL__N_118cuComputeGradInputIffLb1EEEvPKT_S5_llPKT0_S8_S5_PS3_
		.amdhsa_group_segment_fixed_size 0
		.amdhsa_private_segment_fixed_size 0
		.amdhsa_kernarg_size 320
		.amdhsa_user_sgpr_count 14
		.amdhsa_user_sgpr_dispatch_ptr 0
		.amdhsa_user_sgpr_queue_ptr 0
		.amdhsa_user_sgpr_kernarg_segment_ptr 1
		.amdhsa_user_sgpr_dispatch_id 0
		.amdhsa_user_sgpr_private_segment_size 0
		.amdhsa_wavefront_size32 1
		.amdhsa_uses_dynamic_stack 0
		.amdhsa_enable_private_segment 0
		.amdhsa_system_sgpr_workgroup_id_x 1
		.amdhsa_system_sgpr_workgroup_id_y 1
		.amdhsa_system_sgpr_workgroup_id_z 0
		.amdhsa_system_sgpr_workgroup_info 0
		.amdhsa_system_vgpr_workitem_id 1
		.amdhsa_next_free_vgpr 24
		.amdhsa_next_free_sgpr 39
		.amdhsa_reserve_vcc 1
		.amdhsa_float_round_mode_32 0
		.amdhsa_float_round_mode_16_64 0
		.amdhsa_float_denorm_mode_32 3
		.amdhsa_float_denorm_mode_16_64 3
		.amdhsa_dx10_clamp 1
		.amdhsa_ieee_mode 1
		.amdhsa_fp16_overflow 0
		.amdhsa_workgroup_processor_mode 1
		.amdhsa_memory_ordered 1
		.amdhsa_forward_progress 0
		.amdhsa_shared_vgpr_count 0
		.amdhsa_exception_fp_ieee_invalid_op 0
		.amdhsa_exception_fp_denorm_src 0
		.amdhsa_exception_fp_ieee_div_zero 0
		.amdhsa_exception_fp_ieee_overflow 0
		.amdhsa_exception_fp_ieee_underflow 0
		.amdhsa_exception_fp_ieee_inexact 0
		.amdhsa_exception_int_div_zero 0
	.end_amdhsa_kernel
	.section	.text._ZN2at6native12_GLOBAL__N_118cuComputeGradInputIffLb1EEEvPKT_S5_llPKT0_S8_S5_PS3_,"axG",@progbits,_ZN2at6native12_GLOBAL__N_118cuComputeGradInputIffLb1EEEvPKT_S5_llPKT0_S8_S5_PS3_,comdat
.Lfunc_end139:
	.size	_ZN2at6native12_GLOBAL__N_118cuComputeGradInputIffLb1EEEvPKT_S5_llPKT0_S8_S5_PS3_, .Lfunc_end139-_ZN2at6native12_GLOBAL__N_118cuComputeGradInputIffLb1EEEvPKT_S5_llPKT0_S8_S5_PS3_
                                        ; -- End function
	.section	.AMDGPU.csdata,"",@progbits
; Kernel info:
; codeLenInByte = 1704
; NumSgprs: 41
; NumVgprs: 24
; ScratchSize: 0
; MemoryBound: 0
; FloatMode: 240
; IeeeMode: 1
; LDSByteSize: 0 bytes/workgroup (compile time only)
; SGPRBlocks: 5
; VGPRBlocks: 2
; NumSGPRsForWavesPerEU: 41
; NumVGPRsForWavesPerEU: 24
; Occupancy: 16
; WaveLimiterHint : 0
; COMPUTE_PGM_RSRC2:SCRATCH_EN: 0
; COMPUTE_PGM_RSRC2:USER_SGPR: 14
; COMPUTE_PGM_RSRC2:TRAP_HANDLER: 0
; COMPUTE_PGM_RSRC2:TGID_X_EN: 1
; COMPUTE_PGM_RSRC2:TGID_Y_EN: 1
; COMPUTE_PGM_RSRC2:TGID_Z_EN: 0
; COMPUTE_PGM_RSRC2:TIDIG_COMP_CNT: 1
	.section	.text._ZN2at6native12_GLOBAL__N_128layer_norm_grad_input_kernelIffLb1EEEvPKT_S5_PKT0_S8_S5_PS3_i,"axG",@progbits,_ZN2at6native12_GLOBAL__N_128layer_norm_grad_input_kernelIffLb1EEEvPKT_S5_PKT0_S8_S5_PS3_i,comdat
	.globl	_ZN2at6native12_GLOBAL__N_128layer_norm_grad_input_kernelIffLb1EEEvPKT_S5_PKT0_S8_S5_PS3_i ; -- Begin function _ZN2at6native12_GLOBAL__N_128layer_norm_grad_input_kernelIffLb1EEEvPKT_S5_PKT0_S8_S5_PS3_i
	.p2align	8
	.type	_ZN2at6native12_GLOBAL__N_128layer_norm_grad_input_kernelIffLb1EEEvPKT_S5_PKT0_S8_S5_PS3_i,@function
_ZN2at6native12_GLOBAL__N_128layer_norm_grad_input_kernelIffLb1EEEvPKT_S5_PKT0_S8_S5_PS3_i: ; @_ZN2at6native12_GLOBAL__N_128layer_norm_grad_input_kernelIffLb1EEEvPKT_S5_PKT0_S8_S5_PS3_i
; %bb.0:
	s_clause 0x2
	s_load_b32 s12, s[0:1], 0x30
	s_load_b128 s[4:7], s[0:1], 0x18
	s_load_b128 s[8:11], s[0:1], 0x0
	s_mov_b32 s2, s15
	s_mov_b32 s3, 0
	v_lshlrev_b32_e32 v1, 2, v0
	v_mov_b32_e32 v9, 0
	s_delay_alu instid0(VALU_DEP_2)
	v_or_b32_e32 v2, 3, v1
	s_waitcnt lgkmcnt(0)
	s_ashr_i32 s13, s12, 31
	s_mul_hi_u32 s16, s12, s15
	s_mul_i32 s13, s13, s15
	s_lshl_b64 s[14:15], s[2:3], 2
	s_add_i32 s17, s16, s13
	s_add_u32 s4, s4, s14
	s_addc_u32 s5, s5, s15
	s_mul_i32 s16, s12, s2
	s_load_b32 s13, s[4:5], 0x0
	s_lshl_b64 s[4:5], s[16:17], 2
	s_mov_b32 s2, exec_lo
	s_add_u32 s14, s10, s4
	s_addc_u32 s15, s11, s5
	s_add_u32 s16, s8, s4
	s_addc_u32 s17, s9, s5
	v_cmpx_gt_u32_e64 s12, v2
	s_cbranch_execz .LBB140_12
; %bb.1:
	s_load_b32 s19, s[0:1], 0x44
	s_cmp_lg_u64 s[6:7], 0
	v_dual_mov_b32 v2, 0 :: v_dual_mov_b32 v9, 0
	s_cselect_b32 s18, -1, 0
	s_waitcnt lgkmcnt(0)
	s_and_b32 s19, s19, 0xffff
	s_delay_alu instid0(SALU_CYCLE_1)
	s_lshl_b32 s19, s19, 2
	s_add_u32 s20, s6, 4
	s_addc_u32 s21, s7, 0
	s_add_u32 s22, s6, 8
	s_addc_u32 s23, s7, 0
	;; [unrolled: 2-line block ×3, first 2 shown]
	s_branch .LBB140_3
.LBB140_2:                              ;   in Loop: Header=BB140_3 Depth=1
	global_load_b32 v5, v[5:6], off offset:12
	global_load_b32 v3, v[3:4], off offset:12
	v_add_nc_u32_e32 v1, s19, v1
	s_waitcnt vmcnt(1)
	v_mul_f32_e32 v5, v14, v5
	s_waitcnt vmcnt(0)
	s_delay_alu instid0(VALU_DEP_1) | instskip(SKIP_1) | instid1(VALU_DEP_1)
	v_dual_mul_f32 v6, v10, v16 :: v_dual_mul_f32 v3, v3, v5
	v_mul_f32_e32 v4, v11, v13
	v_mul_f32_e32 v4, v12, v4
	s_delay_alu instid0(VALU_DEP_1) | instskip(NEXT) | instid1(VALU_DEP_1)
	v_dual_fmac_f32 v9, s13, v4 :: v_dual_mul_f32 v4, v15, v6
	v_dual_mul_f32 v6, v18, v19 :: v_dual_fmac_f32 v9, s13, v4
	s_delay_alu instid0(VALU_DEP_1) | instskip(NEXT) | instid1(VALU_DEP_1)
	v_mul_f32_e32 v4, v17, v6
	v_dual_fmac_f32 v9, s13, v4 :: v_dual_add_nc_u32 v6, 3, v1
	s_delay_alu instid0(VALU_DEP_1) | instskip(NEXT) | instid1(VALU_DEP_2)
	v_cmp_le_u32_e32 vcc_lo, s12, v6
	v_fmac_f32_e32 v9, s13, v3
	s_or_b32 s3, vcc_lo, s3
	s_delay_alu instid0(SALU_CYCLE_1)
	s_and_not1_b32 exec_lo, exec_lo, s3
	s_cbranch_execz .LBB140_11
.LBB140_3:                              ; =>This Inner Loop Header: Depth=1
	v_lshlrev_b64 v[7:8], 2, v[1:2]
	v_dual_mov_b32 v10, 1.0 :: v_dual_mov_b32 v11, 1.0
	s_and_b32 vcc_lo, exec_lo, s18
	s_cbranch_vccz .LBB140_5
; %bb.4:                                ;   in Loop: Header=BB140_3 Depth=1
	s_delay_alu instid0(VALU_DEP_2) | instskip(NEXT) | instid1(VALU_DEP_3)
	v_add_co_u32 v3, vcc_lo, s6, v7
	v_add_co_ci_u32_e32 v4, vcc_lo, s7, v8, vcc_lo
	global_load_b32 v11, v[3:4], off
.LBB140_5:                              ;   in Loop: Header=BB140_3 Depth=1
	s_delay_alu instid0(VALU_DEP_2) | instskip(NEXT) | instid1(VALU_DEP_3)
	v_add_co_u32 v3, vcc_lo, s14, v7
	v_add_co_ci_u32_e32 v4, vcc_lo, s15, v8, vcc_lo
	v_add_co_u32 v5, vcc_lo, s16, v7
	v_add_co_ci_u32_e32 v6, vcc_lo, s17, v8, vcc_lo
	s_and_not1_b32 vcc_lo, exec_lo, s18
	global_load_b32 v12, v[3:4], off
	global_load_b32 v13, v[5:6], off
	s_cbranch_vccnz .LBB140_7
; %bb.6:                                ;   in Loop: Header=BB140_3 Depth=1
	v_add_co_u32 v14, vcc_lo, s20, v7
	v_add_co_ci_u32_e32 v15, vcc_lo, s21, v8, vcc_lo
	global_load_b32 v10, v[14:15], off
.LBB140_7:                              ;   in Loop: Header=BB140_3 Depth=1
	global_load_b32 v15, v[3:4], off offset:4
	global_load_b32 v16, v[5:6], off offset:4
	v_mov_b32_e32 v14, 1.0
	v_mov_b32_e32 v18, 1.0
	s_and_not1_b32 vcc_lo, exec_lo, s18
	s_cbranch_vccnz .LBB140_9
; %bb.8:                                ;   in Loop: Header=BB140_3 Depth=1
	v_add_co_u32 v17, vcc_lo, s22, v7
	v_add_co_ci_u32_e32 v18, vcc_lo, s23, v8, vcc_lo
	global_load_b32 v18, v[17:18], off
.LBB140_9:                              ;   in Loop: Header=BB140_3 Depth=1
	global_load_b32 v17, v[3:4], off offset:8
	global_load_b32 v19, v[5:6], off offset:8
	s_and_not1_b32 vcc_lo, exec_lo, s18
	s_cbranch_vccnz .LBB140_2
; %bb.10:                               ;   in Loop: Header=BB140_3 Depth=1
	v_add_co_u32 v7, vcc_lo, s24, v7
	v_add_co_ci_u32_e32 v8, vcc_lo, s25, v8, vcc_lo
	global_load_b32 v14, v[7:8], off
	s_branch .LBB140_2
.LBB140_11:
	s_or_b32 exec_lo, exec_lo, s3
.LBB140_12:
	s_delay_alu instid0(SALU_CYCLE_1) | instskip(NEXT) | instid1(SALU_CYCLE_1)
	s_or_b32 exec_lo, exec_lo, s2
	s_mov_b32 s3, exec_lo
	v_cmpx_gt_u32_e64 s12, v1
	s_cbranch_execz .LBB140_19
; %bb.13:
	v_mov_b32_e32 v2, 0
	s_cmp_lg_u64 s[6:7], 0
	s_delay_alu instid0(VALU_DEP_1) | instskip(NEXT) | instid1(VALU_DEP_1)
	v_lshlrev_b64 v[2:3], 2, v[1:2]
	v_add_co_u32 v6, vcc_lo, s4, v2
	s_delay_alu instid0(VALU_DEP_2) | instskip(SKIP_2) | instid1(VALU_DEP_4)
	v_add_co_ci_u32_e32 v7, vcc_lo, s5, v3, vcc_lo
	v_add_co_u32 v2, vcc_lo, s6, v2
	v_add_co_ci_u32_e32 v3, vcc_lo, s7, v3, vcc_lo
	v_add_co_u32 v4, vcc_lo, s10, v6
	s_delay_alu instid0(VALU_DEP_4)
	v_add_co_ci_u32_e32 v5, vcc_lo, s11, v7, vcc_lo
	v_add_co_u32 v6, vcc_lo, s8, v6
	v_add_co_ci_u32_e32 v7, vcc_lo, s9, v7, vcc_lo
	s_cselect_b32 s8, -1, 0
	s_mov_b32 s9, 0
	s_set_inst_prefetch_distance 0x1
	s_branch .LBB140_16
	.p2align	6
.LBB140_14:                             ;   in Loop: Header=BB140_16 Depth=1
	global_load_b32 v8, v[2:3], off
.LBB140_15:                             ;   in Loop: Header=BB140_16 Depth=1
	global_load_b32 v10, v[6:7], off
	global_load_b32 v11, v[4:5], off
	v_add_nc_u32_e32 v1, 1, v1
	v_add_co_u32 v2, vcc_lo, v2, 4
	v_add_co_ci_u32_e32 v3, vcc_lo, 0, v3, vcc_lo
	v_add_co_u32 v4, vcc_lo, v4, 4
	v_add_co_ci_u32_e32 v5, vcc_lo, 0, v5, vcc_lo
	v_add_co_u32 v6, s2, v6, 4
	s_delay_alu instid0(VALU_DEP_1) | instskip(SKIP_4) | instid1(VALU_DEP_2)
	v_add_co_ci_u32_e64 v7, s2, 0, v7, s2
	s_waitcnt vmcnt(1)
	v_mul_f32_e32 v8, v8, v10
	v_cmp_le_u32_e32 vcc_lo, s12, v1
	s_waitcnt vmcnt(0)
	v_mul_f32_e32 v8, v11, v8
	s_or_b32 s9, vcc_lo, s9
	s_waitcnt lgkmcnt(0)
	s_delay_alu instid0(VALU_DEP_1)
	v_fmac_f32_e32 v9, s13, v8
	s_and_not1_b32 exec_lo, exec_lo, s9
	s_cbranch_execz .LBB140_18
.LBB140_16:                             ; =>This Inner Loop Header: Depth=1
	s_and_not1_b32 vcc_lo, exec_lo, s8
	s_cbranch_vccz .LBB140_14
; %bb.17:                               ;   in Loop: Header=BB140_16 Depth=1
	v_mov_b32_e32 v8, 1.0
	s_branch .LBB140_15
.LBB140_18:
	s_set_inst_prefetch_distance 0x2
	s_or_b32 exec_lo, exec_lo, s9
.LBB140_19:
	s_delay_alu instid0(SALU_CYCLE_1)
	s_or_b32 exec_lo, exec_lo, s3
	v_mbcnt_lo_u32_b32 v5, -1, 0
	s_mov_b32 s2, exec_lo
	s_waitcnt lgkmcnt(0)
	s_barrier
	buffer_gl0_inv
	v_cmp_gt_u32_e32 vcc_lo, 16, v5
	v_cndmask_b32_e64 v1, 0, 1, vcc_lo
	v_cmp_gt_u32_e32 vcc_lo, 24, v5
	s_delay_alu instid0(VALU_DEP_2) | instskip(SKIP_2) | instid1(VALU_DEP_3)
	v_lshlrev_b32_e32 v1, 4, v1
	v_cndmask_b32_e64 v2, 0, 1, vcc_lo
	v_cmp_gt_u32_e32 vcc_lo, 28, v5
	v_add_lshl_u32 v1, v1, v5, 2
	s_delay_alu instid0(VALU_DEP_3)
	v_lshlrev_b32_e32 v2, 3, v2
	ds_bpermute_b32 v3, v1, v9
	v_add_lshl_u32 v2, v2, v5, 2
	s_waitcnt lgkmcnt(0)
	v_add_f32_e32 v4, v9, v3
	v_cndmask_b32_e64 v3, 0, 1, vcc_lo
	v_cmp_gt_u32_e32 vcc_lo, 30, v5
	ds_bpermute_b32 v6, v2, v4
	s_waitcnt lgkmcnt(0)
	v_dual_add_f32 v6, v4, v6 :: v_dual_lshlrev_b32 v3, 2, v3
	s_delay_alu instid0(VALU_DEP_1) | instskip(SKIP_4) | instid1(VALU_DEP_1)
	v_add_lshl_u32 v3, v3, v5, 2
	v_cndmask_b32_e64 v4, 0, 1, vcc_lo
	v_cmp_ne_u32_e32 vcc_lo, 31, v5
	ds_bpermute_b32 v7, v3, v6
	v_lshlrev_b32_e32 v4, 1, v4
	v_add_lshl_u32 v4, v4, v5, 2
	v_add_co_ci_u32_e32 v5, vcc_lo, 0, v5, vcc_lo
	s_waitcnt lgkmcnt(0)
	s_delay_alu instid0(VALU_DEP_1)
	v_dual_add_f32 v6, v6, v7 :: v_dual_lshlrev_b32 v5, 2, v5
	ds_bpermute_b32 v7, v4, v6
	s_waitcnt lgkmcnt(0)
	v_dual_add_f32 v7, v6, v7 :: v_dual_and_b32 v6, 31, v0
	ds_bpermute_b32 v8, v5, v7
	v_cmpx_eq_u32_e32 0, v6
	s_cbranch_execz .LBB140_21
; %bb.20:
	v_lshrrev_b32_e32 v9, 3, v0
	s_waitcnt lgkmcnt(0)
	v_add_f32_e32 v7, v7, v8
	s_delay_alu instid0(VALU_DEP_2)
	v_add_nc_u32_e32 v9, 0, v9
	ds_store_b32 v9, v7
.LBB140_21:
	s_or_b32 exec_lo, exec_lo, s2
	s_waitcnt lgkmcnt(0)
	s_barrier
	buffer_gl0_inv
	s_load_b32 s2, s[0:1], 0x44
	v_mov_b32_e32 v7, 0
	s_waitcnt lgkmcnt(0)
	s_bfe_u32 s3, s2, 0xb0005
	s_delay_alu instid0(SALU_CYCLE_1)
	v_cmp_gt_u32_e32 vcc_lo, s3, v0
	s_and_saveexec_b32 s3, vcc_lo
	s_cbranch_execz .LBB140_23
; %bb.22:
	v_lshl_add_u32 v6, v6, 2, 0
	ds_load_b32 v7, v6
.LBB140_23:
	s_or_b32 exec_lo, exec_lo, s3
	s_delay_alu instid0(SALU_CYCLE_1)
	s_mov_b32 s3, exec_lo
	v_cmpx_gt_u32_e32 32, v0
	s_cbranch_execz .LBB140_25
; %bb.24:
	s_waitcnt lgkmcnt(0)
	ds_bpermute_b32 v1, v1, v7
	s_waitcnt lgkmcnt(0)
	v_add_f32_e32 v1, v7, v1
	ds_bpermute_b32 v2, v2, v1
	s_waitcnt lgkmcnt(0)
	v_add_f32_e32 v1, v1, v2
	;; [unrolled: 3-line block ×5, first 2 shown]
.LBB140_25:
	s_or_b32 exec_lo, exec_lo, s3
	s_delay_alu instid0(SALU_CYCLE_1)
	s_mov_b32 s3, exec_lo
	v_cmpx_eq_u32_e32 0, v0
	s_cbranch_execz .LBB140_27
; %bb.26:
	v_mov_b32_e32 v1, 0
	s_waitcnt lgkmcnt(0)
	ds_store_b32 v1, v7 offset:4
.LBB140_27:
	s_or_b32 exec_lo, exec_lo, s3
	s_waitcnt lgkmcnt(0)
	s_barrier
	buffer_gl0_inv
	s_mov_b32 s3, exec_lo
	v_cmpx_gt_i32_e64 s12, v0
	s_cbranch_execz .LBB140_33
; %bb.28:
	v_cvt_f32_i32_e32 v3, s12
	s_load_b64 s[8:9], s[0:1], 0x28
	s_and_b32 s1, s2, 0xffff
	s_delay_alu instid0(VALU_DEP_1) | instskip(SKIP_1) | instid1(VALU_DEP_2)
	v_div_scale_f32 v1, null, v3, v3, 1.0
	v_div_scale_f32 v5, vcc_lo, 1.0, v3, 1.0
	v_rcp_f32_e32 v2, v1
	s_waitcnt_depctr 0xfff
	v_fma_f32 v4, -v1, v2, 1.0
	s_waitcnt lgkmcnt(0)
	s_add_u32 s2, s8, s4
	s_addc_u32 s3, s9, s5
	s_cmp_lg_u64 s[6:7], 0
	s_mov_b32 s5, 0
	v_fmac_f32_e32 v2, v4, v2
	s_cselect_b32 s4, -1, 0
	s_delay_alu instid0(VALU_DEP_1) | instskip(NEXT) | instid1(VALU_DEP_1)
	v_mul_f32_e32 v6, v5, v2
	v_fma_f32 v4, -v1, v6, v5
	s_delay_alu instid0(VALU_DEP_1) | instskip(SKIP_1) | instid1(VALU_DEP_2)
	v_fmac_f32_e32 v6, v4, v2
	v_mov_b32_e32 v4, 0
	v_fma_f32 v1, -v1, v6, v5
	ds_load_b32 v4, v4 offset:4
	v_div_fmas_f32 v1, v1, v2, v6
	s_delay_alu instid0(VALU_DEP_1) | instskip(NEXT) | instid1(VALU_DEP_1)
	v_div_fixup_f32 v1, v1, v3, 1.0
	v_mul_f32_e32 v5, s13, v1
	s_set_inst_prefetch_distance 0x1
	s_branch .LBB140_31
	.p2align	6
.LBB140_29:                             ;   in Loop: Header=BB140_31 Depth=1
	v_add_co_u32 v8, vcc_lo, s6, v1
	v_add_co_ci_u32_e32 v9, vcc_lo, s7, v2, vcc_lo
	global_load_b32 v8, v[8:9], off
.LBB140_30:                             ;   in Loop: Header=BB140_31 Depth=1
	s_waitcnt vmcnt(1)
	v_dual_mul_f32 v7, s13, v7 :: v_dual_add_nc_u32 v0, s1, v0
	s_waitcnt vmcnt(0)
	v_mul_f32_e32 v8, v8, v3
	v_add_co_u32 v1, s0, s2, v1
	s_waitcnt lgkmcnt(0)
	v_mul_f32_e32 v7, v4, v7
	v_cmp_le_i32_e32 vcc_lo, s12, v0
	v_add_co_ci_u32_e64 v2, s0, s3, v2, s0
	s_delay_alu instid0(VALU_DEP_3) | instskip(SKIP_1) | instid1(VALU_DEP_1)
	v_fma_f32 v6, v6, v8, -v7
	s_or_b32 s5, vcc_lo, s5
	v_mul_f32_e32 v6, v5, v6
	global_store_b32 v[1:2], v6, off
	s_and_not1_b32 exec_lo, exec_lo, s5
	s_cbranch_execz .LBB140_33
.LBB140_31:                             ; =>This Inner Loop Header: Depth=1
	v_ashrrev_i32_e32 v1, 31, v0
	s_delay_alu instid0(VALU_DEP_1) | instskip(NEXT) | instid1(VALU_DEP_1)
	v_lshlrev_b64 v[1:2], 2, v[0:1]
	v_add_co_u32 v6, vcc_lo, s14, v1
	s_delay_alu instid0(VALU_DEP_2)
	v_add_co_ci_u32_e32 v7, vcc_lo, s15, v2, vcc_lo
	v_add_co_u32 v8, vcc_lo, s16, v1
	v_add_co_ci_u32_e32 v9, vcc_lo, s17, v2, vcc_lo
	s_and_not1_b32 vcc_lo, exec_lo, s4
	global_load_b32 v7, v[6:7], off
	global_load_b32 v6, v[8:9], off
	s_cbranch_vccz .LBB140_29
; %bb.32:                               ;   in Loop: Header=BB140_31 Depth=1
	v_mov_b32_e32 v8, 1.0
	s_branch .LBB140_30
.LBB140_33:
	s_set_inst_prefetch_distance 0x2
	s_nop 0
	s_sendmsg sendmsg(MSG_DEALLOC_VGPRS)
	s_endpgm
	.section	.rodata,"a",@progbits
	.p2align	6, 0x0
	.amdhsa_kernel _ZN2at6native12_GLOBAL__N_128layer_norm_grad_input_kernelIffLb1EEEvPKT_S5_PKT0_S8_S5_PS3_i
		.amdhsa_group_segment_fixed_size 0
		.amdhsa_private_segment_fixed_size 0
		.amdhsa_kernarg_size 312
		.amdhsa_user_sgpr_count 15
		.amdhsa_user_sgpr_dispatch_ptr 0
		.amdhsa_user_sgpr_queue_ptr 0
		.amdhsa_user_sgpr_kernarg_segment_ptr 1
		.amdhsa_user_sgpr_dispatch_id 0
		.amdhsa_user_sgpr_private_segment_size 0
		.amdhsa_wavefront_size32 1
		.amdhsa_uses_dynamic_stack 0
		.amdhsa_enable_private_segment 0
		.amdhsa_system_sgpr_workgroup_id_x 1
		.amdhsa_system_sgpr_workgroup_id_y 0
		.amdhsa_system_sgpr_workgroup_id_z 0
		.amdhsa_system_sgpr_workgroup_info 0
		.amdhsa_system_vgpr_workitem_id 0
		.amdhsa_next_free_vgpr 20
		.amdhsa_next_free_sgpr 26
		.amdhsa_reserve_vcc 1
		.amdhsa_float_round_mode_32 0
		.amdhsa_float_round_mode_16_64 0
		.amdhsa_float_denorm_mode_32 3
		.amdhsa_float_denorm_mode_16_64 3
		.amdhsa_dx10_clamp 1
		.amdhsa_ieee_mode 1
		.amdhsa_fp16_overflow 0
		.amdhsa_workgroup_processor_mode 1
		.amdhsa_memory_ordered 1
		.amdhsa_forward_progress 0
		.amdhsa_shared_vgpr_count 0
		.amdhsa_exception_fp_ieee_invalid_op 0
		.amdhsa_exception_fp_denorm_src 0
		.amdhsa_exception_fp_ieee_div_zero 0
		.amdhsa_exception_fp_ieee_overflow 0
		.amdhsa_exception_fp_ieee_underflow 0
		.amdhsa_exception_fp_ieee_inexact 0
		.amdhsa_exception_int_div_zero 0
	.end_amdhsa_kernel
	.section	.text._ZN2at6native12_GLOBAL__N_128layer_norm_grad_input_kernelIffLb1EEEvPKT_S5_PKT0_S8_S5_PS3_i,"axG",@progbits,_ZN2at6native12_GLOBAL__N_128layer_norm_grad_input_kernelIffLb1EEEvPKT_S5_PKT0_S8_S5_PS3_i,comdat
.Lfunc_end140:
	.size	_ZN2at6native12_GLOBAL__N_128layer_norm_grad_input_kernelIffLb1EEEvPKT_S5_PKT0_S8_S5_PS3_i, .Lfunc_end140-_ZN2at6native12_GLOBAL__N_128layer_norm_grad_input_kernelIffLb1EEEvPKT_S5_PKT0_S8_S5_PS3_i
                                        ; -- End function
	.section	.AMDGPU.csdata,"",@progbits
; Kernel info:
; codeLenInByte = 1680
; NumSgprs: 28
; NumVgprs: 20
; ScratchSize: 0
; MemoryBound: 0
; FloatMode: 240
; IeeeMode: 1
; LDSByteSize: 0 bytes/workgroup (compile time only)
; SGPRBlocks: 3
; VGPRBlocks: 2
; NumSGPRsForWavesPerEU: 28
; NumVGPRsForWavesPerEU: 20
; Occupancy: 16
; WaveLimiterHint : 0
; COMPUTE_PGM_RSRC2:SCRATCH_EN: 0
; COMPUTE_PGM_RSRC2:USER_SGPR: 15
; COMPUTE_PGM_RSRC2:TRAP_HANDLER: 0
; COMPUTE_PGM_RSRC2:TGID_X_EN: 1
; COMPUTE_PGM_RSRC2:TGID_Y_EN: 0
; COMPUTE_PGM_RSRC2:TGID_Z_EN: 0
; COMPUTE_PGM_RSRC2:TIDIG_COMP_CNT: 0
	.section	.text._ZN2at6native12_GLOBAL__N_133GammaBetaBackwardSimpleCUDAKernelIffLb1EEEvllPKT_S5_PKT0_S8_PS3_S9_,"axG",@progbits,_ZN2at6native12_GLOBAL__N_133GammaBetaBackwardSimpleCUDAKernelIffLb1EEEvllPKT_S5_PKT0_S8_PS3_S9_,comdat
	.globl	_ZN2at6native12_GLOBAL__N_133GammaBetaBackwardSimpleCUDAKernelIffLb1EEEvllPKT_S5_PKT0_S8_PS3_S9_ ; -- Begin function _ZN2at6native12_GLOBAL__N_133GammaBetaBackwardSimpleCUDAKernelIffLb1EEEvllPKT_S5_PKT0_S8_PS3_S9_
	.p2align	8
	.type	_ZN2at6native12_GLOBAL__N_133GammaBetaBackwardSimpleCUDAKernelIffLb1EEEvllPKT_S5_PKT0_S8_PS3_S9_,@function
_ZN2at6native12_GLOBAL__N_133GammaBetaBackwardSimpleCUDAKernelIffLb1EEEvllPKT_S5_PKT0_S8_PS3_S9_: ; @_ZN2at6native12_GLOBAL__N_133GammaBetaBackwardSimpleCUDAKernelIffLb1EEEvllPKT_S5_PKT0_S8_PS3_S9_
; %bb.0:
	s_clause 0x1
	s_load_b32 s2, s[0:1], 0x4c
	s_load_b256 s[4:11], s[0:1], 0x0
	v_mov_b32_e32 v1, 0
	s_waitcnt lgkmcnt(0)
	s_and_b32 s2, s2, 0xffff
	s_delay_alu instid0(VALU_DEP_1) | instid1(SALU_CYCLE_1)
	v_mad_u64_u32 v[2:3], null, s2, s15, v[0:1]
	s_mov_b32 s2, exec_lo
	s_delay_alu instid0(VALU_DEP_1)
	v_cmpx_gt_i64_e64 s[6:7], v[2:3]
	s_cbranch_execz .LBB141_8
; %bb.1:
	s_load_b128 s[0:3], s[0:1], 0x28
	v_cmp_lt_i64_e64 s12, s[4:5], 1
	v_lshlrev_b64 v[2:3], 2, v[2:3]
	s_delay_alu instid0(VALU_DEP_2)
	s_and_b32 vcc_lo, exec_lo, s12
	s_cbranch_vccnz .LBB141_6
; %bb.2:
	s_delay_alu instid0(VALU_DEP_1) | instskip(NEXT) | instid1(VALU_DEP_2)
	v_mov_b32_e32 v5, v3
	v_dual_mov_b32 v1, 0 :: v_dual_mov_b32 v4, v2
	s_waitcnt lgkmcnt(0)
	s_cmp_lg_u64 s[2:3], 0
	s_cselect_b32 s12, -1, 0
	s_lshl_b64 s[6:7], s[6:7], 2
	s_set_inst_prefetch_distance 0x1
	s_branch .LBB141_4
	.p2align	6
.LBB141_3:                              ;   in Loop: Header=BB141_4 Depth=1
	v_add_co_u32 v4, vcc_lo, v4, s6
	s_add_u32 s4, s4, -1
	s_delay_alu instid0(VALU_DEP_2)
	v_add_f32_e32 v1, v1, v0
	s_addc_u32 s5, s5, -1
	v_add_co_ci_u32_e32 v5, vcc_lo, s7, v5, vcc_lo
	s_add_u32 s0, s0, 4
	s_addc_u32 s1, s1, 0
	s_cmp_eq_u64 s[4:5], 0
	s_cbranch_scc1 .LBB141_6
.LBB141_4:                              ; =>This Inner Loop Header: Depth=1
	v_mov_b32_e32 v0, 0
	s_and_not1_b32 vcc_lo, exec_lo, s12
	s_cbranch_vccnz .LBB141_3
; %bb.5:                                ;   in Loop: Header=BB141_4 Depth=1
	v_add_co_u32 v6, vcc_lo, s8, v4
	v_add_co_ci_u32_e32 v7, vcc_lo, s9, v5, vcc_lo
	v_add_co_u32 v8, vcc_lo, s10, v4
	v_add_co_ci_u32_e32 v9, vcc_lo, s11, v5, vcc_lo
	global_load_b32 v0, v[6:7], off
	global_load_b32 v6, v[8:9], off
	s_load_b32 s13, s[0:1], 0x0
	s_waitcnt vmcnt(0)
	v_mul_f32_e32 v0, v0, v6
	s_waitcnt lgkmcnt(0)
	s_delay_alu instid0(VALU_DEP_1)
	v_mul_f32_e32 v0, s13, v0
	s_branch .LBB141_3
.LBB141_6:
	s_set_inst_prefetch_distance 0x2
	s_waitcnt lgkmcnt(0)
	s_cmp_lg_u64 s[2:3], 0
	s_cbranch_scc0 .LBB141_8
; %bb.7:
	v_add_co_u32 v2, vcc_lo, s2, v2
	v_add_co_ci_u32_e32 v3, vcc_lo, s3, v3, vcc_lo
	global_store_b32 v[2:3], v1, off
.LBB141_8:
	s_nop 0
	s_sendmsg sendmsg(MSG_DEALLOC_VGPRS)
	s_endpgm
	.section	.rodata,"a",@progbits
	.p2align	6, 0x0
	.amdhsa_kernel _ZN2at6native12_GLOBAL__N_133GammaBetaBackwardSimpleCUDAKernelIffLb1EEEvllPKT_S5_PKT0_S8_PS3_S9_
		.amdhsa_group_segment_fixed_size 0
		.amdhsa_private_segment_fixed_size 0
		.amdhsa_kernarg_size 320
		.amdhsa_user_sgpr_count 15
		.amdhsa_user_sgpr_dispatch_ptr 0
		.amdhsa_user_sgpr_queue_ptr 0
		.amdhsa_user_sgpr_kernarg_segment_ptr 1
		.amdhsa_user_sgpr_dispatch_id 0
		.amdhsa_user_sgpr_private_segment_size 0
		.amdhsa_wavefront_size32 1
		.amdhsa_uses_dynamic_stack 0
		.amdhsa_enable_private_segment 0
		.amdhsa_system_sgpr_workgroup_id_x 1
		.amdhsa_system_sgpr_workgroup_id_y 0
		.amdhsa_system_sgpr_workgroup_id_z 0
		.amdhsa_system_sgpr_workgroup_info 0
		.amdhsa_system_vgpr_workitem_id 0
		.amdhsa_next_free_vgpr 10
		.amdhsa_next_free_sgpr 16
		.amdhsa_reserve_vcc 1
		.amdhsa_float_round_mode_32 0
		.amdhsa_float_round_mode_16_64 0
		.amdhsa_float_denorm_mode_32 3
		.amdhsa_float_denorm_mode_16_64 3
		.amdhsa_dx10_clamp 1
		.amdhsa_ieee_mode 1
		.amdhsa_fp16_overflow 0
		.amdhsa_workgroup_processor_mode 1
		.amdhsa_memory_ordered 1
		.amdhsa_forward_progress 0
		.amdhsa_shared_vgpr_count 0
		.amdhsa_exception_fp_ieee_invalid_op 0
		.amdhsa_exception_fp_denorm_src 0
		.amdhsa_exception_fp_ieee_div_zero 0
		.amdhsa_exception_fp_ieee_overflow 0
		.amdhsa_exception_fp_ieee_underflow 0
		.amdhsa_exception_fp_ieee_inexact 0
		.amdhsa_exception_int_div_zero 0
	.end_amdhsa_kernel
	.section	.text._ZN2at6native12_GLOBAL__N_133GammaBetaBackwardSimpleCUDAKernelIffLb1EEEvllPKT_S5_PKT0_S8_PS3_S9_,"axG",@progbits,_ZN2at6native12_GLOBAL__N_133GammaBetaBackwardSimpleCUDAKernelIffLb1EEEvllPKT_S5_PKT0_S8_PS3_S9_,comdat
.Lfunc_end141:
	.size	_ZN2at6native12_GLOBAL__N_133GammaBetaBackwardSimpleCUDAKernelIffLb1EEEvllPKT_S5_PKT0_S8_PS3_S9_, .Lfunc_end141-_ZN2at6native12_GLOBAL__N_133GammaBetaBackwardSimpleCUDAKernelIffLb1EEEvllPKT_S5_PKT0_S8_PS3_S9_
                                        ; -- End function
	.section	.AMDGPU.csdata,"",@progbits
; Kernel info:
; codeLenInByte = 320
; NumSgprs: 18
; NumVgprs: 10
; ScratchSize: 0
; MemoryBound: 0
; FloatMode: 240
; IeeeMode: 1
; LDSByteSize: 0 bytes/workgroup (compile time only)
; SGPRBlocks: 2
; VGPRBlocks: 1
; NumSGPRsForWavesPerEU: 18
; NumVGPRsForWavesPerEU: 10
; Occupancy: 16
; WaveLimiterHint : 0
; COMPUTE_PGM_RSRC2:SCRATCH_EN: 0
; COMPUTE_PGM_RSRC2:USER_SGPR: 15
; COMPUTE_PGM_RSRC2:TRAP_HANDLER: 0
; COMPUTE_PGM_RSRC2:TGID_X_EN: 1
; COMPUTE_PGM_RSRC2:TGID_Y_EN: 0
; COMPUTE_PGM_RSRC2:TGID_Z_EN: 0
; COMPUTE_PGM_RSRC2:TIDIG_COMP_CNT: 0
	.section	.text._ZN2at6native12_GLOBAL__N_135GammaBetaBackwardCUDAKernelTemplateIffLj64ELj1ELj32ELb1ELb1ELb1EEEvllPKT_S5_PKT0_S8_PS3_S9_,"axG",@progbits,_ZN2at6native12_GLOBAL__N_135GammaBetaBackwardCUDAKernelTemplateIffLj64ELj1ELj32ELb1ELb1ELb1EEEvllPKT_S5_PKT0_S8_PS3_S9_,comdat
	.globl	_ZN2at6native12_GLOBAL__N_135GammaBetaBackwardCUDAKernelTemplateIffLj64ELj1ELj32ELb1ELb1ELb1EEEvllPKT_S5_PKT0_S8_PS3_S9_ ; -- Begin function _ZN2at6native12_GLOBAL__N_135GammaBetaBackwardCUDAKernelTemplateIffLj64ELj1ELj32ELb1ELb1ELb1EEEvllPKT_S5_PKT0_S8_PS3_S9_
	.p2align	8
	.type	_ZN2at6native12_GLOBAL__N_135GammaBetaBackwardCUDAKernelTemplateIffLj64ELj1ELj32ELb1ELb1ELb1EEEvllPKT_S5_PKT0_S8_PS3_S9_,@function
_ZN2at6native12_GLOBAL__N_135GammaBetaBackwardCUDAKernelTemplateIffLj64ELj1ELj32ELb1ELb1ELb1EEEvllPKT_S5_PKT0_S8_PS3_S9_: ; @_ZN2at6native12_GLOBAL__N_135GammaBetaBackwardCUDAKernelTemplateIffLj64ELj1ELj32ELb1ELb1ELb1EEEvllPKT_S5_PKT0_S8_PS3_S9_
; %bb.0:
	s_clause 0x1
	s_load_b128 s[4:7], s[0:1], 0x0
	s_load_b64 s[2:3], s[0:1], 0x30
	s_mov_b32 s13, 0
	s_lshl_b32 s12, s15, 5
	v_mov_b32_e32 v29, 0
	v_bfe_u32 v1, v0, 10, 10
	v_and_b32_e32 v0, 0x3ff, v0
	s_waitcnt lgkmcnt(0)
	v_cmp_ge_i64_e64 s8, s[12:13], s[4:5]
	s_delay_alu instid0(VALU_DEP_1)
	s_and_b32 vcc_lo, exec_lo, s8
	s_cbranch_vccnz .LBB142_5
; %bb.1:
	s_clause 0x3
	s_load_b32 s16, s[0:1], 0x4c
	s_load_b32 s17, s[0:1], 0x44
	s_load_b128 s[8:11], s[0:1], 0x10
	s_load_b64 s[18:19], s[0:1], 0x28
	v_dual_mov_b32 v3, 0 :: v_dual_lshlrev_b32 v4, 5, v1
	v_lshl_or_b32 v2, s14, 6, v0
	v_dual_mov_b32 v8, 4 :: v_dual_mov_b32 v9, 8
	v_dual_mov_b32 v10, 12 :: v_dual_mov_b32 v11, 16
	;; [unrolled: 1-line block ×7, first 2 shown]
	s_waitcnt lgkmcnt(0)
	s_and_b32 s16, s16, 0xffff
	v_dual_mov_b32 v22, 60 :: v_dual_mov_b32 v23, 64
	v_mad_u32_u24 v5, v1, s16, v0
	v_add_co_u32 v40, s16, v4, s12
	s_delay_alu instid0(VALU_DEP_1) | instskip(NEXT) | instid1(VALU_DEP_3)
	v_add_co_ci_u32_e64 v41, null, 0, 0, s16
	v_dual_mov_b32 v24, 0x44 :: v_dual_and_b32 v29, 31, v5
	s_delay_alu instid0(VALU_DEP_3) | instskip(NEXT) | instid1(VALU_DEP_3)
	v_mul_lo_u32 v6, s7, v40
	v_mul_lo_u32 v7, s6, v41
	v_mad_u64_u32 v[4:5], null, s6, v40, 0
	s_lshl_b32 s16, s17, 5
	v_mov_b32_e32 v25, 0x48
	s_mul_i32 s20, s7, s16
	s_mul_hi_u32 s21, s6, s16
	v_mov_b32_e32 v26, 0x4c
	v_mov_b32_e32 v27, 0x50
	s_delay_alu instid0(VALU_DEP_4)
	v_add3_u32 v5, v5, v7, v6
	v_mov_b32_e32 v28, 0x54
	v_mov_b32_e32 v30, 0x58
	;; [unrolled: 1-line block ×4, first 2 shown]
	v_lshlrev_b64 v[6:7], 2, v[4:5]
	v_add_co_u32 v4, vcc_lo, v40, v29
	v_mov_b32_e32 v29, 0
	v_add_co_ci_u32_e32 v5, vcc_lo, 0, v41, vcc_lo
	v_lshlrev_b64 v[40:41], 2, v[2:3]
	v_mov_b32_e32 v33, 0x64
	v_mov_b32_e32 v34, 0x68
	s_delay_alu instid0(VALU_DEP_4)
	v_lshlrev_b64 v[42:43], 2, v[4:5]
	v_mov_b32_e32 v35, 0x6c
	v_mov_b32_e32 v36, 0x70
	v_add_co_u32 v2, vcc_lo, v6, v40
	v_add_co_ci_u32_e32 v40, vcc_lo, v7, v41, vcc_lo
	v_add_co_u32 v6, vcc_lo, s18, v42
	v_mov_b32_e32 v37, 0x74
	v_mov_b32_e32 v38, 0x78
	;; [unrolled: 1-line block ×3, first 2 shown]
	v_add_co_ci_u32_e32 v7, vcc_lo, s19, v43, vcc_lo
	s_mov_b32 s17, s13
	s_add_i32 s21, s21, s20
	s_mul_i32 s20, s6, s16
	s_lshl_b64 s[22:23], s[6:7], 2
	s_lshl_b64 s[18:19], s[20:21], 2
	;; [unrolled: 1-line block ×3, first 2 shown]
	s_branch .LBB142_3
.LBB142_2:                              ;   in Loop: Header=BB142_3 Depth=1
	s_or_b32 exec_lo, exec_lo, s17
	v_add_co_u32 v42, vcc_lo, s8, v2
	v_add_co_ci_u32_e32 v43, vcc_lo, s9, v40, vcc_lo
	v_add_co_u32 v44, vcc_lo, s10, v2
	v_add_co_ci_u32_e32 v45, vcc_lo, s11, v40, vcc_lo
	s_add_u32 s12, s12, s16
	global_load_b32 v52, v[42:43], off
	global_load_b32 v53, v[44:45], off
	v_add_co_u32 v42, vcc_lo, v42, s22
	v_add_co_ci_u32_e32 v43, vcc_lo, s23, v43, vcc_lo
	v_add_co_u32 v44, vcc_lo, v44, s22
	v_add_co_ci_u32_e32 v45, vcc_lo, s23, v45, vcc_lo
	global_load_b32 v54, v[42:43], off
	global_load_b32 v55, v[44:45], off
	v_add_co_u32 v42, vcc_lo, v42, s22
	v_add_co_ci_u32_e32 v43, vcc_lo, s23, v43, vcc_lo
	v_add_co_u32 v44, vcc_lo, v44, s22
	v_add_co_ci_u32_e32 v45, vcc_lo, s23, v45, vcc_lo
	;; [unrolled: 6-line block ×5, first 2 shown]
	s_delay_alu instid0(VALU_DEP_4) | instskip(NEXT) | instid1(VALU_DEP_4)
	v_add_co_u32 v46, vcc_lo, v42, s22
	v_add_co_ci_u32_e32 v47, vcc_lo, s23, v43, vcc_lo
	s_delay_alu instid0(VALU_DEP_4) | instskip(NEXT) | instid1(VALU_DEP_4)
	v_add_co_u32 v48, vcc_lo, v44, s22
	v_add_co_ci_u32_e32 v49, vcc_lo, s23, v45, vcc_lo
	global_load_b32 v62, v[42:43], off
	global_load_b32 v63, v[44:45], off
	global_load_b32 v64, v[46:47], off
	global_load_b32 v65, v[48:49], off
	v_add_co_u32 v42, vcc_lo, v46, s22
	v_add_co_ci_u32_e32 v43, vcc_lo, s23, v47, vcc_lo
	v_add_co_u32 v44, vcc_lo, v48, s22
	v_add_co_ci_u32_e32 v45, vcc_lo, s23, v49, vcc_lo
	global_load_b32 v66, v[42:43], off
	v_add_co_u32 v42, vcc_lo, v42, s22
	v_add_co_ci_u32_e32 v43, vcc_lo, s23, v43, vcc_lo
	v_add_co_u32 v46, vcc_lo, v44, s22
	v_add_co_ci_u32_e32 v47, vcc_lo, s23, v45, vcc_lo
	s_delay_alu instid0(VALU_DEP_4) | instskip(NEXT) | instid1(VALU_DEP_4)
	v_add_co_u32 v48, vcc_lo, v42, s22
	v_add_co_ci_u32_e32 v49, vcc_lo, s23, v43, vcc_lo
	s_delay_alu instid0(VALU_DEP_4) | instskip(NEXT) | instid1(VALU_DEP_4)
	v_add_co_u32 v50, vcc_lo, v46, s22
	v_add_co_ci_u32_e32 v51, vcc_lo, s23, v47, vcc_lo
	global_load_b32 v67, v[44:45], off
	global_load_b32 v68, v[42:43], off
	global_load_b32 v69, v[46:47], off
	global_load_b32 v70, v[48:49], off
	global_load_b32 v71, v[50:51], off
	v_add_co_u32 v42, vcc_lo, v48, s22
	v_add_co_ci_u32_e32 v43, vcc_lo, s23, v49, vcc_lo
	v_add_co_u32 v44, vcc_lo, v50, s22
	v_add_co_ci_u32_e32 v45, vcc_lo, s23, v51, vcc_lo
	global_load_b32 v72, v[42:43], off
	v_add_co_u32 v42, vcc_lo, v42, s22
	v_add_co_ci_u32_e32 v43, vcc_lo, s23, v43, vcc_lo
	v_add_co_u32 v46, vcc_lo, v44, s22
	v_add_co_ci_u32_e32 v47, vcc_lo, s23, v45, vcc_lo
	s_delay_alu instid0(VALU_DEP_4) | instskip(NEXT) | instid1(VALU_DEP_4)
	v_add_co_u32 v48, vcc_lo, v42, s22
	v_add_co_ci_u32_e32 v49, vcc_lo, s23, v43, vcc_lo
	s_delay_alu instid0(VALU_DEP_4) | instskip(NEXT) | instid1(VALU_DEP_4)
	v_add_co_u32 v50, vcc_lo, v46, s22
	v_add_co_ci_u32_e32 v51, vcc_lo, s23, v47, vcc_lo
	global_load_b32 v73, v[44:45], off
	;; [unrolled: 20-line block ×5, first 2 shown]
	global_load_b32 v92, v[42:43], off
	global_load_b32 v93, v[46:47], off
	;; [unrolled: 1-line block ×4, first 2 shown]
	v_add_co_u32 v42, vcc_lo, v48, s22
	v_add_co_ci_u32_e32 v43, vcc_lo, s23, v49, vcc_lo
	v_add_co_u32 v44, vcc_lo, v50, s22
	v_add_co_ci_u32_e32 v45, vcc_lo, s23, v51, vcc_lo
	global_load_b32 v48, v[42:43], off
	v_add_co_u32 v42, vcc_lo, v42, s22
	v_add_co_ci_u32_e32 v43, vcc_lo, s23, v43, vcc_lo
	v_add_co_u32 v46, vcc_lo, v44, s22
	v_add_co_ci_u32_e32 v47, vcc_lo, s23, v45, vcc_lo
	global_load_b32 v49, v[44:45], off
	v_add_co_u32 v44, vcc_lo, v42, s22
	v_add_co_ci_u32_e32 v45, vcc_lo, s23, v43, vcc_lo
	global_load_b32 v50, v[42:43], off
	s_waitcnt vmcnt(47)
	ds_bpermute_b32 v43, v3, v41
	global_load_b32 v51, v[46:47], off
	s_addc_u32 s13, s13, 0
	s_delay_alu instid0(SALU_CYCLE_1)
	v_cmp_lt_i64_e64 s17, s[12:13], s[4:5]
	s_waitcnt vmcnt(46)
	v_mul_f32_e32 v42, v52, v53
	global_load_b32 v52, v[44:45], off
	s_waitcnt lgkmcnt(0)
	v_fmac_f32_e32 v29, v42, v43
	v_add_co_u32 v42, vcc_lo, v46, s22
	v_add_co_ci_u32_e32 v43, vcc_lo, s23, v47, vcc_lo
	v_add_co_u32 v46, vcc_lo, v44, s22
	v_add_co_ci_u32_e32 v47, vcc_lo, s23, v45, vcc_lo
	ds_bpermute_b32 v45, v8, v41
	s_waitcnt vmcnt(45)
	v_mul_f32_e32 v44, v54, v55
	global_load_b32 v53, v[42:43], off
	global_load_b32 v54, v[46:47], off
	s_waitcnt lgkmcnt(0)
	v_fmac_f32_e32 v29, v44, v45
	v_add_co_u32 v44, vcc_lo, v42, s22
	v_add_co_ci_u32_e32 v45, vcc_lo, s23, v43, vcc_lo
	v_add_co_u32 v42, vcc_lo, v46, s22
	v_add_co_ci_u32_e32 v43, vcc_lo, s23, v47, vcc_lo
	ds_bpermute_b32 v47, v9, v41
	s_waitcnt vmcnt(45)
	v_mul_f32_e32 v46, v56, v57
	global_load_b32 v55, v[44:45], off
	global_load_b32 v56, v[42:43], off
	s_waitcnt lgkmcnt(0)
	v_fmac_f32_e32 v29, v46, v47
	v_add_co_u32 v46, vcc_lo, v44, s22
	v_add_co_ci_u32_e32 v47, vcc_lo, s23, v45, vcc_lo
	v_add_co_u32 v44, vcc_lo, v42, s22
	s_waitcnt vmcnt(45)
	v_mul_f32_e32 v42, v58, v59
	v_add_co_ci_u32_e32 v45, vcc_lo, s23, v43, vcc_lo
	ds_bpermute_b32 v43, v10, v41
	global_load_b32 v57, v[46:47], off
	global_load_b32 v58, v[44:45], off
	s_waitcnt lgkmcnt(0)
	v_fmac_f32_e32 v29, v42, v43
	v_add_co_u32 v42, vcc_lo, v46, s22
	v_add_co_ci_u32_e32 v43, vcc_lo, s23, v47, vcc_lo
	v_add_co_u32 v46, vcc_lo, v44, s22
	s_waitcnt vmcnt(45)
	v_mul_f32_e32 v44, v60, v61
	v_add_co_ci_u32_e32 v47, vcc_lo, s23, v45, vcc_lo
	ds_bpermute_b32 v45, v11, v41
	;; [unrolled: 11-line block ×4, first 2 shown]
	global_load_b32 v63, v[46:47], off
	s_waitcnt vmcnt(42)
	v_mul_f32_e32 v65, v68, v69
	global_load_b32 v64, v[44:45], off
	s_waitcnt lgkmcnt(0)
	v_fmac_f32_e32 v29, v42, v43
	v_add_co_u32 v42, vcc_lo, v46, s22
	v_add_co_ci_u32_e32 v43, vcc_lo, s23, v47, vcc_lo
	v_add_co_u32 v46, vcc_lo, v44, s22
	v_add_co_ci_u32_e32 v47, vcc_lo, s23, v45, vcc_lo
	s_delay_alu instid0(VALU_DEP_4) | instskip(NEXT) | instid1(VALU_DEP_4)
	v_add_co_u32 v44, vcc_lo, v42, s22
	v_add_co_ci_u32_e32 v45, vcc_lo, s23, v43, vcc_lo
	global_load_b32 v42, v[42:43], off
	global_load_b32 v43, v[46:47], off
	;; [unrolled: 1-line block ×3, first 2 shown]
	ds_bpermute_b32 v45, v14, v41
	v_mul_f32_e32 v46, v66, v67
	ds_bpermute_b32 v47, v15, v41
	ds_bpermute_b32 v66, v18, v41
	v_add_co_u32 v2, vcc_lo, v2, s18
	v_add_co_ci_u32_e32 v40, vcc_lo, s19, v40, vcc_lo
	v_add_co_u32 v6, vcc_lo, v6, s20
	v_add_co_ci_u32_e32 v7, vcc_lo, s21, v7, vcc_lo
	v_add_co_u32 v4, vcc_lo, v4, s16
	v_add_co_ci_u32_e32 v5, vcc_lo, 0, v5, vcc_lo
	s_and_b32 vcc_lo, exec_lo, s17
	s_waitcnt vmcnt(2) lgkmcnt(2)
	v_dual_mul_f32 v42, v64, v42 :: v_dual_fmac_f32 v29, v46, v45
	ds_bpermute_b32 v45, v16, v41
	ds_bpermute_b32 v46, v17, v41
	s_waitcnt lgkmcnt(3)
	v_fmac_f32_e32 v29, v65, v47
	v_mul_f32_e32 v47, v70, v71
	ds_bpermute_b32 v65, v19, v41
	s_waitcnt lgkmcnt(2)
	v_fmac_f32_e32 v29, v47, v45
	v_mul_f32_e32 v45, v72, v73
	;; [unrolled: 4-line block ×3, first 2 shown]
	ds_bpermute_b32 v46, v21, v41
	v_fmac_f32_e32 v29, v45, v66
	v_mul_f32_e32 v45, v76, v77
	ds_bpermute_b32 v66, v22, v41
	s_waitcnt lgkmcnt(3)
	v_fmac_f32_e32 v29, v45, v65
	v_mul_f32_e32 v45, v78, v79
	ds_bpermute_b32 v65, v23, v41
	s_waitcnt lgkmcnt(3)
	;; [unrolled: 4-line block ×10, first 2 shown]
	v_fmac_f32_e32 v29, v45, v47
	v_mul_f32_e32 v45, v48, v49
	ds_bpermute_b32 v47, v33, v41
	ds_bpermute_b32 v48, v35, v41
	;; [unrolled: 1-line block ×3, first 2 shown]
	s_waitcnt lgkmcnt(5)
	v_fmac_f32_e32 v29, v45, v46
	v_mul_f32_e32 v45, v50, v51
	ds_bpermute_b32 v46, v34, v41
	s_waitcnt lgkmcnt(5)
	v_fmac_f32_e32 v29, v45, v66
	v_mul_f32_e32 v45, v52, v53
	s_waitcnt lgkmcnt(4)
	s_delay_alu instid0(VALU_DEP_1) | instskip(SKIP_2) | instid1(VALU_DEP_1)
	v_fmac_f32_e32 v29, v45, v65
	v_mul_f32_e32 v45, v54, v55
	s_waitcnt lgkmcnt(3)
	v_fmac_f32_e32 v29, v45, v47
	v_mul_f32_e32 v45, v56, v57
	ds_bpermute_b32 v47, v37, v41
	s_waitcnt lgkmcnt(1)
	v_fmac_f32_e32 v29, v45, v46
	v_mul_f32_e32 v45, v58, v59
	ds_bpermute_b32 v46, v38, v41
	ds_bpermute_b32 v41, v39, v41
	v_fmac_f32_e32 v29, v45, v48
	v_mul_f32_e32 v45, v60, v61
	s_delay_alu instid0(VALU_DEP_1) | instskip(SKIP_2) | instid1(VALU_DEP_1)
	v_fmac_f32_e32 v29, v45, v49
	v_mul_f32_e32 v45, v62, v63
	s_waitcnt lgkmcnt(2)
	v_fmac_f32_e32 v29, v45, v47
	s_waitcnt vmcnt(0) lgkmcnt(1)
	s_delay_alu instid0(VALU_DEP_1) | instskip(SKIP_1) | instid1(VALU_DEP_1)
	v_dual_fmac_f32 v29, v42, v46 :: v_dual_mul_f32 v42, v43, v44
	s_waitcnt lgkmcnt(0)
	v_fmac_f32_e32 v29, v42, v41
	s_cbranch_vccz .LBB142_5
.LBB142_3:                              ; =>This Inner Loop Header: Depth=1
	v_mov_b32_e32 v41, 0
	s_mov_b32 s17, exec_lo
	v_cmpx_gt_i64_e64 s[4:5], v[4:5]
	s_cbranch_execz .LBB142_2
; %bb.4:                                ;   in Loop: Header=BB142_3 Depth=1
	global_load_b32 v41, v[6:7], off
	s_branch .LBB142_2
.LBB142_5:
	s_cmp_eq_u64 s[2:3], 0
	s_cbranch_scc1 .LBB142_7
; %bb.6:
	s_load_b32 s0, s[0:1], 0x4c
	v_mov_b32_e32 v2, 0
	v_lshlrev_b32_e32 v0, 2, v0
	s_waitcnt lgkmcnt(0)
	s_lshr_b32 s0, s0, 16
	s_delay_alu instid0(VALU_DEP_2) | instid1(SALU_CYCLE_1)
	v_mad_u64_u32 v[3:4], null, s0, s15, v[1:2]
	s_mov_b32 s15, 0
	s_delay_alu instid0(SALU_CYCLE_1) | instskip(NEXT) | instid1(SALU_CYCLE_1)
	s_lshl_b64 s[0:1], s[14:15], 8
	s_add_u32 s0, s0, s2
	s_addc_u32 s1, s1, s3
	s_delay_alu instid0(VALU_DEP_1) | instskip(NEXT) | instid1(VALU_DEP_2)
	v_mul_lo_u32 v4, v4, s6
	v_mul_lo_u32 v5, v3, s7
	v_mad_u64_u32 v[1:2], null, v3, s6, 0
	s_delay_alu instid0(VALU_DEP_1) | instskip(NEXT) | instid1(VALU_DEP_1)
	v_add3_u32 v2, v2, v5, v4
	v_lshlrev_b64 v[1:2], 2, v[1:2]
	s_delay_alu instid0(VALU_DEP_1) | instskip(NEXT) | instid1(VALU_DEP_2)
	v_add_co_u32 v1, vcc_lo, s0, v1
	v_add_co_ci_u32_e32 v2, vcc_lo, s1, v2, vcc_lo
	s_delay_alu instid0(VALU_DEP_2) | instskip(NEXT) | instid1(VALU_DEP_2)
	v_add_co_u32 v0, vcc_lo, v1, v0
	v_add_co_ci_u32_e32 v1, vcc_lo, 0, v2, vcc_lo
	global_store_b32 v[0:1], v29, off
.LBB142_7:
	s_nop 0
	s_sendmsg sendmsg(MSG_DEALLOC_VGPRS)
	s_endpgm
	.section	.rodata,"a",@progbits
	.p2align	6, 0x0
	.amdhsa_kernel _ZN2at6native12_GLOBAL__N_135GammaBetaBackwardCUDAKernelTemplateIffLj64ELj1ELj32ELb1ELb1ELb1EEEvllPKT_S5_PKT0_S8_PS3_S9_
		.amdhsa_group_segment_fixed_size 0
		.amdhsa_private_segment_fixed_size 0
		.amdhsa_kernarg_size 320
		.amdhsa_user_sgpr_count 14
		.amdhsa_user_sgpr_dispatch_ptr 0
		.amdhsa_user_sgpr_queue_ptr 0
		.amdhsa_user_sgpr_kernarg_segment_ptr 1
		.amdhsa_user_sgpr_dispatch_id 0
		.amdhsa_user_sgpr_private_segment_size 0
		.amdhsa_wavefront_size32 1
		.amdhsa_uses_dynamic_stack 0
		.amdhsa_enable_private_segment 0
		.amdhsa_system_sgpr_workgroup_id_x 1
		.amdhsa_system_sgpr_workgroup_id_y 1
		.amdhsa_system_sgpr_workgroup_id_z 0
		.amdhsa_system_sgpr_workgroup_info 0
		.amdhsa_system_vgpr_workitem_id 1
		.amdhsa_next_free_vgpr 96
		.amdhsa_next_free_sgpr 24
		.amdhsa_reserve_vcc 1
		.amdhsa_float_round_mode_32 0
		.amdhsa_float_round_mode_16_64 0
		.amdhsa_float_denorm_mode_32 3
		.amdhsa_float_denorm_mode_16_64 3
		.amdhsa_dx10_clamp 1
		.amdhsa_ieee_mode 1
		.amdhsa_fp16_overflow 0
		.amdhsa_workgroup_processor_mode 1
		.amdhsa_memory_ordered 1
		.amdhsa_forward_progress 0
		.amdhsa_shared_vgpr_count 0
		.amdhsa_exception_fp_ieee_invalid_op 0
		.amdhsa_exception_fp_denorm_src 0
		.amdhsa_exception_fp_ieee_div_zero 0
		.amdhsa_exception_fp_ieee_overflow 0
		.amdhsa_exception_fp_ieee_underflow 0
		.amdhsa_exception_fp_ieee_inexact 0
		.amdhsa_exception_int_div_zero 0
	.end_amdhsa_kernel
	.section	.text._ZN2at6native12_GLOBAL__N_135GammaBetaBackwardCUDAKernelTemplateIffLj64ELj1ELj32ELb1ELb1ELb1EEEvllPKT_S5_PKT0_S8_PS3_S9_,"axG",@progbits,_ZN2at6native12_GLOBAL__N_135GammaBetaBackwardCUDAKernelTemplateIffLj64ELj1ELj32ELb1ELb1ELb1EEEvllPKT_S5_PKT0_S8_PS3_S9_,comdat
.Lfunc_end142:
	.size	_ZN2at6native12_GLOBAL__N_135GammaBetaBackwardCUDAKernelTemplateIffLj64ELj1ELj32ELb1ELb1ELb1EEEvllPKT_S5_PKT0_S8_PS3_S9_, .Lfunc_end142-_ZN2at6native12_GLOBAL__N_135GammaBetaBackwardCUDAKernelTemplateIffLj64ELj1ELj32ELb1ELb1ELb1EEEvllPKT_S5_PKT0_S8_PS3_S9_
                                        ; -- End function
	.section	.AMDGPU.csdata,"",@progbits
; Kernel info:
; codeLenInByte = 2772
; NumSgprs: 26
; NumVgprs: 96
; ScratchSize: 0
; MemoryBound: 0
; FloatMode: 240
; IeeeMode: 1
; LDSByteSize: 0 bytes/workgroup (compile time only)
; SGPRBlocks: 3
; VGPRBlocks: 11
; NumSGPRsForWavesPerEU: 26
; NumVGPRsForWavesPerEU: 96
; Occupancy: 16
; WaveLimiterHint : 0
; COMPUTE_PGM_RSRC2:SCRATCH_EN: 0
; COMPUTE_PGM_RSRC2:USER_SGPR: 14
; COMPUTE_PGM_RSRC2:TRAP_HANDLER: 0
; COMPUTE_PGM_RSRC2:TGID_X_EN: 1
; COMPUTE_PGM_RSRC2:TGID_Y_EN: 1
; COMPUTE_PGM_RSRC2:TGID_Z_EN: 0
; COMPUTE_PGM_RSRC2:TIDIG_COMP_CNT: 1
	.section	.text._ZN2at6native12_GLOBAL__N_135GammaBetaBackwardCUDAKernelTemplateIffLj64ELj1ELj32ELb1ELb0ELb1EEEvllPKT_S5_PKT0_S8_PS3_S9_,"axG",@progbits,_ZN2at6native12_GLOBAL__N_135GammaBetaBackwardCUDAKernelTemplateIffLj64ELj1ELj32ELb1ELb0ELb1EEEvllPKT_S5_PKT0_S8_PS3_S9_,comdat
	.globl	_ZN2at6native12_GLOBAL__N_135GammaBetaBackwardCUDAKernelTemplateIffLj64ELj1ELj32ELb1ELb0ELb1EEEvllPKT_S5_PKT0_S8_PS3_S9_ ; -- Begin function _ZN2at6native12_GLOBAL__N_135GammaBetaBackwardCUDAKernelTemplateIffLj64ELj1ELj32ELb1ELb0ELb1EEEvllPKT_S5_PKT0_S8_PS3_S9_
	.p2align	8
	.type	_ZN2at6native12_GLOBAL__N_135GammaBetaBackwardCUDAKernelTemplateIffLj64ELj1ELj32ELb1ELb0ELb1EEEvllPKT_S5_PKT0_S8_PS3_S9_,@function
_ZN2at6native12_GLOBAL__N_135GammaBetaBackwardCUDAKernelTemplateIffLj64ELj1ELj32ELb1ELb0ELb1EEEvllPKT_S5_PKT0_S8_PS3_S9_: ; @_ZN2at6native12_GLOBAL__N_135GammaBetaBackwardCUDAKernelTemplateIffLj64ELj1ELj32ELb1ELb0ELb1EEEvllPKT_S5_PKT0_S8_PS3_S9_
; %bb.0:
	s_clause 0x1
	s_load_b256 s[16:23], s[0:1], 0x0
	s_load_b64 s[6:7], s[0:1], 0x28
	s_mov_b32 s2, s15
	s_lshl_b32 s15, s14, 6
	s_mov_b32 s9, 0
	s_or_b32 s8, s15, 63
	v_mov_b32_e32 v207, v0
	s_waitcnt lgkmcnt(0)
	v_cmp_ge_i64_e64 s3, s[8:9], s[18:19]
	s_lshl_b32 s8, s2, 5
	s_delay_alu instid0(SALU_CYCLE_1) | instskip(NEXT) | instid1(VALU_DEP_2)
	v_cmp_lt_i64_e64 s26, s[8:9], s[16:17]
	s_and_b32 vcc_lo, exec_lo, s3
	s_delay_alu instid0(VALU_DEP_1) | instskip(NEXT) | instid1(VALU_DEP_1)
	v_cndmask_b32_e64 v0, 0, 1, s26
	v_cmp_ne_u32_e64 s3, 1, v0
	s_cbranch_vccz .LBB143_141
; %bb.1:
	v_mov_b32_e32 v144, 0
	s_delay_alu instid0(VALU_DEP_2)
	s_and_b32 vcc_lo, exec_lo, s3
	s_cbranch_vccnz .LBB143_142
; %bb.2:
	v_bfe_u32 v9, v207, 10, 10
	s_load_b32 s4, s[0:1], 0x44
	v_dual_mov_b32 v2, 0 :: v_dual_and_b32 v11, 0x3ff, v207
	s_add_u32 s10, s0, 64
	s_delay_alu instid0(VALU_DEP_2) | instskip(NEXT) | instid1(VALU_DEP_2)
	v_dual_mov_b32 v139, 0 :: v_dual_lshlrev_b32 v10, 5, v9
	v_dual_mov_b32 v12, v2 :: v_dual_add_nc_u32 v1, s15, v11
	s_addc_u32 s11, s1, 0
	s_delay_alu instid0(VALU_DEP_2) | instskip(NEXT) | instid1(VALU_DEP_1)
	v_add_co_u32 v5, s3, v10, s8
	v_add_co_ci_u32_e64 v6, null, 0, 0, s3
	s_delay_alu instid0(VALU_DEP_3) | instskip(NEXT) | instid1(VALU_DEP_3)
	v_cmp_gt_i64_e64 s3, s[18:19], v[1:2]
	v_add_co_u32 v0, vcc_lo, v5, 31
	s_delay_alu instid0(VALU_DEP_3) | instskip(SKIP_1) | instid1(VALU_DEP_3)
	v_add_co_ci_u32_e32 v3, vcc_lo, 0, v6, vcc_lo
	v_mul_lo_u32 v130, s19, v5
	v_mul_lo_u32 v4, s19, v0
	v_mad_u64_u32 v[7:8], null, s18, v0, 0
	s_delay_alu instid0(VALU_DEP_4) | instskip(SKIP_4) | instid1(VALU_DEP_2)
	v_mul_lo_u32 v3, s18, v3
	v_add_co_u32 v0, vcc_lo, v5, 30
	v_add_co_ci_u32_e32 v13, vcc_lo, 0, v6, vcc_lo
	s_waitcnt lgkmcnt(0)
	s_lshl_b32 s27, s4, 5
	v_mul_lo_u32 v14, s19, v0
	v_mad_u64_u32 v[16:17], null, s18, v0, 0
	v_add3_u32 v8, v8, v3, v4
	v_mul_lo_u32 v15, s18, v13
	v_lshlrev_b64 v[3:4], 2, v[1:2]
	s_mul_i32 s4, s19, s27
	s_mul_hi_u32 s5, s18, s27
	v_lshlrev_b64 v[7:8], 2, v[7:8]
	s_add_i32 s13, s5, s4
	v_mad_u64_u32 v[133:134], null, s18, v5, 0
	s_delay_alu instid0(VALU_DEP_4) | instskip(SKIP_1) | instid1(VALU_DEP_3)
	v_add3_u32 v17, v17, v15, v14
	s_mul_i32 s12, s18, s27
	v_add_co_u32 v1, vcc_lo, s20, v7
	v_add_co_ci_u32_e32 v13, vcc_lo, s21, v8, vcc_lo
	v_add_co_u32 v0, vcc_lo, v5, 29
	v_add_co_u32 v14, s4, s22, v7
	s_delay_alu instid0(VALU_DEP_1)
	v_add_co_ci_u32_e64 v15, s4, s23, v8, s4
	v_lshlrev_b64 v[7:8], 2, v[16:17]
	v_add_co_ci_u32_e32 v16, vcc_lo, 0, v6, vcc_lo
	v_add_co_u32 v17, vcc_lo, v5, 28
	v_add_co_ci_u32_e32 v19, vcc_lo, 0, v6, vcc_lo
	v_mul_lo_u32 v18, s19, v0
	s_delay_alu instid0(VALU_DEP_4)
	v_mul_lo_u32 v24, s18, v16
	v_mad_u64_u32 v[20:21], null, s18, v0, 0
	v_mul_lo_u32 v0, s19, v17
	v_mul_lo_u32 v25, s18, v19
	v_mad_u64_u32 v[22:23], null, s18, v17, 0
	v_add_co_u32 v16, vcc_lo, s20, v7
	v_add_co_ci_u32_e32 v17, vcc_lo, s21, v8, vcc_lo
	v_add3_u32 v21, v21, v24, v18
	v_add_co_u32 v18, vcc_lo, s22, v7
	v_add_co_ci_u32_e32 v19, vcc_lo, s23, v8, vcc_lo
	v_add3_u32 v23, v23, v25, v0
	v_add_co_u32 v0, vcc_lo, v5, 27
	v_add_co_ci_u32_e32 v24, vcc_lo, 0, v6, vcc_lo
	v_lshlrev_b64 v[7:8], 2, v[20:21]
	s_delay_alu instid0(VALU_DEP_3) | instskip(SKIP_1) | instid1(VALU_DEP_4)
	v_mul_lo_u32 v30, s19, v0
	v_mad_u64_u32 v[28:29], null, s18, v0, 0
	v_mul_lo_u32 v31, s18, v24
	v_lshlrev_b64 v[26:27], 2, v[22:23]
	v_add_co_u32 v20, vcc_lo, s20, v7
	v_add_co_ci_u32_e32 v21, vcc_lo, s21, v8, vcc_lo
	v_add_co_u32 v22, vcc_lo, s22, v7
	v_add_co_ci_u32_e32 v23, vcc_lo, s23, v8, vcc_lo
	v_add_co_u32 v24, vcc_lo, s20, v26
	v_add3_u32 v29, v29, v31, v30
	v_add_co_ci_u32_e32 v25, vcc_lo, s21, v27, vcc_lo
	v_add_co_u32 v0, vcc_lo, v5, 26
	s_delay_alu instid0(VALU_DEP_3) | instskip(SKIP_4) | instid1(VALU_DEP_4)
	v_lshlrev_b64 v[7:8], 2, v[28:29]
	v_add_co_ci_u32_e32 v28, vcc_lo, 0, v6, vcc_lo
	v_add_co_u32 v29, vcc_lo, v5, 25
	v_add_co_ci_u32_e32 v31, vcc_lo, 0, v6, vcc_lo
	v_mul_lo_u32 v30, s19, v0
	v_mul_lo_u32 v36, s18, v28
	v_mad_u64_u32 v[32:33], null, s18, v0, 0
	v_mul_lo_u32 v0, s19, v29
	v_mul_lo_u32 v37, s18, v31
	v_mad_u64_u32 v[34:35], null, s18, v29, 0
	v_add_co_u32 v28, vcc_lo, s20, v7
	v_add_co_ci_u32_e32 v29, vcc_lo, s21, v8, vcc_lo
	v_add3_u32 v33, v33, v36, v30
	v_add_co_u32 v30, vcc_lo, s22, v7
	v_add_co_ci_u32_e32 v31, vcc_lo, s23, v8, vcc_lo
	v_add3_u32 v35, v35, v37, v0
	v_add_co_u32 v0, vcc_lo, v5, 24
	v_add_co_ci_u32_e32 v36, vcc_lo, 0, v6, vcc_lo
	v_lshlrev_b64 v[7:8], 2, v[32:33]
	s_delay_alu instid0(VALU_DEP_3) | instskip(SKIP_1) | instid1(VALU_DEP_4)
	v_mul_lo_u32 v42, s19, v0
	v_mad_u64_u32 v[40:41], null, s18, v0, 0
	v_mul_lo_u32 v43, s18, v36
	v_lshlrev_b64 v[38:39], 2, v[34:35]
	v_add_co_u32 v32, vcc_lo, s20, v7
	v_add_co_ci_u32_e32 v33, vcc_lo, s21, v8, vcc_lo
	v_add_co_u32 v34, vcc_lo, s22, v7
	v_add_co_ci_u32_e32 v35, vcc_lo, s23, v8, vcc_lo
	v_add_co_u32 v36, vcc_lo, s20, v38
	v_add3_u32 v41, v41, v43, v42
	v_add_co_ci_u32_e32 v37, vcc_lo, s21, v39, vcc_lo
	v_add_co_u32 v0, vcc_lo, v5, 23
	s_delay_alu instid0(VALU_DEP_3) | instskip(SKIP_4) | instid1(VALU_DEP_4)
	v_lshlrev_b64 v[7:8], 2, v[40:41]
	v_add_co_ci_u32_e32 v40, vcc_lo, 0, v6, vcc_lo
	v_add_co_u32 v41, vcc_lo, v5, 22
	v_add_co_ci_u32_e32 v43, vcc_lo, 0, v6, vcc_lo
	v_mul_lo_u32 v42, s19, v0
	v_mul_lo_u32 v48, s18, v40
	v_mad_u64_u32 v[44:45], null, s18, v0, 0
	v_mul_lo_u32 v0, s19, v41
	v_mul_lo_u32 v49, s18, v43
	v_mad_u64_u32 v[46:47], null, s18, v41, 0
	v_add_co_u32 v40, vcc_lo, s20, v7
	v_add_co_ci_u32_e32 v41, vcc_lo, s21, v8, vcc_lo
	v_add3_u32 v45, v45, v48, v42
	v_add_co_u32 v42, vcc_lo, s22, v7
	v_add_co_ci_u32_e32 v43, vcc_lo, s23, v8, vcc_lo
	v_add3_u32 v47, v47, v49, v0
	v_add_co_u32 v0, vcc_lo, v5, 21
	v_add_co_ci_u32_e32 v48, vcc_lo, 0, v6, vcc_lo
	v_lshlrev_b64 v[7:8], 2, v[44:45]
	s_delay_alu instid0(VALU_DEP_3) | instskip(SKIP_1) | instid1(VALU_DEP_4)
	v_mul_lo_u32 v54, s19, v0
	v_mad_u64_u32 v[52:53], null, s18, v0, 0
	v_mul_lo_u32 v55, s18, v48
	v_lshlrev_b64 v[50:51], 2, v[46:47]
	v_add_co_u32 v44, vcc_lo, s20, v7
	v_add_co_ci_u32_e32 v45, vcc_lo, s21, v8, vcc_lo
	v_add_co_u32 v46, vcc_lo, s22, v7
	v_add_co_ci_u32_e32 v47, vcc_lo, s23, v8, vcc_lo
	v_add_co_u32 v48, vcc_lo, s20, v50
	v_add3_u32 v53, v53, v55, v54
	v_add_co_ci_u32_e32 v49, vcc_lo, s21, v51, vcc_lo
	v_add_co_u32 v0, vcc_lo, v5, 20
	s_delay_alu instid0(VALU_DEP_3) | instskip(SKIP_4) | instid1(VALU_DEP_4)
	v_lshlrev_b64 v[7:8], 2, v[52:53]
	v_add_co_ci_u32_e32 v52, vcc_lo, 0, v6, vcc_lo
	v_add_co_u32 v53, vcc_lo, v5, 19
	v_add_co_ci_u32_e32 v55, vcc_lo, 0, v6, vcc_lo
	v_mul_lo_u32 v54, s19, v0
	v_mul_lo_u32 v60, s18, v52
	v_mad_u64_u32 v[56:57], null, s18, v0, 0
	v_mul_lo_u32 v0, s19, v53
	v_mul_lo_u32 v61, s18, v55
	v_mad_u64_u32 v[58:59], null, s18, v53, 0
	v_add_co_u32 v52, vcc_lo, s20, v7
	v_add_co_ci_u32_e32 v53, vcc_lo, s21, v8, vcc_lo
	v_add3_u32 v57, v57, v60, v54
	v_add_co_u32 v54, vcc_lo, s22, v7
	v_add_co_ci_u32_e32 v55, vcc_lo, s23, v8, vcc_lo
	v_add3_u32 v59, v59, v61, v0
	v_add_co_u32 v0, vcc_lo, v5, 18
	v_add_co_ci_u32_e32 v60, vcc_lo, 0, v6, vcc_lo
	v_lshlrev_b64 v[7:8], 2, v[56:57]
	s_delay_alu instid0(VALU_DEP_3) | instskip(SKIP_1) | instid1(VALU_DEP_4)
	v_mul_lo_u32 v66, s19, v0
	v_mad_u64_u32 v[64:65], null, s18, v0, 0
	v_mul_lo_u32 v67, s18, v60
	v_lshlrev_b64 v[62:63], 2, v[58:59]
	v_add_co_u32 v56, vcc_lo, s20, v7
	v_add_co_ci_u32_e32 v57, vcc_lo, s21, v8, vcc_lo
	v_add_co_u32 v58, vcc_lo, s22, v7
	v_add_co_ci_u32_e32 v59, vcc_lo, s23, v8, vcc_lo
	v_add_co_u32 v60, vcc_lo, s20, v62
	v_add3_u32 v65, v65, v67, v66
	v_add_co_ci_u32_e32 v61, vcc_lo, s21, v63, vcc_lo
	v_add_co_u32 v0, vcc_lo, v5, 17
	s_delay_alu instid0(VALU_DEP_3) | instskip(SKIP_4) | instid1(VALU_DEP_4)
	v_lshlrev_b64 v[7:8], 2, v[64:65]
	v_add_co_ci_u32_e32 v64, vcc_lo, 0, v6, vcc_lo
	v_add_co_u32 v65, vcc_lo, v5, 16
	v_add_co_ci_u32_e32 v67, vcc_lo, 0, v6, vcc_lo
	v_mul_lo_u32 v66, s19, v0
	v_mul_lo_u32 v72, s18, v64
	v_mad_u64_u32 v[68:69], null, s18, v0, 0
	v_mul_lo_u32 v0, s19, v65
	v_mul_lo_u32 v73, s18, v67
	v_mad_u64_u32 v[70:71], null, s18, v65, 0
	v_add_co_u32 v64, vcc_lo, s20, v7
	v_add_co_ci_u32_e32 v65, vcc_lo, s21, v8, vcc_lo
	v_add3_u32 v69, v69, v72, v66
	v_add_co_u32 v66, vcc_lo, s22, v7
	v_add_co_ci_u32_e32 v67, vcc_lo, s23, v8, vcc_lo
	v_add3_u32 v71, v71, v73, v0
	v_add_co_u32 v0, vcc_lo, v5, 15
	v_add_co_ci_u32_e32 v72, vcc_lo, 0, v6, vcc_lo
	v_lshlrev_b64 v[7:8], 2, v[68:69]
	s_delay_alu instid0(VALU_DEP_3) | instskip(SKIP_1) | instid1(VALU_DEP_4)
	v_mul_lo_u32 v78, s19, v0
	v_mad_u64_u32 v[76:77], null, s18, v0, 0
	v_mul_lo_u32 v79, s18, v72
	v_lshlrev_b64 v[74:75], 2, v[70:71]
	v_add_co_u32 v68, vcc_lo, s20, v7
	v_add_co_ci_u32_e32 v69, vcc_lo, s21, v8, vcc_lo
	v_add_co_u32 v70, vcc_lo, s22, v7
	v_add_co_ci_u32_e32 v71, vcc_lo, s23, v8, vcc_lo
	v_add_co_u32 v72, vcc_lo, s20, v74
	v_add3_u32 v77, v77, v79, v78
	v_add_co_ci_u32_e32 v73, vcc_lo, s21, v75, vcc_lo
	v_add_co_u32 v0, vcc_lo, v5, 14
	s_delay_alu instid0(VALU_DEP_3) | instskip(SKIP_4) | instid1(VALU_DEP_4)
	v_lshlrev_b64 v[7:8], 2, v[76:77]
	v_add_co_ci_u32_e32 v76, vcc_lo, 0, v6, vcc_lo
	v_add_co_u32 v77, vcc_lo, v5, 13
	v_add_co_ci_u32_e32 v79, vcc_lo, 0, v6, vcc_lo
	v_mul_lo_u32 v78, s19, v0
	v_mul_lo_u32 v84, s18, v76
	v_mad_u64_u32 v[80:81], null, s18, v0, 0
	v_mul_lo_u32 v0, s19, v77
	v_mul_lo_u32 v85, s18, v79
	v_mad_u64_u32 v[82:83], null, s18, v77, 0
	v_add_co_u32 v76, vcc_lo, s20, v7
	v_add_co_ci_u32_e32 v77, vcc_lo, s21, v8, vcc_lo
	v_add3_u32 v81, v81, v84, v78
	v_add_co_u32 v78, vcc_lo, s22, v7
	v_add_co_ci_u32_e32 v79, vcc_lo, s23, v8, vcc_lo
	v_add3_u32 v83, v83, v85, v0
	v_add_co_u32 v0, vcc_lo, v5, 12
	v_add_co_ci_u32_e32 v84, vcc_lo, 0, v6, vcc_lo
	v_lshlrev_b64 v[7:8], 2, v[80:81]
	s_delay_alu instid0(VALU_DEP_3) | instskip(SKIP_1) | instid1(VALU_DEP_4)
	v_mul_lo_u32 v90, s19, v0
	v_mad_u64_u32 v[88:89], null, s18, v0, 0
	v_mul_lo_u32 v91, s18, v84
	v_lshlrev_b64 v[86:87], 2, v[82:83]
	v_add_co_u32 v80, vcc_lo, s20, v7
	v_add_co_ci_u32_e32 v81, vcc_lo, s21, v8, vcc_lo
	v_add_co_u32 v82, vcc_lo, s22, v7
	v_add_co_ci_u32_e32 v83, vcc_lo, s23, v8, vcc_lo
	v_add_co_u32 v84, vcc_lo, s20, v86
	v_add3_u32 v89, v89, v91, v90
	v_add_co_ci_u32_e32 v85, vcc_lo, s21, v87, vcc_lo
	v_add_co_u32 v0, vcc_lo, v5, 11
	s_delay_alu instid0(VALU_DEP_3) | instskip(SKIP_2) | instid1(VALU_DEP_4)
	v_lshlrev_b64 v[7:8], 2, v[88:89]
	v_add_co_ci_u32_e32 v88, vcc_lo, 0, v6, vcc_lo
	v_add_co_u32 v90, vcc_lo, v5, 10
	v_mul_lo_u32 v89, s19, v0
	v_add_co_ci_u32_e32 v93, vcc_lo, 0, v6, vcc_lo
	s_delay_alu instid0(VALU_DEP_4) | instskip(SKIP_2) | instid1(VALU_DEP_4)
	v_mul_lo_u32 v95, s18, v88
	v_mad_u64_u32 v[91:92], null, s18, v0, 0
	v_mul_lo_u32 v96, s19, v90
	v_mul_lo_u32 v97, s18, v93
	v_mad_u64_u32 v[93:94], null, s18, v90, 0
	v_add_co_u32 v0, vcc_lo, s20, v7
	v_add_co_ci_u32_e32 v88, vcc_lo, s21, v8, vcc_lo
	v_add3_u32 v92, v92, v95, v89
	v_add_co_u32 v89, vcc_lo, s22, v7
	v_add_co_ci_u32_e32 v90, vcc_lo, s23, v8, vcc_lo
	v_add_co_u32 v95, vcc_lo, v5, 9
	v_add3_u32 v94, v94, v97, v96
	v_add_co_ci_u32_e32 v96, vcc_lo, 0, v6, vcc_lo
	v_lshlrev_b64 v[7:8], 2, v[91:92]
	s_delay_alu instid0(VALU_DEP_4) | instskip(SKIP_1) | instid1(VALU_DEP_4)
	v_mul_lo_u32 v101, s19, v95
	v_mad_u64_u32 v[99:100], null, s18, v95, 0
	v_mul_lo_u32 v102, s18, v96
	v_lshlrev_b64 v[97:98], 2, v[93:94]
	v_add_co_u32 v91, vcc_lo, s20, v7
	v_add_co_ci_u32_e32 v92, vcc_lo, s21, v8, vcc_lo
	v_add_co_u32 v93, vcc_lo, s22, v7
	v_add_co_ci_u32_e32 v94, vcc_lo, s23, v8, vcc_lo
	v_add_co_u32 v95, vcc_lo, s20, v97
	v_add3_u32 v100, v100, v102, v101
	v_add_co_ci_u32_e32 v96, vcc_lo, s21, v98, vcc_lo
	v_add_co_u32 v101, vcc_lo, v5, 8
	s_delay_alu instid0(VALU_DEP_3) | instskip(SKIP_4) | instid1(VALU_DEP_4)
	v_lshlrev_b64 v[7:8], 2, v[99:100]
	v_add_co_ci_u32_e32 v99, vcc_lo, 0, v6, vcc_lo
	v_add_co_u32 v100, vcc_lo, v5, 7
	v_add_co_ci_u32_e32 v105, vcc_lo, 0, v6, vcc_lo
	v_mul_lo_u32 v102, s19, v101
	v_mul_lo_u32 v107, s18, v99
	v_mad_u64_u32 v[103:104], null, s18, v101, 0
	v_mul_lo_u32 v108, s19, v100
	v_mul_lo_u32 v109, s18, v105
	v_mad_u64_u32 v[105:106], null, s18, v100, 0
	v_add_co_u32 v99, vcc_lo, s20, v7
	v_add_co_ci_u32_e32 v100, vcc_lo, s21, v8, vcc_lo
	v_add_co_u32 v101, vcc_lo, s22, v7
	v_add3_u32 v104, v104, v107, v102
	v_add_co_ci_u32_e32 v102, vcc_lo, s23, v8, vcc_lo
	v_add_co_u32 v107, vcc_lo, v5, 6
	v_add3_u32 v106, v106, v109, v108
	v_add_co_ci_u32_e32 v108, vcc_lo, 0, v6, vcc_lo
	v_lshlrev_b64 v[7:8], 2, v[103:104]
	s_delay_alu instid0(VALU_DEP_4) | instskip(SKIP_1) | instid1(VALU_DEP_4)
	v_mul_lo_u32 v113, s19, v107
	v_mad_u64_u32 v[111:112], null, s18, v107, 0
	v_mul_lo_u32 v114, s18, v108
	v_lshlrev_b64 v[109:110], 2, v[105:106]
	v_add_co_u32 v103, vcc_lo, s20, v7
	v_add_co_ci_u32_e32 v104, vcc_lo, s21, v8, vcc_lo
	v_add_co_u32 v105, vcc_lo, s22, v7
	v_add_co_ci_u32_e32 v106, vcc_lo, s23, v8, vcc_lo
	v_add_co_u32 v107, vcc_lo, s20, v109
	v_add3_u32 v112, v112, v114, v113
	v_add_co_ci_u32_e32 v108, vcc_lo, s21, v110, vcc_lo
	v_add_co_u32 v113, vcc_lo, v5, 5
	s_delay_alu instid0(VALU_DEP_3) | instskip(SKIP_2) | instid1(VALU_DEP_4)
	v_lshlrev_b64 v[7:8], 2, v[111:112]
	v_add_co_ci_u32_e32 v111, vcc_lo, 0, v6, vcc_lo
	v_add_co_u32 v112, vcc_lo, v5, 4
	v_mul_lo_u32 v114, s19, v113
	s_delay_alu instid0(VALU_DEP_3) | instskip(SKIP_4) | instid1(VALU_DEP_3)
	v_mul_lo_u32 v119, s18, v111
	v_mad_u64_u32 v[115:116], null, s18, v113, 0
	v_add_co_ci_u32_e32 v117, vcc_lo, 0, v6, vcc_lo
	v_mul_lo_u32 v120, s19, v112
	v_add_co_u32 v111, vcc_lo, s20, v7
	v_mul_lo_u32 v121, s18, v117
	v_mad_u64_u32 v[117:118], null, s18, v112, 0
	v_add3_u32 v116, v116, v119, v114
	v_add_co_ci_u32_e32 v112, vcc_lo, s21, v8, vcc_lo
	v_add_co_u32 v113, vcc_lo, s22, v7
	v_add_co_ci_u32_e32 v114, vcc_lo, s23, v8, vcc_lo
	s_delay_alu instid0(VALU_DEP_4) | instskip(SKIP_3) | instid1(VALU_DEP_4)
	v_lshlrev_b64 v[7:8], 2, v[115:116]
	v_add_co_u32 v119, vcc_lo, v5, 3
	v_add3_u32 v118, v118, v121, v120
	v_add_co_ci_u32_e32 v120, vcc_lo, 0, v6, vcc_lo
	v_add_co_u32 v115, vcc_lo, s20, v7
	s_delay_alu instid0(VALU_DEP_3) | instskip(SKIP_1) | instid1(VALU_DEP_4)
	v_lshlrev_b64 v[121:122], 2, v[117:118]
	v_mul_lo_u32 v125, s19, v119
	v_mul_lo_u32 v126, s18, v120
	v_mad_u64_u32 v[123:124], null, s18, v119, 0
	v_add_co_ci_u32_e32 v116, vcc_lo, s21, v8, vcc_lo
	v_add_co_u32 v117, vcc_lo, s22, v7
	v_add_co_ci_u32_e32 v118, vcc_lo, s23, v8, vcc_lo
	v_add_co_u32 v119, vcc_lo, s20, v121
	v_add_co_ci_u32_e32 v120, vcc_lo, s21, v122, vcc_lo
	v_add3_u32 v124, v124, v126, v125
	v_add_co_u32 v125, vcc_lo, v5, 2
	v_add_co_ci_u32_e32 v126, vcc_lo, 0, v6, vcc_lo
	s_delay_alu instid0(VALU_DEP_3) | instskip(NEXT) | instid1(VALU_DEP_3)
	v_lshlrev_b64 v[7:8], 2, v[123:124]
	v_mul_lo_u32 v129, s19, v125
	v_mad_u64_u32 v[127:128], null, s18, v125, 0
	s_delay_alu instid0(VALU_DEP_4)
	v_mul_lo_u32 v126, s18, v126
	v_mul_lo_u32 v6, s18, v6
	v_add_co_u32 v121, vcc_lo, s22, v121
	v_add_co_ci_u32_e32 v122, vcc_lo, s23, v122, vcc_lo
	v_add_co_u32 v123, vcc_lo, s20, v7
	v_add_co_ci_u32_e32 v124, vcc_lo, s21, v8, vcc_lo
	v_add3_u32 v128, v128, v126, v129
	v_add_co_u32 v125, vcc_lo, s22, v7
	v_add3_u32 v134, v134, v6, v130
	v_add_co_ci_u32_e32 v126, vcc_lo, s23, v8, vcc_lo
	v_add_co_u32 v7, vcc_lo, v133, s18
	v_add_co_u32 v26, s4, s22, v26
	v_lshlrev_b64 v[5:6], 2, v[127:128]
	v_add_co_ci_u32_e32 v8, vcc_lo, s19, v134, vcc_lo
	v_add_co_ci_u32_e64 v27, s4, s23, v27, s4
	v_add_co_u32 v38, s4, s22, v38
	s_delay_alu instid0(VALU_DEP_1)
	v_add_co_ci_u32_e64 v39, s4, s23, v39, s4
	v_add_co_u32 v50, s4, s22, v50
	v_add_co_u32 v127, vcc_lo, s20, v5
	v_lshlrev_b64 v[7:8], 2, v[7:8]
	v_add_co_ci_u32_e64 v51, s4, s23, v51, s4
	v_add_co_ci_u32_e32 v128, vcc_lo, s21, v6, vcc_lo
	v_add_co_u32 v62, s4, s22, v62
	v_add_co_u32 v129, vcc_lo, s22, v5
	v_add_co_ci_u32_e64 v63, s4, s23, v63, s4
	v_add_co_ci_u32_e32 v130, vcc_lo, s23, v6, vcc_lo
	v_add_co_u32 v74, s4, s22, v74
	v_add_co_u32 v131, vcc_lo, s20, v7
	v_lshlrev_b64 v[5:6], 2, v[133:134]
	v_add_co_ci_u32_e64 v75, s4, s23, v75, s4
	v_add_co_ci_u32_e32 v132, vcc_lo, s21, v8, vcc_lo
	v_add_co_u32 v86, s4, s22, v86
	v_add_co_u32 v133, vcc_lo, s22, v7
	v_add_co_ci_u32_e64 v87, s4, s23, v87, s4
	v_add_co_ci_u32_e32 v134, vcc_lo, s23, v8, vcc_lo
	v_add_co_u32 v97, s4, s22, v97
	v_add_co_u32 v135, vcc_lo, s20, v5
	;; [unrolled: 4-line block ×3, first 2 shown]
	v_add_co_ci_u32_e64 v110, s4, s23, v110, s4
	v_add_co_ci_u32_e32 v138, vcc_lo, s23, v6, vcc_lo
	s_mov_b64 s[4:5], 31
	s_lshl_b64 s[12:13], s[12:13], 2
	s_mov_b64 s[24:25], s[8:9]
.LBB143_3:                              ; =>This Inner Loop Header: Depth=1
	s_add_u32 s28, s8, s4
	s_addc_u32 s29, 0, s5
	v_add_co_u32 v5, vcc_lo, s8, v10
	v_cmp_ge_i64_e64 s28, s[28:29], s[16:17]
	v_add_co_ci_u32_e32 v6, vcc_lo, 0, v12, vcc_lo
	s_delay_alu instid0(VALU_DEP_2)
	s_and_b32 vcc_lo, exec_lo, s28
	s_cbranch_vccz .LBB143_71
; %bb.4:                                ;   in Loop: Header=BB143_3 Depth=1
	s_load_b32 s28, s[10:11], 0xc
	v_dual_mov_b32 v141, 0 :: v_dual_mov_b32 v140, 0
	s_waitcnt lgkmcnt(0)
	s_and_b32 s28, s28, 0xffff
	s_delay_alu instid0(SALU_CYCLE_1) | instskip(SKIP_1) | instid1(VALU_DEP_1)
	v_mad_u32_u24 v7, v9, s28, v11
	s_mov_b32 s28, exec_lo
	v_and_b32_e32 v7, 31, v7
	s_delay_alu instid0(VALU_DEP_1) | instskip(SKIP_1) | instid1(VALU_DEP_1)
	v_add_co_u32 v7, vcc_lo, v5, v7
	v_add_co_ci_u32_e32 v8, vcc_lo, 0, v6, vcc_lo
	v_cmpx_gt_i64_e64 s[16:17], v[7:8]
	s_cbranch_execz .LBB143_6
; %bb.5:                                ;   in Loop: Header=BB143_3 Depth=1
	v_lshlrev_b64 v[7:8], 2, v[7:8]
	s_delay_alu instid0(VALU_DEP_1) | instskip(NEXT) | instid1(VALU_DEP_2)
	v_add_co_u32 v7, vcc_lo, s6, v7
	v_add_co_ci_u32_e32 v8, vcc_lo, s7, v8, vcc_lo
	global_load_b32 v140, v[7:8], off
.LBB143_6:                              ;   in Loop: Header=BB143_3 Depth=1
	s_or_b32 exec_lo, exec_lo, s28
	v_cmp_gt_i64_e32 vcc_lo, s[16:17], v[5:6]
	v_mov_b32_e32 v7, 0
	s_and_b32 s29, s3, vcc_lo
	s_delay_alu instid0(SALU_CYCLE_1)
	s_and_saveexec_b32 s28, s29
	s_cbranch_execz .LBB143_8
; %bb.7:                                ;   in Loop: Header=BB143_3 Depth=1
	v_add_co_u32 v7, vcc_lo, v135, v3
	v_add_co_ci_u32_e32 v8, vcc_lo, v136, v4, vcc_lo
	v_add_co_u32 v142, vcc_lo, v137, v3
	v_add_co_ci_u32_e32 v143, vcc_lo, v138, v4, vcc_lo
	global_load_b32 v141, v[7:8], off
	global_load_b32 v7, v[142:143], off
.LBB143_8:                              ;   in Loop: Header=BB143_3 Depth=1
	s_or_b32 exec_lo, exec_lo, s28
	v_add_co_u32 v142, vcc_lo, v5, 1
	v_add_co_ci_u32_e32 v143, vcc_lo, 0, v6, vcc_lo
	v_mov_b32_e32 v8, 0
	s_delay_alu instid0(VALU_DEP_2) | instskip(SKIP_2) | instid1(SALU_CYCLE_1)
	v_cmp_gt_i64_e32 vcc_lo, s[16:17], v[142:143]
	v_dual_mov_b32 v143, 0 :: v_dual_mov_b32 v142, 0
	s_and_b32 s29, s3, vcc_lo
	s_and_saveexec_b32 s28, s29
	s_cbranch_execz .LBB143_10
; %bb.9:                                ;   in Loop: Header=BB143_3 Depth=1
	v_add_co_u32 v142, vcc_lo, v131, v3
	v_add_co_ci_u32_e32 v143, vcc_lo, v132, v4, vcc_lo
	v_add_co_u32 v144, vcc_lo, v133, v3
	v_add_co_ci_u32_e32 v145, vcc_lo, v134, v4, vcc_lo
	global_load_b32 v142, v[142:143], off
	global_load_b32 v143, v[144:145], off
.LBB143_10:                             ;   in Loop: Header=BB143_3 Depth=1
	s_or_b32 exec_lo, exec_lo, s28
	v_add_co_u32 v144, vcc_lo, v5, 2
	v_add_co_ci_u32_e32 v145, vcc_lo, 0, v6, vcc_lo
	s_delay_alu instid0(VALU_DEP_1) | instskip(SKIP_2) | instid1(SALU_CYCLE_1)
	v_cmp_gt_i64_e32 vcc_lo, s[16:17], v[144:145]
	v_mov_b32_e32 v145, 0
	s_and_b32 s29, s3, vcc_lo
	s_and_saveexec_b32 s28, s29
	s_cbranch_execz .LBB143_12
; %bb.11:                               ;   in Loop: Header=BB143_3 Depth=1
	v_add_co_u32 v144, vcc_lo, v127, v3
	v_add_co_ci_u32_e32 v145, vcc_lo, v128, v4, vcc_lo
	v_add_co_u32 v146, vcc_lo, v129, v3
	v_add_co_ci_u32_e32 v147, vcc_lo, v130, v4, vcc_lo
	global_load_b32 v8, v[144:145], off
	global_load_b32 v145, v[146:147], off
.LBB143_12:                             ;   in Loop: Header=BB143_3 Depth=1
	s_or_b32 exec_lo, exec_lo, s28
	v_add_co_u32 v146, vcc_lo, v5, 3
	v_add_co_ci_u32_e32 v147, vcc_lo, 0, v6, vcc_lo
	v_mov_b32_e32 v148, 0
	s_delay_alu instid0(VALU_DEP_2) | instskip(SKIP_2) | instid1(SALU_CYCLE_1)
	v_cmp_gt_i64_e32 vcc_lo, s[16:17], v[146:147]
	v_dual_mov_b32 v146, 0 :: v_dual_mov_b32 v147, 0
	s_and_b32 s29, s3, vcc_lo
	s_and_saveexec_b32 s28, s29
	s_cbranch_execz .LBB143_14
; %bb.13:                               ;   in Loop: Header=BB143_3 Depth=1
	v_add_co_u32 v147, vcc_lo, v123, v3
	v_add_co_ci_u32_e32 v148, vcc_lo, v124, v4, vcc_lo
	v_add_co_u32 v149, vcc_lo, v125, v3
	v_add_co_ci_u32_e32 v150, vcc_lo, v126, v4, vcc_lo
	global_load_b32 v147, v[147:148], off
	global_load_b32 v148, v[149:150], off
.LBB143_14:                             ;   in Loop: Header=BB143_3 Depth=1
	s_or_b32 exec_lo, exec_lo, s28
	v_add_co_u32 v149, vcc_lo, v5, 4
	v_add_co_ci_u32_e32 v150, vcc_lo, 0, v6, vcc_lo
	s_delay_alu instid0(VALU_DEP_1) | instskip(SKIP_2) | instid1(SALU_CYCLE_1)
	v_cmp_gt_i64_e32 vcc_lo, s[16:17], v[149:150]
	v_mov_b32_e32 v149, 0
	s_and_b32 s29, s3, vcc_lo
	s_and_saveexec_b32 s28, s29
	s_cbranch_execz .LBB143_16
; %bb.15:                               ;   in Loop: Header=BB143_3 Depth=1
	v_add_co_u32 v149, vcc_lo, v119, v3
	v_add_co_ci_u32_e32 v150, vcc_lo, v120, v4, vcc_lo
	v_add_co_u32 v151, vcc_lo, v121, v3
	v_add_co_ci_u32_e32 v152, vcc_lo, v122, v4, vcc_lo
	global_load_b32 v146, v[149:150], off
	global_load_b32 v149, v[151:152], off
.LBB143_16:                             ;   in Loop: Header=BB143_3 Depth=1
	s_or_b32 exec_lo, exec_lo, s28
	v_add_co_u32 v150, vcc_lo, v5, 5
	v_add_co_ci_u32_e32 v151, vcc_lo, 0, v6, vcc_lo
	v_mov_b32_e32 v152, 0
	s_delay_alu instid0(VALU_DEP_2) | instskip(SKIP_2) | instid1(SALU_CYCLE_1)
	v_cmp_gt_i64_e32 vcc_lo, s[16:17], v[150:151]
	v_dual_mov_b32 v150, 0 :: v_dual_mov_b32 v151, 0
	s_and_b32 s29, s3, vcc_lo
	s_and_saveexec_b32 s28, s29
	s_cbranch_execz .LBB143_18
; %bb.17:                               ;   in Loop: Header=BB143_3 Depth=1
	v_add_co_u32 v151, vcc_lo, v115, v3
	v_add_co_ci_u32_e32 v152, vcc_lo, v116, v4, vcc_lo
	v_add_co_u32 v153, vcc_lo, v117, v3
	v_add_co_ci_u32_e32 v154, vcc_lo, v118, v4, vcc_lo
	global_load_b32 v151, v[151:152], off
	global_load_b32 v152, v[153:154], off
.LBB143_18:                             ;   in Loop: Header=BB143_3 Depth=1
	;; [unrolled: 35-line block ×10, first 2 shown]
	s_or_b32 exec_lo, exec_lo, s28
	v_add_co_u32 v185, vcc_lo, v5, 22
	v_add_co_ci_u32_e32 v186, vcc_lo, 0, v6, vcc_lo
	s_delay_alu instid0(VALU_DEP_1) | instskip(SKIP_2) | instid1(SALU_CYCLE_1)
	v_cmp_gt_i64_e32 vcc_lo, s[16:17], v[185:186]
	v_mov_b32_e32 v185, 0
	s_and_b32 s29, s3, vcc_lo
	s_and_saveexec_b32 s28, s29
	s_cbranch_execz .LBB143_52
; %bb.51:                               ;   in Loop: Header=BB143_3 Depth=1
	v_add_co_u32 v185, vcc_lo, v48, v3
	v_add_co_ci_u32_e32 v186, vcc_lo, v49, v4, vcc_lo
	v_add_co_u32 v187, vcc_lo, v50, v3
	v_add_co_ci_u32_e32 v188, vcc_lo, v51, v4, vcc_lo
	global_load_b32 v182, v[185:186], off
	global_load_b32 v185, v[187:188], off
.LBB143_52:                             ;   in Loop: Header=BB143_3 Depth=1
	s_or_b32 exec_lo, exec_lo, s28
	v_add_co_u32 v186, vcc_lo, v5, 23
	v_add_co_ci_u32_e32 v187, vcc_lo, 0, v6, vcc_lo
	v_dual_mov_b32 v189, 0 :: v_dual_mov_b32 v188, 0
	s_delay_alu instid0(VALU_DEP_2) | instskip(SKIP_2) | instid1(SALU_CYCLE_1)
	v_cmp_gt_i64_e32 vcc_lo, s[16:17], v[186:187]
	v_mov_b32_e32 v187, 0
	s_and_b32 s29, s3, vcc_lo
	s_and_saveexec_b32 s28, s29
	s_cbranch_execz .LBB143_54
; %bb.53:                               ;   in Loop: Header=BB143_3 Depth=1
	v_add_co_u32 v188, vcc_lo, v44, v3
	v_add_co_ci_u32_e32 v189, vcc_lo, v45, v4, vcc_lo
	v_add_co_u32 v190, vcc_lo, v46, v3
	v_add_co_ci_u32_e32 v191, vcc_lo, v47, v4, vcc_lo
	global_load_b32 v188, v[188:189], off
	global_load_b32 v189, v[190:191], off
.LBB143_54:                             ;   in Loop: Header=BB143_3 Depth=1
	s_or_b32 exec_lo, exec_lo, s28
	v_add_co_u32 v190, vcc_lo, v5, 24
	v_add_co_ci_u32_e32 v191, vcc_lo, 0, v6, vcc_lo
	s_delay_alu instid0(VALU_DEP_1) | instskip(SKIP_2) | instid1(SALU_CYCLE_1)
	v_cmp_gt_i64_e32 vcc_lo, s[16:17], v[190:191]
	v_mov_b32_e32 v190, 0
	s_and_b32 s29, s3, vcc_lo
	s_and_saveexec_b32 s28, s29
	s_cbranch_execz .LBB143_56
; %bb.55:                               ;   in Loop: Header=BB143_3 Depth=1
	v_add_co_u32 v186, vcc_lo, v40, v3
	v_add_co_ci_u32_e32 v187, vcc_lo, v41, v4, vcc_lo
	v_add_co_u32 v190, vcc_lo, v42, v3
	v_add_co_ci_u32_e32 v191, vcc_lo, v43, v4, vcc_lo
	global_load_b32 v187, v[186:187], off
	global_load_b32 v190, v[190:191], off
.LBB143_56:                             ;   in Loop: Header=BB143_3 Depth=1
	s_or_b32 exec_lo, exec_lo, s28
	v_add_co_u32 v191, vcc_lo, v5, 25
	v_add_co_ci_u32_e32 v192, vcc_lo, 0, v6, vcc_lo
	v_mov_b32_e32 v193, 0
	s_delay_alu instid0(VALU_DEP_2) | instskip(SKIP_2) | instid1(SALU_CYCLE_1)
	v_cmp_gt_i64_e32 vcc_lo, s[16:17], v[191:192]
	v_dual_mov_b32 v191, 0 :: v_dual_mov_b32 v192, 0
	s_and_b32 s29, s3, vcc_lo
	s_and_saveexec_b32 s28, s29
	s_cbranch_execz .LBB143_58
; %bb.57:                               ;   in Loop: Header=BB143_3 Depth=1
	v_add_co_u32 v192, vcc_lo, v36, v3
	v_add_co_ci_u32_e32 v193, vcc_lo, v37, v4, vcc_lo
	v_add_co_u32 v194, vcc_lo, v38, v3
	v_add_co_ci_u32_e32 v195, vcc_lo, v39, v4, vcc_lo
	global_load_b32 v192, v[192:193], off
	global_load_b32 v193, v[194:195], off
.LBB143_58:                             ;   in Loop: Header=BB143_3 Depth=1
	s_or_b32 exec_lo, exec_lo, s28
	v_add_co_u32 v194, vcc_lo, v5, 26
	v_add_co_ci_u32_e32 v195, vcc_lo, 0, v6, vcc_lo
	s_delay_alu instid0(VALU_DEP_1) | instskip(SKIP_2) | instid1(SALU_CYCLE_1)
	v_cmp_gt_i64_e32 vcc_lo, s[16:17], v[194:195]
	v_mov_b32_e32 v194, 0
	s_and_b32 s29, s3, vcc_lo
	s_and_saveexec_b32 s28, s29
	s_cbranch_execz .LBB143_60
; %bb.59:                               ;   in Loop: Header=BB143_3 Depth=1
	v_add_co_u32 v194, vcc_lo, v32, v3
	v_add_co_ci_u32_e32 v195, vcc_lo, v33, v4, vcc_lo
	v_add_co_u32 v196, vcc_lo, v34, v3
	v_add_co_ci_u32_e32 v197, vcc_lo, v35, v4, vcc_lo
	global_load_b32 v191, v[194:195], off
	global_load_b32 v194, v[196:197], off
.LBB143_60:                             ;   in Loop: Header=BB143_3 Depth=1
	s_or_b32 exec_lo, exec_lo, s28
	v_add_co_u32 v195, vcc_lo, v5, 27
	v_add_co_ci_u32_e32 v196, vcc_lo, 0, v6, vcc_lo
	v_mov_b32_e32 v197, 0
	s_delay_alu instid0(VALU_DEP_2) | instskip(SKIP_2) | instid1(SALU_CYCLE_1)
	v_cmp_gt_i64_e32 vcc_lo, s[16:17], v[195:196]
	v_dual_mov_b32 v195, 0 :: v_dual_mov_b32 v196, 0
	;; [unrolled: 35-line block ×3, first 2 shown]
	s_and_b32 s29, s3, vcc_lo
	s_and_saveexec_b32 s28, s29
	s_cbranch_execz .LBB143_66
; %bb.65:                               ;   in Loop: Header=BB143_3 Depth=1
	v_add_co_u32 v200, vcc_lo, v20, v3
	v_add_co_ci_u32_e32 v201, vcc_lo, v21, v4, vcc_lo
	v_add_co_u32 v202, vcc_lo, v22, v3
	v_add_co_ci_u32_e32 v203, vcc_lo, v23, v4, vcc_lo
	global_load_b32 v200, v[200:201], off
	global_load_b32 v201, v[202:203], off
.LBB143_66:                             ;   in Loop: Header=BB143_3 Depth=1
	s_or_b32 exec_lo, exec_lo, s28
	v_add_co_u32 v202, vcc_lo, v5, 30
	v_add_co_ci_u32_e32 v203, vcc_lo, 0, v6, vcc_lo
	s_delay_alu instid0(VALU_DEP_1) | instskip(SKIP_2) | instid1(SALU_CYCLE_1)
	v_cmp_gt_i64_e32 vcc_lo, s[16:17], v[202:203]
	v_mov_b32_e32 v202, 0
	s_and_b32 s29, s3, vcc_lo
	s_and_saveexec_b32 s28, s29
	s_cbranch_execz .LBB143_68
; %bb.67:                               ;   in Loop: Header=BB143_3 Depth=1
	v_add_co_u32 v202, vcc_lo, v16, v3
	v_add_co_ci_u32_e32 v203, vcc_lo, v17, v4, vcc_lo
	v_add_co_u32 v204, vcc_lo, v18, v3
	v_add_co_ci_u32_e32 v205, vcc_lo, v19, v4, vcc_lo
	global_load_b32 v199, v[202:203], off
	global_load_b32 v202, v[204:205], off
.LBB143_68:                             ;   in Loop: Header=BB143_3 Depth=1
	s_or_b32 exec_lo, exec_lo, s28
	v_add_co_u32 v203, vcc_lo, v5, 31
	v_add_co_ci_u32_e32 v204, vcc_lo, 0, v6, vcc_lo
	v_mov_b32_e32 v186, 0
	s_delay_alu instid0(VALU_DEP_2) | instskip(SKIP_1) | instid1(SALU_CYCLE_1)
	v_cmp_gt_i64_e32 vcc_lo, s[16:17], v[203:204]
	s_and_b32 s29, s3, vcc_lo
	s_and_saveexec_b32 s28, s29
	s_cbranch_execz .LBB143_70
; %bb.69:                               ;   in Loop: Header=BB143_3 Depth=1
	v_add_co_u32 v203, vcc_lo, v1, v3
	v_add_co_ci_u32_e32 v204, vcc_lo, v13, v4, vcc_lo
	v_add_co_u32 v205, vcc_lo, v14, v3
	v_add_co_ci_u32_e32 v206, vcc_lo, v15, v4, vcc_lo
	global_load_b32 v144, v[203:204], off
	global_load_b32 v186, v[205:206], off
	s_waitcnt vmcnt(0)
	v_mul_f32_e32 v186, v144, v186
.LBB143_70:                             ;   in Loop: Header=BB143_3 Depth=1
	s_or_b32 exec_lo, exec_lo, s28
	s_waitcnt vmcnt(0)
	ds_bpermute_b32 v144, v2, v140
	ds_bpermute_b32 v203, v2, v140 offset:4
	ds_bpermute_b32 v204, v2, v140 offset:8
	v_mul_f32_e32 v7, v141, v7
	ds_bpermute_b32 v141, v2, v140 offset:12
	v_mul_f32_e32 v142, v142, v143
	ds_bpermute_b32 v143, v2, v140 offset:16
	s_waitcnt lgkmcnt(4)
	v_fma_f32 v144, v7, v144, v139
	v_mul_f32_e32 v7, v8, v145
	ds_bpermute_b32 v8, v2, v140 offset:20
	ds_bpermute_b32 v145, v2, v140 offset:24
	s_waitcnt lgkmcnt(5)
	v_fmac_f32_e32 v144, v142, v203
	v_mul_f32_e32 v142, v147, v148
	s_waitcnt lgkmcnt(4)
	s_delay_alu instid0(VALU_DEP_2)
	v_dual_fmac_f32 v144, v7, v204 :: v_dual_mul_f32 v7, v146, v149
	ds_bpermute_b32 v146, v2, v140 offset:28
	s_waitcnt lgkmcnt(4)
	v_dual_fmac_f32 v144, v142, v141 :: v_dual_mul_f32 v141, v151, v152
	ds_bpermute_b32 v142, v2, v140 offset:32
	s_waitcnt lgkmcnt(4)
	v_dual_fmac_f32 v144, v7, v143 :: v_dual_mul_f32 v7, v150, v153
	ds_bpermute_b32 v143, v2, v140 offset:36
	s_waitcnt lgkmcnt(4)
	v_fmac_f32_e32 v144, v141, v8
	v_mul_f32_e32 v8, v155, v156
	ds_bpermute_b32 v141, v2, v140 offset:40
	s_waitcnt lgkmcnt(4)
	v_fmac_f32_e32 v144, v7, v145
	v_mul_f32_e32 v7, v154, v157
	ds_bpermute_b32 v145, v2, v140 offset:44
	s_waitcnt lgkmcnt(4)
	;; [unrolled: 4-line block ×3, first 2 shown]
	v_dual_fmac_f32 v144, v7, v142 :: v_dual_mul_f32 v7, v158, v161
	ds_bpermute_b32 v142, v2, v140 offset:52
	s_waitcnt lgkmcnt(4)
	v_fmac_f32_e32 v144, v8, v143
	v_mul_f32_e32 v8, v163, v164
	ds_bpermute_b32 v143, v2, v140 offset:56
	s_waitcnt lgkmcnt(4)
	v_fmac_f32_e32 v144, v7, v141
	v_mul_f32_e32 v7, v162, v165
	;; [unrolled: 4-line block ×3, first 2 shown]
	ds_bpermute_b32 v145, v2, v140 offset:64
	s_waitcnt lgkmcnt(4)
	v_dual_fmac_f32 v144, v7, v146 :: v_dual_mul_f32 v7, v166, v169
	ds_bpermute_b32 v146, v2, v140 offset:68
	s_waitcnt lgkmcnt(4)
	v_fmac_f32_e32 v144, v8, v142
	v_mul_f32_e32 v8, v171, v172
	ds_bpermute_b32 v142, v2, v140 offset:72
	s_waitcnt lgkmcnt(4)
	v_dual_fmac_f32 v144, v7, v143 :: v_dual_mul_f32 v7, v170, v173
	ds_bpermute_b32 v143, v2, v140 offset:76
	s_waitcnt lgkmcnt(4)
	v_fmac_f32_e32 v144, v8, v141
	v_mul_f32_e32 v8, v175, v176
	ds_bpermute_b32 v141, v2, v140 offset:80
	s_waitcnt lgkmcnt(4)
	v_fmac_f32_e32 v144, v7, v145
	v_mul_f32_e32 v7, v174, v177
	;; [unrolled: 4-line block ×3, first 2 shown]
	ds_bpermute_b32 v146, v2, v140 offset:88
	s_waitcnt lgkmcnt(4)
	v_dual_fmac_f32 v144, v7, v142 :: v_dual_mul_f32 v7, v178, v181
	ds_bpermute_b32 v142, v2, v140 offset:92
	s_waitcnt lgkmcnt(4)
	v_fmac_f32_e32 v144, v8, v143
	v_mul_f32_e32 v8, v183, v184
	ds_bpermute_b32 v143, v2, v140 offset:96
	s_waitcnt lgkmcnt(4)
	v_fmac_f32_e32 v144, v7, v141
	v_mul_f32_e32 v7, v182, v185
	;; [unrolled: 4-line block ×9, first 2 shown]
	s_waitcnt lgkmcnt(3)
	s_delay_alu instid0(VALU_DEP_2) | instskip(SKIP_1) | instid1(VALU_DEP_1)
	v_fmac_f32_e32 v144, v145, v142
	s_waitcnt lgkmcnt(2)
	v_fmac_f32_e32 v144, v8, v143
	v_mul_f32_e32 v8, v199, v202
	s_waitcnt lgkmcnt(1)
	s_delay_alu instid0(VALU_DEP_1)
	v_fmac_f32_e32 v144, v8, v141
	s_branch .LBB143_137
.LBB143_71:                             ;   in Loop: Header=BB143_3 Depth=1
                                        ; implicit-def: $vgpr144
                                        ; implicit-def: $vgpr186
                                        ; implicit-def: $vgpr7
	s_cbranch_execz .LBB143_137
; %bb.72:                               ;   in Loop: Header=BB143_3 Depth=1
	s_load_b32 s28, s[10:11], 0x0
	v_mov_b32_e32 v8, 0
	s_waitcnt lgkmcnt(0)
	s_cmp_lt_u32 s14, s28
	s_cselect_b32 s28, 12, 18
	s_delay_alu instid0(SALU_CYCLE_1)
	s_add_u32 s28, s10, s28
	s_addc_u32 s29, s11, 0
	global_load_u16 v7, v2, s[28:29]
	s_mov_b32 s28, exec_lo
	s_waitcnt vmcnt(0)
	v_mad_u32_u24 v7, v9, v7, v11
	s_delay_alu instid0(VALU_DEP_1) | instskip(NEXT) | instid1(VALU_DEP_1)
	v_and_b32_e32 v7, 31, v7
	v_add_co_u32 v5, vcc_lo, v5, v7
	v_add_co_ci_u32_e32 v6, vcc_lo, 0, v6, vcc_lo
	v_mov_b32_e32 v7, 0
	s_delay_alu instid0(VALU_DEP_2)
	v_cmpx_gt_i64_e64 s[16:17], v[5:6]
	s_cbranch_execz .LBB143_74
; %bb.73:                               ;   in Loop: Header=BB143_3 Depth=1
	v_lshlrev_b64 v[5:6], 2, v[5:6]
	s_delay_alu instid0(VALU_DEP_1) | instskip(NEXT) | instid1(VALU_DEP_2)
	v_add_co_u32 v5, vcc_lo, s6, v5
	v_add_co_ci_u32_e32 v6, vcc_lo, s7, v6, vcc_lo
	global_load_b32 v7, v[5:6], off
.LBB143_74:                             ;   in Loop: Header=BB143_3 Depth=1
	s_or_b32 exec_lo, exec_lo, s28
	v_mov_b32_e32 v5, 0
	s_and_saveexec_b32 s28, s3
	s_cbranch_execz .LBB143_76
; %bb.75:                               ;   in Loop: Header=BB143_3 Depth=1
	v_add_co_u32 v5, vcc_lo, v135, v3
	v_add_co_ci_u32_e32 v6, vcc_lo, v136, v4, vcc_lo
	v_add_co_u32 v140, vcc_lo, v137, v3
	v_add_co_ci_u32_e32 v141, vcc_lo, v138, v4, vcc_lo
	global_load_b32 v8, v[5:6], off
	global_load_b32 v5, v[140:141], off
.LBB143_76:                             ;   in Loop: Header=BB143_3 Depth=1
	s_or_b32 exec_lo, exec_lo, s28
	v_dual_mov_b32 v6, 0 :: v_dual_mov_b32 v141, 0
	v_mov_b32_e32 v140, 0
	s_and_saveexec_b32 s28, s3
	s_cbranch_execz .LBB143_78
; %bb.77:                               ;   in Loop: Header=BB143_3 Depth=1
	v_add_co_u32 v140, vcc_lo, v131, v3
	v_add_co_ci_u32_e32 v141, vcc_lo, v132, v4, vcc_lo
	v_add_co_u32 v142, vcc_lo, v133, v3
	v_add_co_ci_u32_e32 v143, vcc_lo, v134, v4, vcc_lo
	global_load_b32 v140, v[140:141], off
	global_load_b32 v141, v[142:143], off
.LBB143_78:                             ;   in Loop: Header=BB143_3 Depth=1
	s_or_b32 exec_lo, exec_lo, s28
	v_mov_b32_e32 v142, 0
	s_and_saveexec_b32 s28, s3
	s_cbranch_execz .LBB143_80
; %bb.79:                               ;   in Loop: Header=BB143_3 Depth=1
	v_add_co_u32 v142, vcc_lo, v127, v3
	v_add_co_ci_u32_e32 v143, vcc_lo, v128, v4, vcc_lo
	v_add_co_u32 v144, vcc_lo, v129, v3
	v_add_co_ci_u32_e32 v145, vcc_lo, v130, v4, vcc_lo
	global_load_b32 v6, v[142:143], off
	global_load_b32 v142, v[144:145], off
.LBB143_80:                             ;   in Loop: Header=BB143_3 Depth=1
	s_or_b32 exec_lo, exec_lo, s28
	v_dual_mov_b32 v143, 0 :: v_dual_mov_b32 v144, 0
	v_mov_b32_e32 v145, 0
	s_and_saveexec_b32 s28, s3
	s_cbranch_execz .LBB143_82
; %bb.81:                               ;   in Loop: Header=BB143_3 Depth=1
	v_add_co_u32 v144, vcc_lo, v123, v3
	v_add_co_ci_u32_e32 v145, vcc_lo, v124, v4, vcc_lo
	v_add_co_u32 v146, vcc_lo, v125, v3
	v_add_co_ci_u32_e32 v147, vcc_lo, v126, v4, vcc_lo
	global_load_b32 v144, v[144:145], off
	global_load_b32 v145, v[146:147], off
.LBB143_82:                             ;   in Loop: Header=BB143_3 Depth=1
	;; [unrolled: 25-line block ×6, first 2 shown]
	s_or_b32 exec_lo, exec_lo, s28
	v_mov_b32_e32 v162, 0
	s_and_saveexec_b32 s28, s3
	s_cbranch_execz .LBB143_100
; %bb.99:                               ;   in Loop: Header=BB143_3 Depth=1
	v_add_co_u32 v162, vcc_lo, v0, v3
	v_add_co_ci_u32_e32 v163, vcc_lo, v88, v4, vcc_lo
	v_add_co_u32 v164, vcc_lo, v89, v3
	v_add_co_ci_u32_e32 v165, vcc_lo, v90, v4, vcc_lo
	global_load_b32 v159, v[162:163], off
	global_load_b32 v162, v[164:165], off
.LBB143_100:                            ;   in Loop: Header=BB143_3 Depth=1
	s_or_b32 exec_lo, exec_lo, s28
	v_dual_mov_b32 v163, 0 :: v_dual_mov_b32 v164, 0
	v_mov_b32_e32 v165, 0
	s_and_saveexec_b32 s28, s3
	s_cbranch_execz .LBB143_102
; %bb.101:                              ;   in Loop: Header=BB143_3 Depth=1
	v_add_co_u32 v164, vcc_lo, v84, v3
	v_add_co_ci_u32_e32 v165, vcc_lo, v85, v4, vcc_lo
	v_add_co_u32 v166, vcc_lo, v86, v3
	v_add_co_ci_u32_e32 v167, vcc_lo, v87, v4, vcc_lo
	global_load_b32 v164, v[164:165], off
	global_load_b32 v165, v[166:167], off
.LBB143_102:                            ;   in Loop: Header=BB143_3 Depth=1
	s_or_b32 exec_lo, exec_lo, s28
	v_mov_b32_e32 v166, 0
	s_and_saveexec_b32 s28, s3
	s_cbranch_execz .LBB143_104
; %bb.103:                              ;   in Loop: Header=BB143_3 Depth=1
	v_add_co_u32 v166, vcc_lo, v80, v3
	v_add_co_ci_u32_e32 v167, vcc_lo, v81, v4, vcc_lo
	v_add_co_u32 v168, vcc_lo, v82, v3
	v_add_co_ci_u32_e32 v169, vcc_lo, v83, v4, vcc_lo
	global_load_b32 v163, v[166:167], off
	global_load_b32 v166, v[168:169], off
.LBB143_104:                            ;   in Loop: Header=BB143_3 Depth=1
	s_or_b32 exec_lo, exec_lo, s28
	v_dual_mov_b32 v167, 0 :: v_dual_mov_b32 v168, 0
	v_mov_b32_e32 v169, 0
	s_and_saveexec_b32 s28, s3
	s_cbranch_execz .LBB143_106
; %bb.105:                              ;   in Loop: Header=BB143_3 Depth=1
	v_add_co_u32 v168, vcc_lo, v76, v3
	v_add_co_ci_u32_e32 v169, vcc_lo, v77, v4, vcc_lo
	v_add_co_u32 v170, vcc_lo, v78, v3
	v_add_co_ci_u32_e32 v171, vcc_lo, v79, v4, vcc_lo
	global_load_b32 v168, v[168:169], off
	global_load_b32 v169, v[170:171], off
.LBB143_106:                            ;   in Loop: Header=BB143_3 Depth=1
	s_or_b32 exec_lo, exec_lo, s28
	v_mov_b32_e32 v170, 0
	s_and_saveexec_b32 s28, s3
	s_cbranch_execz .LBB143_108
; %bb.107:                              ;   in Loop: Header=BB143_3 Depth=1
	v_add_co_u32 v170, vcc_lo, v72, v3
	v_add_co_ci_u32_e32 v171, vcc_lo, v73, v4, vcc_lo
	v_add_co_u32 v172, vcc_lo, v74, v3
	v_add_co_ci_u32_e32 v173, vcc_lo, v75, v4, vcc_lo
	global_load_b32 v167, v[170:171], off
	global_load_b32 v170, v[172:173], off
.LBB143_108:                            ;   in Loop: Header=BB143_3 Depth=1
	;; [unrolled: 25-line block ×8, first 2 shown]
	s_or_b32 exec_lo, exec_lo, s28
	v_dual_mov_b32 v196, 0 :: v_dual_mov_b32 v197, 0
	v_mov_b32_e32 v198, 0
	s_and_saveexec_b32 s28, s3
	s_cbranch_execnz .LBB143_139
; %bb.133:                              ;   in Loop: Header=BB143_3 Depth=1
	s_or_b32 exec_lo, exec_lo, s28
	v_mov_b32_e32 v199, 0
	s_and_saveexec_b32 s28, s3
	s_cbranch_execnz .LBB143_140
.LBB143_134:                            ;   in Loop: Header=BB143_3 Depth=1
	s_or_b32 exec_lo, exec_lo, s28
	v_mov_b32_e32 v186, 0
	s_and_saveexec_b32 s28, s3
	s_cbranch_execz .LBB143_136
.LBB143_135:                            ;   in Loop: Header=BB143_3 Depth=1
	v_add_co_u32 v200, vcc_lo, v1, v3
	v_add_co_ci_u32_e32 v201, vcc_lo, v13, v4, vcc_lo
	v_add_co_u32 v202, vcc_lo, v14, v3
	v_add_co_ci_u32_e32 v203, vcc_lo, v15, v4, vcc_lo
	global_load_b32 v186, v[200:201], off
	global_load_b32 v200, v[202:203], off
	s_waitcnt vmcnt(0)
	v_mul_f32_e32 v186, v186, v200
.LBB143_136:                            ;   in Loop: Header=BB143_3 Depth=1
	s_or_b32 exec_lo, exec_lo, s28
	s_waitcnt vmcnt(0)
	ds_bpermute_b32 v200, v2, v7
	ds_bpermute_b32 v201, v2, v7 offset:4
	ds_bpermute_b32 v202, v2, v7 offset:8
	v_mul_f32_e32 v5, v8, v5
	ds_bpermute_b32 v8, v2, v7 offset:12
	v_mul_f32_e32 v140, v140, v141
	ds_bpermute_b32 v141, v2, v7 offset:16
	s_waitcnt lgkmcnt(4)
	v_fmac_f32_e32 v139, v5, v200
	v_mul_f32_e32 v5, v6, v142
	ds_bpermute_b32 v6, v2, v7 offset:20
	ds_bpermute_b32 v142, v2, v7 offset:24
	s_waitcnt lgkmcnt(5)
	v_fmac_f32_e32 v139, v140, v201
	s_waitcnt lgkmcnt(4)
	s_delay_alu instid0(VALU_DEP_1)
	v_dual_mul_f32 v140, v144, v145 :: v_dual_fmac_f32 v139, v5, v202
	v_mul_f32_e32 v5, v143, v146
	ds_bpermute_b32 v143, v2, v7 offset:28
	s_waitcnt lgkmcnt(4)
	v_fmac_f32_e32 v139, v140, v8
	v_mul_f32_e32 v8, v148, v149
	ds_bpermute_b32 v140, v2, v7 offset:32
	s_waitcnt lgkmcnt(4)
	v_fmac_f32_e32 v139, v5, v141
	;; [unrolled: 4-line block ×4, first 2 shown]
	v_mul_f32_e32 v5, v151, v154
	ds_bpermute_b32 v142, v2, v7 offset:44
	s_waitcnt lgkmcnt(4)
	v_dual_fmac_f32 v139, v6, v143 :: v_dual_mul_f32 v6, v156, v157
	ds_bpermute_b32 v143, v2, v7 offset:48
	s_waitcnt lgkmcnt(4)
	v_fmac_f32_e32 v139, v5, v140
	v_mul_f32_e32 v5, v155, v158
	ds_bpermute_b32 v140, v2, v7 offset:52
	s_waitcnt lgkmcnt(4)
	v_fmac_f32_e32 v139, v6, v141
	v_mul_f32_e32 v6, v160, v161
	;; [unrolled: 4-line block ×3, first 2 shown]
	ds_bpermute_b32 v8, v2, v7 offset:60
	s_waitcnt lgkmcnt(4)
	v_dual_fmac_f32 v139, v6, v142 :: v_dual_mul_f32 v6, v164, v165
	ds_bpermute_b32 v142, v2, v7 offset:64
	s_waitcnt lgkmcnt(4)
	v_fmac_f32_e32 v139, v5, v143
	v_mul_f32_e32 v5, v163, v166
	ds_bpermute_b32 v143, v2, v7 offset:68
	s_waitcnt lgkmcnt(4)
	v_dual_fmac_f32 v139, v6, v140 :: v_dual_mul_f32 v6, v168, v169
	ds_bpermute_b32 v140, v2, v7 offset:72
	s_waitcnt lgkmcnt(4)
	v_fmac_f32_e32 v139, v5, v141
	v_mul_f32_e32 v5, v167, v170
	;; [unrolled: 7-line block ×4, first 2 shown]
	ds_bpermute_b32 v140, v2, v7 offset:92
	s_waitcnt lgkmcnt(4)
	v_fmac_f32_e32 v139, v6, v141
	v_mul_f32_e32 v6, v180, v181
	ds_bpermute_b32 v141, v2, v7 offset:96
	s_waitcnt lgkmcnt(4)
	v_fmac_f32_e32 v139, v5, v8
	v_mul_f32_e32 v5, v179, v182
	ds_bpermute_b32 v8, v2, v7 offset:100
	s_waitcnt lgkmcnt(4)
	v_dual_fmac_f32 v139, v6, v142 :: v_dual_mul_f32 v6, v184, v185
	ds_bpermute_b32 v142, v2, v7 offset:104
	s_waitcnt lgkmcnt(4)
	v_fmac_f32_e32 v139, v5, v143
	v_mul_f32_e32 v5, v183, v187
	ds_bpermute_b32 v143, v2, v7 offset:108
	s_waitcnt lgkmcnt(4)
	v_dual_fmac_f32 v139, v6, v140 :: v_dual_mul_f32 v6, v189, v190
	;; [unrolled: 7-line block ×3, first 2 shown]
	s_waitcnt lgkmcnt(3)
	s_delay_alu instid0(VALU_DEP_1)
	v_dual_mul_f32 v8, v192, v195 :: v_dual_fmac_f32 v139, v5, v142
	ds_bpermute_b32 v5, v2, v7 offset:120
	ds_bpermute_b32 v7, v2, v7 offset:124
	s_waitcnt lgkmcnt(4)
	v_dual_fmac_f32 v139, v6, v143 :: v_dual_mul_f32 v6, v197, v198
	s_waitcnt lgkmcnt(3)
	s_delay_alu instid0(VALU_DEP_1) | instskip(SKIP_1) | instid1(VALU_DEP_1)
	v_fmac_f32_e32 v139, v8, v140
	s_waitcnt lgkmcnt(2)
	v_dual_fmac_f32 v139, v6, v141 :: v_dual_mul_f32 v6, v196, v199
	s_waitcnt lgkmcnt(1)
	s_delay_alu instid0(VALU_DEP_1) | instskip(NEXT) | instid1(VALU_DEP_1)
	v_fmac_f32_e32 v139, v6, v5
	v_mov_b32_e32 v144, v139
.LBB143_137:                            ;   in Loop: Header=BB143_3 Depth=1
	v_add_co_u32 v1, vcc_lo, v1, s12
	v_add_co_ci_u32_e32 v13, vcc_lo, s13, v13, vcc_lo
	v_add_co_u32 v14, vcc_lo, v14, s12
	v_add_co_ci_u32_e32 v15, vcc_lo, s13, v15, vcc_lo
	v_add_co_u32 v16, vcc_lo, v16, s12
	v_add_co_ci_u32_e32 v17, vcc_lo, s13, v17, vcc_lo
	v_add_co_u32 v18, vcc_lo, v18, s12
	v_add_co_ci_u32_e32 v19, vcc_lo, s13, v19, vcc_lo
	v_add_co_u32 v20, vcc_lo, v20, s12
	v_add_co_ci_u32_e32 v21, vcc_lo, s13, v21, vcc_lo
	v_add_co_u32 v22, vcc_lo, v22, s12
	v_add_co_ci_u32_e32 v23, vcc_lo, s13, v23, vcc_lo
	v_add_co_u32 v24, vcc_lo, v24, s12
	v_add_co_ci_u32_e32 v25, vcc_lo, s13, v25, vcc_lo
	v_add_co_u32 v26, vcc_lo, v26, s12
	v_add_co_ci_u32_e32 v27, vcc_lo, s13, v27, vcc_lo
	v_add_co_u32 v28, vcc_lo, v28, s12
	v_add_co_ci_u32_e32 v29, vcc_lo, s13, v29, vcc_lo
	v_add_co_u32 v30, vcc_lo, v30, s12
	v_add_co_ci_u32_e32 v31, vcc_lo, s13, v31, vcc_lo
	v_add_co_u32 v32, vcc_lo, v32, s12
	v_add_co_ci_u32_e32 v33, vcc_lo, s13, v33, vcc_lo
	v_add_co_u32 v34, vcc_lo, v34, s12
	v_add_co_ci_u32_e32 v35, vcc_lo, s13, v35, vcc_lo
	v_add_co_u32 v36, vcc_lo, v36, s12
	v_add_co_ci_u32_e32 v37, vcc_lo, s13, v37, vcc_lo
	v_add_co_u32 v38, vcc_lo, v38, s12
	v_add_co_ci_u32_e32 v39, vcc_lo, s13, v39, vcc_lo
	v_add_co_u32 v40, vcc_lo, v40, s12
	v_add_co_ci_u32_e32 v41, vcc_lo, s13, v41, vcc_lo
	v_add_co_u32 v42, vcc_lo, v42, s12
	v_add_co_ci_u32_e32 v43, vcc_lo, s13, v43, vcc_lo
	v_add_co_u32 v44, vcc_lo, v44, s12
	v_add_co_ci_u32_e32 v45, vcc_lo, s13, v45, vcc_lo
	v_add_co_u32 v46, vcc_lo, v46, s12
	v_add_co_ci_u32_e32 v47, vcc_lo, s13, v47, vcc_lo
	v_add_co_u32 v48, vcc_lo, v48, s12
	v_add_co_ci_u32_e32 v49, vcc_lo, s13, v49, vcc_lo
	v_add_co_u32 v50, vcc_lo, v50, s12
	v_add_co_ci_u32_e32 v51, vcc_lo, s13, v51, vcc_lo
	v_add_co_u32 v52, vcc_lo, v52, s12
	v_add_co_ci_u32_e32 v53, vcc_lo, s13, v53, vcc_lo
	v_add_co_u32 v54, vcc_lo, v54, s12
	v_add_co_ci_u32_e32 v55, vcc_lo, s13, v55, vcc_lo
	v_add_co_u32 v56, vcc_lo, v56, s12
	v_add_co_ci_u32_e32 v57, vcc_lo, s13, v57, vcc_lo
	v_add_co_u32 v58, vcc_lo, v58, s12
	v_add_co_ci_u32_e32 v59, vcc_lo, s13, v59, vcc_lo
	v_add_co_u32 v60, vcc_lo, v60, s12
	v_add_co_ci_u32_e32 v61, vcc_lo, s13, v61, vcc_lo
	v_add_co_u32 v62, vcc_lo, v62, s12
	v_add_co_ci_u32_e32 v63, vcc_lo, s13, v63, vcc_lo
	v_add_co_u32 v64, vcc_lo, v64, s12
	v_add_co_ci_u32_e32 v65, vcc_lo, s13, v65, vcc_lo
	v_add_co_u32 v66, vcc_lo, v66, s12
	v_add_co_ci_u32_e32 v67, vcc_lo, s13, v67, vcc_lo
	v_add_co_u32 v68, vcc_lo, v68, s12
	v_add_co_ci_u32_e32 v69, vcc_lo, s13, v69, vcc_lo
	v_add_co_u32 v70, vcc_lo, v70, s12
	v_add_co_ci_u32_e32 v71, vcc_lo, s13, v71, vcc_lo
	v_add_co_u32 v72, vcc_lo, v72, s12
	v_add_co_ci_u32_e32 v73, vcc_lo, s13, v73, vcc_lo
	v_add_co_u32 v74, vcc_lo, v74, s12
	v_add_co_ci_u32_e32 v75, vcc_lo, s13, v75, vcc_lo
	v_add_co_u32 v76, vcc_lo, v76, s12
	v_add_co_ci_u32_e32 v77, vcc_lo, s13, v77, vcc_lo
	v_add_co_u32 v78, vcc_lo, v78, s12
	v_add_co_ci_u32_e32 v79, vcc_lo, s13, v79, vcc_lo
	v_add_co_u32 v80, vcc_lo, v80, s12
	v_add_co_ci_u32_e32 v81, vcc_lo, s13, v81, vcc_lo
	v_add_co_u32 v82, vcc_lo, v82, s12
	v_add_co_ci_u32_e32 v83, vcc_lo, s13, v83, vcc_lo
	v_add_co_u32 v84, vcc_lo, v84, s12
	v_add_co_ci_u32_e32 v85, vcc_lo, s13, v85, vcc_lo
	v_add_co_u32 v86, vcc_lo, v86, s12
	v_add_co_ci_u32_e32 v87, vcc_lo, s13, v87, vcc_lo
	v_add_co_u32 v0, vcc_lo, v0, s12
	v_add_co_ci_u32_e32 v88, vcc_lo, s13, v88, vcc_lo
	v_add_co_u32 v89, vcc_lo, v89, s12
	v_add_co_ci_u32_e32 v90, vcc_lo, s13, v90, vcc_lo
	v_add_co_u32 v91, vcc_lo, v91, s12
	v_add_co_ci_u32_e32 v92, vcc_lo, s13, v92, vcc_lo
	v_add_co_u32 v93, vcc_lo, v93, s12
	v_add_co_ci_u32_e32 v94, vcc_lo, s13, v94, vcc_lo
	v_add_co_u32 v95, vcc_lo, v95, s12
	v_add_co_ci_u32_e32 v96, vcc_lo, s13, v96, vcc_lo
	v_add_co_u32 v97, vcc_lo, v97, s12
	v_add_co_ci_u32_e32 v98, vcc_lo, s13, v98, vcc_lo
	v_add_co_u32 v99, vcc_lo, v99, s12
	v_add_co_ci_u32_e32 v100, vcc_lo, s13, v100, vcc_lo
	v_add_co_u32 v101, vcc_lo, v101, s12
	v_add_co_ci_u32_e32 v102, vcc_lo, s13, v102, vcc_lo
	v_add_co_u32 v103, vcc_lo, v103, s12
	v_add_co_ci_u32_e32 v104, vcc_lo, s13, v104, vcc_lo
	v_add_co_u32 v105, vcc_lo, v105, s12
	v_add_co_ci_u32_e32 v106, vcc_lo, s13, v106, vcc_lo
	v_add_co_u32 v107, vcc_lo, v107, s12
	v_add_co_ci_u32_e32 v108, vcc_lo, s13, v108, vcc_lo
	v_add_co_u32 v109, vcc_lo, v109, s12
	v_add_co_ci_u32_e32 v110, vcc_lo, s13, v110, vcc_lo
	v_add_co_u32 v111, vcc_lo, v111, s12
	v_add_co_ci_u32_e32 v112, vcc_lo, s13, v112, vcc_lo
	v_add_co_u32 v113, vcc_lo, v113, s12
	v_add_co_ci_u32_e32 v114, vcc_lo, s13, v114, vcc_lo
	v_add_co_u32 v115, vcc_lo, v115, s12
	v_add_co_ci_u32_e32 v116, vcc_lo, s13, v116, vcc_lo
	v_add_co_u32 v117, vcc_lo, v117, s12
	v_add_co_ci_u32_e32 v118, vcc_lo, s13, v118, vcc_lo
	v_add_co_u32 v119, vcc_lo, v119, s12
	v_add_co_ci_u32_e32 v120, vcc_lo, s13, v120, vcc_lo
	v_add_co_u32 v121, vcc_lo, v121, s12
	v_add_co_ci_u32_e32 v122, vcc_lo, s13, v122, vcc_lo
	v_add_co_u32 v123, vcc_lo, v123, s12
	v_add_co_ci_u32_e32 v124, vcc_lo, s13, v124, vcc_lo
	v_add_co_u32 v125, vcc_lo, v125, s12
	v_add_co_ci_u32_e32 v126, vcc_lo, s13, v126, vcc_lo
	v_add_co_u32 v127, vcc_lo, v127, s12
	v_add_co_ci_u32_e32 v128, vcc_lo, s13, v128, vcc_lo
	v_add_co_u32 v129, vcc_lo, v129, s12
	v_add_co_ci_u32_e32 v130, vcc_lo, s13, v130, vcc_lo
	v_add_co_u32 v131, vcc_lo, v131, s12
	v_add_co_ci_u32_e32 v132, vcc_lo, s13, v132, vcc_lo
	v_add_co_u32 v133, vcc_lo, v133, s12
	v_add_co_ci_u32_e32 v134, vcc_lo, s13, v134, vcc_lo
	v_add_co_u32 v135, vcc_lo, v135, s12
	s_add_u32 s24, s24, s27
	v_add_co_ci_u32_e32 v136, vcc_lo, s13, v136, vcc_lo
	s_addc_u32 s25, s25, 0
	v_add_co_u32 v137, vcc_lo, v137, s12
	v_add_co_ci_u32_e32 v138, vcc_lo, s13, v138, vcc_lo
	v_cmp_lt_i64_e64 s28, s[24:25], s[16:17]
	v_add_co_u32 v10, vcc_lo, v10, s27
	s_waitcnt lgkmcnt(0)
	v_fmac_f32_e32 v144, v186, v7
	v_add_co_ci_u32_e32 v12, vcc_lo, 0, v12, vcc_lo
	s_add_u32 s4, s4, s27
	s_addc_u32 s5, s5, 0
	s_and_b32 vcc_lo, exec_lo, s28
	s_cbranch_vccz .LBB143_142
; %bb.138:                              ;   in Loop: Header=BB143_3 Depth=1
	v_mov_b32_e32 v139, v144
	s_branch .LBB143_3
.LBB143_139:                            ;   in Loop: Header=BB143_3 Depth=1
	v_add_co_u32 v197, vcc_lo, v20, v3
	v_add_co_ci_u32_e32 v198, vcc_lo, v21, v4, vcc_lo
	v_add_co_u32 v199, vcc_lo, v22, v3
	v_add_co_ci_u32_e32 v200, vcc_lo, v23, v4, vcc_lo
	global_load_b32 v197, v[197:198], off
	global_load_b32 v198, v[199:200], off
	s_or_b32 exec_lo, exec_lo, s28
	v_mov_b32_e32 v199, 0
	s_and_saveexec_b32 s28, s3
	s_cbranch_execz .LBB143_134
.LBB143_140:                            ;   in Loop: Header=BB143_3 Depth=1
	v_add_co_u32 v199, vcc_lo, v16, v3
	v_add_co_ci_u32_e32 v200, vcc_lo, v17, v4, vcc_lo
	v_add_co_u32 v201, vcc_lo, v18, v3
	v_add_co_ci_u32_e32 v202, vcc_lo, v19, v4, vcc_lo
	global_load_b32 v196, v[199:200], off
	global_load_b32 v199, v[201:202], off
	s_or_b32 exec_lo, exec_lo, s28
	v_mov_b32_e32 v186, 0
	s_and_saveexec_b32 s28, s3
	s_cbranch_execnz .LBB143_135
	s_branch .LBB143_136
.LBB143_141:
                                        ; implicit-def: $vgpr144
	s_load_b64 s[4:5], s[0:1], 0x30
	s_branch .LBB143_143
.LBB143_142:
	s_load_b64 s[4:5], s[0:1], 0x30
	s_cbranch_execnz .LBB143_220
.LBB143_143:
	v_mov_b32_e32 v144, 0
	s_and_not1_b32 vcc_lo, exec_lo, s26
	s_cbranch_vccnz .LBB143_220
; %bb.144:
	v_bfe_u32 v7, v207, 10, 10
	s_add_u32 s10, s0, 64
	s_addc_u32 s11, s1, 0
	s_lshl_b64 s[12:13], s[8:9], 2
	s_delay_alu instid0(VALU_DEP_1) | instskip(NEXT) | instid1(VALU_DEP_1)
	v_lshlrev_b32_e32 v0, 7, v7
	v_add_co_u32 v121, s3, v0, s12
	s_delay_alu instid0(VALU_DEP_1) | instskip(NEXT) | instid1(VALU_DEP_2)
	v_add_co_ci_u32_e64 v122, null, 0, s13, s3
	v_add_co_u32 v11, vcc_lo, v121, 4
	s_delay_alu instid0(VALU_DEP_2) | instskip(SKIP_3) | instid1(VALU_DEP_4)
	v_add_co_ci_u32_e32 v0, vcc_lo, 0, v122, vcc_lo
	v_add_co_u32 v15, vcc_lo, v121, 8
	v_add_co_ci_u32_e32 v5, vcc_lo, 0, v122, vcc_lo
	v_add_co_u32 v19, vcc_lo, v121, 12
	v_mul_lo_u32 v18, s18, v0
	v_add_co_ci_u32_e32 v0, vcc_lo, 0, v122, vcc_lo
	v_add_co_u32 v24, vcc_lo, v121, 16
	v_add_co_ci_u32_e32 v9, vcc_lo, 0, v122, vcc_lo
	s_delay_alu instid0(VALU_DEP_3)
	v_mul_lo_u32 v22, s18, v0
	v_lshlrev_b32_e32 v0, 5, v7
	scratch_store_b32 off, v7, off offset:284 ; 4-byte Folded Spill
	v_add_co_u32 v25, vcc_lo, v121, 20
	v_mad_u64_u32 v[1:2], null, s18, v11, s[20:21]
	scratch_store_b32 off, v0, off          ; 4-byte Folded Spill
	v_add_co_u32 v0, s3, v0, s8
	s_delay_alu instid0(VALU_DEP_1) | instskip(SKIP_1) | instid1(VALU_DEP_3)
	v_add_co_ci_u32_e64 v133, null, 0, 0, s3
	v_mul_lo_u32 v17, s19, v11
	v_mul_lo_u32 v14, s19, v0
	v_mad_u64_u32 v[135:136], null, s18, v0, 0
	s_delay_alu instid0(VALU_DEP_4)
	v_mul_lo_u32 v16, s18, v133
	v_add_co_ci_u32_e32 v13, vcc_lo, 0, v122, vcc_lo
	v_mul_lo_u32 v26, s18, v9
	v_mad_u64_u32 v[9:10], null, s18, v11, s[22:23]
	v_mad_u64_u32 v[3:4], null, s18, v15, s[20:21]
	v_mul_lo_u32 v20, s18, v5
	v_mul_lo_u32 v21, s19, v15
	v_mad_u64_u32 v[5:6], null, s18, v19, s[20:21]
	v_mul_lo_u32 v23, s19, v19
	v_mul_lo_u32 v28, s18, v13
	v_add3_u32 v136, v136, v16, v14
	v_mad_u64_u32 v[13:14], null, s18, v15, s[22:23]
	v_mad_u64_u32 v[15:16], null, s18, v19, s[22:23]
	v_add3_u32 v2, v17, v2, v18
	v_mad_u64_u32 v[7:8], null, s18, v24, s[20:21]
	v_mul_lo_u32 v27, s19, v24
	v_add3_u32 v10, v17, v10, v18
	v_mad_u64_u32 v[17:18], null, s18, v24, s[22:23]
	v_add_co_u32 v30, vcc_lo, v121, 24
	v_add3_u32 v4, v21, v4, v20
	v_add3_u32 v6, v23, v6, v22
	v_mad_u64_u32 v[11:12], null, s18, v25, s[20:21]
	v_mul_lo_u32 v29, s19, v25
	v_add_co_ci_u32_e32 v31, vcc_lo, 0, v122, vcc_lo
	v_add3_u32 v14, v21, v14, v20
	v_add3_u32 v16, v23, v16, v22
	v_mad_u64_u32 v[21:22], null, s18, v25, s[22:23]
	v_mad_u64_u32 v[19:20], null, s18, v30, s[20:21]
	v_mul_lo_u32 v32, s19, v30
	v_mad_u64_u32 v[23:24], null, s18, v30, s[22:23]
	v_add_co_u32 v30, vcc_lo, v121, 28
	v_add3_u32 v8, v27, v8, v26
	v_add3_u32 v18, v27, v18, v26
	v_add_co_ci_u32_e32 v27, vcc_lo, 0, v122, vcc_lo
	v_mul_lo_u32 v31, s18, v31
	v_add3_u32 v12, v29, v12, v28
	v_add3_u32 v22, v29, v22, v28
	v_mad_u64_u32 v[25:26], null, s18, v30, s[20:21]
	v_mul_lo_u32 v29, s18, v27
	v_mul_lo_u32 v33, s19, v30
	v_mad_u64_u32 v[27:28], null, s18, v30, s[22:23]
	v_add_co_u32 v34, vcc_lo, v121, 32
	v_add_co_ci_u32_e32 v30, vcc_lo, 0, v122, vcc_lo
	v_add3_u32 v20, v32, v20, v31
	v_add3_u32 v24, v32, v24, v31
	;; [unrolled: 1-line block ×4, first 2 shown]
	v_mul_lo_u32 v33, s18, v30
	v_mul_lo_u32 v35, s19, v34
	v_mad_u64_u32 v[29:30], null, s18, v34, s[20:21]
	v_mad_u64_u32 v[31:32], null, s18, v34, s[22:23]
	v_add_co_u32 v37, vcc_lo, v121, 36
	v_lshlrev_b64 v[137:138], 2, v[135:136]
	s_load_b32 s3, s[0:1], 0x44
	s_delay_alu instid0(VALU_DEP_4) | instskip(NEXT) | instid1(VALU_DEP_3)
	v_add3_u32 v30, v35, v30, v33
	v_mul_lo_u32 v39, s19, v37
	v_add3_u32 v32, v35, v32, v33
	v_add_co_ci_u32_e32 v33, vcc_lo, 0, v122, vcc_lo
	v_mad_u64_u32 v[35:36], null, s18, v37, s[22:23]
	v_add_co_u32 v41, vcc_lo, v121, 40
	s_delay_alu instid0(VALU_DEP_3) | instskip(SKIP_2) | instid1(VALU_DEP_4)
	v_mul_lo_u32 v38, s18, v33
	v_mad_u64_u32 v[33:34], null, s18, v37, s[20:21]
	v_add_co_ci_u32_e32 v37, vcc_lo, 0, v122, vcc_lo
	v_mul_lo_u32 v43, s19, v41
	v_add_co_u32 v45, vcc_lo, v121, 44
	v_add3_u32 v36, v39, v36, v38
	v_add3_u32 v34, v39, v34, v38
	v_mul_lo_u32 v42, s18, v37
	v_mad_u64_u32 v[37:38], null, s18, v41, s[20:21]
	v_mad_u64_u32 v[39:40], null, s18, v41, s[22:23]
	v_add_co_ci_u32_e32 v41, vcc_lo, 0, v122, vcc_lo
	v_mul_lo_u32 v47, s19, v45
	v_add_co_u32 v49, vcc_lo, v121, 48
	v_add3_u32 v38, v43, v38, v42
	v_add3_u32 v40, v43, v40, v42
	v_mul_lo_u32 v46, s18, v41
	v_mad_u64_u32 v[41:42], null, s18, v45, s[20:21]
	;; [unrolled: 8-line block ×20, first 2 shown]
	v_mad_u64_u32 v[115:116], null, s18, v117, s[22:23]
	v_add_co_ci_u32_e32 v117, vcc_lo, 0, v122, vcc_lo
	v_mul_lo_u32 v125, s19, v123
	s_waitcnt lgkmcnt(0)
	s_lshl_b32 s3, s3, 5
	s_delay_alu instid0(VALU_DEP_4)
	v_add3_u32 v114, v119, v114, v118
	v_mul_lo_u32 v124, s18, v117
	v_add3_u32 v116, v119, v116, v118
	v_mad_u64_u32 v[117:118], null, s18, v123, s[20:21]
	v_mad_u64_u32 v[119:120], null, s18, v123, s[22:23]
	s_mul_i32 s12, s19, s3
	s_mul_hi_u32 s13, s18, s3
	s_delay_alu instid0(SALU_CYCLE_1) | instskip(NEXT) | instid1(VALU_DEP_2)
	s_add_i32 s13, s13, s12
	v_add3_u32 v118, v125, v118, v124
	s_mul_i32 s12, s18, s3
	s_delay_alu instid0(VALU_DEP_2) | instskip(SKIP_3) | instid1(VALU_DEP_2)
	v_add3_u32 v120, v125, v120, v124
	v_add_co_u32 v125, vcc_lo, 0x7c, v121
	v_add_co_ci_u32_e32 v121, vcc_lo, 0, v122, vcc_lo
	s_lshl_b64 s[12:13], s[12:13], 2
	v_mul_lo_u32 v127, s19, v125
	v_mad_u64_u32 v[123:124], null, s18, v125, s[22:23]
	s_delay_alu instid0(VALU_DEP_3) | instskip(SKIP_2) | instid1(VALU_DEP_3)
	v_mul_lo_u32 v126, s18, v121
	v_mad_u64_u32 v[121:122], null, s18, v125, s[20:21]
	v_add_co_u32 v125, vcc_lo, v0, 31
	v_add3_u32 v124, v127, v124, v126
	s_delay_alu instid0(VALU_DEP_3) | instskip(SKIP_1) | instid1(VALU_DEP_4)
	v_add3_u32 v122, v127, v122, v126
	v_add_co_ci_u32_e32 v126, vcc_lo, 0, v133, vcc_lo
	v_mul_lo_u32 v129, s19, v125
	v_mad_u64_u32 v[127:128], null, s18, v125, 0
	s_delay_alu instid0(VALU_DEP_3) | instskip(SKIP_1) | instid1(VALU_DEP_1)
	v_mul_lo_u32 v126, s18, v126
	v_add_co_u32 v125, vcc_lo, v0, 30
	v_mul_lo_u32 v131, s19, v125
	s_delay_alu instid0(VALU_DEP_3) | instskip(SKIP_3) | instid1(VALU_DEP_3)
	v_add3_u32 v128, v128, v126, v129
	v_add_co_ci_u32_e32 v126, vcc_lo, 0, v133, vcc_lo
	v_mad_u64_u32 v[129:130], null, s18, v125, 0
	v_add_co_u32 v125, vcc_lo, v0, 29
	v_mul_lo_u32 v126, s18, v126
	v_lshlrev_b64 v[127:128], 2, v[127:128]
	s_delay_alu instid0(VALU_DEP_3) | instskip(NEXT) | instid1(VALU_DEP_3)
	v_mul_lo_u32 v134, s19, v125
	v_add3_u32 v130, v130, v126, v131
	v_add_co_ci_u32_e32 v126, vcc_lo, 0, v133, vcc_lo
	v_mad_u64_u32 v[131:132], null, s18, v125, 0
	v_add_co_u32 v125, vcc_lo, v0, 28
	s_delay_alu instid0(VALU_DEP_3) | instskip(NEXT) | instid1(VALU_DEP_2)
	v_mul_lo_u32 v126, s18, v126
	v_mad_u64_u32 v[139:140], null, s18, v125, 0
	s_delay_alu instid0(VALU_DEP_2) | instskip(SKIP_3) | instid1(VALU_DEP_3)
	v_add3_u32 v132, v132, v126, v134
	v_add_co_ci_u32_e32 v126, vcc_lo, 0, v133, vcc_lo
	v_mul_lo_u32 v134, s19, v125
	v_add_co_u32 v125, vcc_lo, v0, 27
	v_mul_lo_u32 v126, s18, v126
	s_delay_alu instid0(VALU_DEP_2) | instskip(NEXT) | instid1(VALU_DEP_2)
	v_mad_u64_u32 v[141:142], null, s18, v125, 0
	v_add3_u32 v140, v140, v126, v134
	v_add_co_ci_u32_e32 v126, vcc_lo, 0, v133, vcc_lo
	v_mul_lo_u32 v134, s19, v125
	v_add_co_u32 v125, vcc_lo, v0, 26
	s_delay_alu instid0(VALU_DEP_3) | instskip(NEXT) | instid1(VALU_DEP_2)
	v_mul_lo_u32 v126, s18, v126
	v_mad_u64_u32 v[143:144], null, s18, v125, 0
	s_delay_alu instid0(VALU_DEP_2) | instskip(SKIP_3) | instid1(VALU_DEP_3)
	v_add3_u32 v142, v142, v126, v134
	v_add_co_ci_u32_e32 v126, vcc_lo, 0, v133, vcc_lo
	v_mul_lo_u32 v134, s19, v125
	v_add_co_u32 v125, vcc_lo, v0, 25
	v_mul_lo_u32 v126, s18, v126
	s_delay_alu instid0(VALU_DEP_2) | instskip(NEXT) | instid1(VALU_DEP_2)
	v_mad_u64_u32 v[145:146], null, s18, v125, 0
	v_add3_u32 v144, v144, v126, v134
	v_add_co_ci_u32_e32 v126, vcc_lo, 0, v133, vcc_lo
	v_mul_lo_u32 v134, s19, v125
	;; [unrolled: 15-line block ×13, first 2 shown]
	v_add_co_u32 v0, vcc_lo, v0, 2
	s_delay_alu instid0(VALU_DEP_3) | instskip(SKIP_1) | instid1(VALU_DEP_1)
	v_mul_lo_u32 v126, s18, v126
	v_add_co_ci_u32_e32 v125, vcc_lo, 0, v133, vcc_lo
	v_mul_lo_u32 v125, s18, v125
	s_delay_alu instid0(VALU_DEP_3) | instskip(SKIP_2) | instid1(VALU_DEP_1)
	v_add3_u32 v252, v252, v126, v134
	v_mul_lo_u32 v126, s19, v0
	v_mad_u64_u32 v[133:134], null, s18, v0, 0
	v_add3_u32 v134, v134, v125, v126
	v_add_co_u32 v125, vcc_lo, v135, s18
	v_add_co_ci_u32_e32 v126, vcc_lo, s19, v136, vcc_lo
	v_add_co_u32 v135, vcc_lo, s20, v137
	v_add_co_ci_u32_e32 v136, vcc_lo, s21, v138, vcc_lo
	;; [unrolled: 2-line block ×3, first 2 shown]
	v_add_co_u32 v0, vcc_lo, s20, v127
	v_lshlrev_b64 v[125:126], 2, v[125:126]
	scratch_store_b32 off, v0, off offset:4 ; 4-byte Folded Spill
	v_add_co_ci_u32_e32 v0, vcc_lo, s21, v128, vcc_lo
	scratch_store_b32 off, v0, off offset:8 ; 4-byte Folded Spill
	v_add_co_u32 v0, vcc_lo, s22, v127
	scratch_store_b32 off, v0, off offset:12 ; 4-byte Folded Spill
	v_add_co_ci_u32_e32 v0, vcc_lo, s23, v128, vcc_lo
	v_lshlrev_b64 v[127:128], 2, v[129:130]
	v_mov_b32_e32 v129, v207
	s_clause 0x1
	scratch_store_b32 off, v0, off offset:16
	scratch_store_b32 off, v129, off offset:292
	v_add_co_u32 v0, vcc_lo, s20, v127
	scratch_store_b32 off, v0, off offset:20 ; 4-byte Folded Spill
	v_add_co_ci_u32_e32 v0, vcc_lo, s21, v128, vcc_lo
	scratch_store_b32 off, v0, off offset:24 ; 4-byte Folded Spill
	v_add_co_u32 v0, vcc_lo, s22, v127
	scratch_store_b32 off, v0, off offset:28 ; 4-byte Folded Spill
	v_add_co_ci_u32_e32 v0, vcc_lo, s23, v128, vcc_lo
	v_lshlrev_b64 v[127:128], 2, v[131:132]
	scratch_store_b32 off, v0, off offset:32 ; 4-byte Folded Spill
	v_add_co_u32 v0, vcc_lo, s20, v127
	scratch_store_b32 off, v0, off offset:36 ; 4-byte Folded Spill
	v_add_co_ci_u32_e32 v0, vcc_lo, s21, v128, vcc_lo
	scratch_store_b32 off, v0, off offset:40 ; 4-byte Folded Spill
	v_add_co_u32 v0, vcc_lo, s22, v127
	scratch_store_b32 off, v0, off offset:44 ; 4-byte Folded Spill
	v_add_co_ci_u32_e32 v0, vcc_lo, s23, v128, vcc_lo
	v_lshlrev_b64 v[127:128], 2, v[139:140]
	scratch_store_b32 off, v0, off offset:48 ; 4-byte Folded Spill
	;; [unrolled: 9-line block ×4, first 2 shown]
	v_add_co_u32 v0, vcc_lo, s20, v127
	scratch_store_b32 off, v0, off offset:84 ; 4-byte Folded Spill
	v_add_co_ci_u32_e32 v0, vcc_lo, s21, v128, vcc_lo
	scratch_store_b32 off, v0, off offset:88 ; 4-byte Folded Spill
	v_add_co_u32 v0, vcc_lo, s22, v127
	scratch_store_b32 off, v0, off offset:92 ; 4-byte Folded Spill
	v_add_co_ci_u32_e32 v0, vcc_lo, s23, v128, vcc_lo
	v_lshlrev_b64 v[127:128], 2, v[145:146]
	v_mov_b32_e32 v145, 0
	scratch_store_b32 off, v0, off offset:96 ; 4-byte Folded Spill
	v_add_co_u32 v0, vcc_lo, s20, v127
	scratch_store_b32 off, v0, off offset:100 ; 4-byte Folded Spill
	v_add_co_ci_u32_e32 v0, vcc_lo, s21, v128, vcc_lo
	scratch_store_b32 off, v0, off offset:104 ; 4-byte Folded Spill
	v_add_co_u32 v0, vcc_lo, s22, v127
	scratch_store_b32 off, v0, off offset:108 ; 4-byte Folded Spill
	v_add_co_ci_u32_e32 v0, vcc_lo, s23, v128, vcc_lo
	v_lshlrev_b64 v[127:128], 2, v[147:148]
	scratch_store_b32 off, v0, off offset:112 ; 4-byte Folded Spill
	v_add_co_u32 v0, vcc_lo, s20, v127
	scratch_store_b32 off, v0, off offset:116 ; 4-byte Folded Spill
	v_add_co_ci_u32_e32 v0, vcc_lo, s21, v128, vcc_lo
	scratch_store_b32 off, v0, off offset:120 ; 4-byte Folded Spill
	v_add_co_u32 v0, vcc_lo, s22, v127
	scratch_store_b32 off, v0, off offset:124 ; 4-byte Folded Spill
	v_add_co_ci_u32_e32 v0, vcc_lo, s23, v128, vcc_lo
	v_lshlrev_b64 v[127:128], 2, v[149:150]
	;; [unrolled: 9-line block ×4, first 2 shown]
	scratch_store_b32 off, v0, off offset:160 ; 4-byte Folded Spill
	v_add_co_u32 v0, vcc_lo, s20, v127
	v_add_co_ci_u32_e32 v180, vcc_lo, s21, v128, vcc_lo
	v_add_co_u32 v181, vcc_lo, s22, v127
	scratch_store_b32 off, v0, off offset:164 ; 4-byte Folded Spill
	v_add_co_ci_u32_e32 v0, vcc_lo, s23, v128, vcc_lo
	v_lshlrev_b64 v[127:128], 2, v[155:156]
	scratch_store_b32 off, v0, off offset:168 ; 4-byte Folded Spill
	v_add_co_u32 v0, vcc_lo, s20, v127
	v_add_co_ci_u32_e32 v184, vcc_lo, s21, v128, vcc_lo
	v_add_co_u32 v185, vcc_lo, s22, v127
	v_add_co_ci_u32_e32 v186, vcc_lo, s23, v128, vcc_lo
	v_lshlrev_b64 v[127:128], 2, v[157:158]
	scratch_store_b32 off, v0, off offset:172 ; 4-byte Folded Spill
	v_add_co_u32 v187, vcc_lo, s20, v127
	v_add_co_ci_u32_e32 v188, vcc_lo, s21, v128, vcc_lo
	v_add_co_u32 v189, vcc_lo, s22, v127
	v_add_co_ci_u32_e32 v190, vcc_lo, s23, v128, vcc_lo
	v_lshlrev_b64 v[127:128], 2, v[159:160]
	s_delay_alu instid0(VALU_DEP_1) | instskip(NEXT) | instid1(VALU_DEP_2)
	v_add_co_u32 v191, vcc_lo, s20, v127
	v_add_co_ci_u32_e32 v192, vcc_lo, s21, v128, vcc_lo
	v_add_co_u32 v193, vcc_lo, s22, v127
	v_add_co_ci_u32_e32 v194, vcc_lo, s23, v128, vcc_lo
	v_lshlrev_b64 v[127:128], 2, v[161:162]
	s_delay_alu instid0(VALU_DEP_1) | instskip(NEXT) | instid1(VALU_DEP_2)
	;; [unrolled: 6-line block ×17, first 2 shown]
	v_add_co_u32 v255, vcc_lo, s20, v127
	v_add_co_ci_u32_e32 v133, vcc_lo, s21, v128, vcc_lo
	v_add_co_u32 v0, vcc_lo, s22, v127
	v_add_co_ci_u32_e32 v134, vcc_lo, s23, v128, vcc_lo
	;; [unrolled: 2-line block ×3, first 2 shown]
	v_add_co_u32 v141, vcc_lo, s22, v125
	v_and_b32_e32 v125, 0x3ff, v129
	v_add_co_ci_u32_e32 v142, vcc_lo, s23, v126, vcc_lo
	v_mov_b32_e32 v126, 0
	s_mov_b64 s[20:21], 31
	scratch_store_b32 off, v125, off offset:288 ; 4-byte Folded Spill
	v_add_nc_u32_e32 v125, s15, v125
	s_mov_b64 s[22:23], s[8:9]
	v_mov_b32_e32 v143, v126
	s_delay_alu instid0(VALU_DEP_2)
	v_lshlrev_b64 v[127:128], 2, v[125:126]
.LBB143_145:                            ; =>This Inner Loop Header: Depth=1
	scratch_load_b32 v125, off, off         ; 4-byte Folded Reload
	s_add_u32 s24, s8, s20
	s_addc_u32 s25, 0, s21
	s_delay_alu instid0(SALU_CYCLE_1) | instskip(SKIP_3) | instid1(VALU_DEP_3)
	v_cmp_ge_i64_e64 s9, s[24:25], s[16:17]
	s_waitcnt vmcnt(0)
	v_add_co_u32 v129, vcc_lo, s8, v125
	v_add_co_ci_u32_e32 v130, vcc_lo, 0, v143, vcc_lo
	s_and_b32 vcc_lo, exec_lo, s9
	s_cbranch_vccz .LBB143_213
; %bb.146:                              ;   in Loop: Header=BB143_145 Depth=1
	s_load_b32 s9, s[10:11], 0xc
	s_clause 0x1
	scratch_load_b32 v125, off, off offset:284
	scratch_load_b32 v131, off, off offset:288
	v_mov_b32_e32 v176, 0
	s_waitcnt lgkmcnt(0)
	s_and_b32 s9, s9, 0xffff
	s_waitcnt vmcnt(0)
	v_mad_u32_u24 v125, v125, s9, v131
	s_mov_b32 s9, exec_lo
	s_delay_alu instid0(VALU_DEP_1) | instskip(NEXT) | instid1(VALU_DEP_1)
	v_and_b32_e32 v125, 31, v125
	v_add_co_u32 v131, vcc_lo, v129, v125
	v_add_co_ci_u32_e32 v132, vcc_lo, 0, v130, vcc_lo
	v_mov_b32_e32 v125, 0
	s_delay_alu instid0(VALU_DEP_2)
	v_cmpx_gt_i64_e64 s[16:17], v[131:132]
	s_cbranch_execz .LBB143_148
; %bb.147:                              ;   in Loop: Header=BB143_145 Depth=1
	v_lshlrev_b64 v[131:132], 2, v[131:132]
	s_delay_alu instid0(VALU_DEP_1) | instskip(NEXT) | instid1(VALU_DEP_2)
	v_add_co_u32 v131, vcc_lo, s6, v131
	v_add_co_ci_u32_e32 v132, vcc_lo, s7, v132, vcc_lo
	global_load_b32 v125, v[131:132], off
.LBB143_148:                            ;   in Loop: Header=BB143_145 Depth=1
	s_or_b32 exec_lo, exec_lo, s9
	v_mov_b32_e32 v177, 0
	s_mov_b32 s9, exec_lo
	v_cmpx_gt_i64_e64 s[16:17], v[129:130]
	s_cbranch_execz .LBB143_150
; %bb.149:                              ;   in Loop: Header=BB143_145 Depth=1
	v_add_co_u32 v131, vcc_lo, v135, v127
	v_add_co_ci_u32_e32 v132, vcc_lo, v136, v128, vcc_lo
	v_add_co_u32 v146, vcc_lo, v137, v127
	v_add_co_ci_u32_e32 v147, vcc_lo, v138, v128, vcc_lo
	global_load_b32 v176, v[131:132], off
	global_load_b32 v177, v[146:147], off
.LBB143_150:                            ;   in Loop: Header=BB143_145 Depth=1
	s_or_b32 exec_lo, exec_lo, s9
	v_add_co_u32 v131, vcc_lo, v129, 1
	v_add_co_ci_u32_e32 v132, vcc_lo, 0, v130, vcc_lo
	v_dual_mov_b32 v178, 0 :: v_dual_mov_b32 v179, 0
	v_mov_b32_e32 v144, 0
	s_mov_b32 s9, exec_lo
	s_delay_alu instid0(VALU_DEP_3)
	v_cmpx_gt_i64_e64 s[16:17], v[131:132]
	s_cbranch_execz .LBB143_152
; %bb.151:                              ;   in Loop: Header=BB143_145 Depth=1
	v_add_co_u32 v131, vcc_lo, v139, v127
	v_add_co_ci_u32_e32 v132, vcc_lo, v140, v128, vcc_lo
	v_add_co_u32 v146, vcc_lo, v141, v127
	v_add_co_ci_u32_e32 v147, vcc_lo, v142, v128, vcc_lo
	global_load_b32 v179, v[131:132], off
	global_load_b32 v144, v[146:147], off
.LBB143_152:                            ;   in Loop: Header=BB143_145 Depth=1
	s_or_b32 exec_lo, exec_lo, s9
	v_add_co_u32 v131, vcc_lo, v129, 2
	v_add_co_ci_u32_e32 v132, vcc_lo, 0, v130, vcc_lo
	v_mov_b32_e32 v175, 0
	s_mov_b32 s9, exec_lo
	s_delay_alu instid0(VALU_DEP_2)
	v_cmpx_gt_i64_e64 s[16:17], v[131:132]
	s_cbranch_execz .LBB143_154
; %bb.153:                              ;   in Loop: Header=BB143_145 Depth=1
	v_add_co_u32 v131, vcc_lo, v255, v127
	v_add_co_ci_u32_e32 v132, vcc_lo, v133, v128, vcc_lo
	v_add_co_u32 v146, vcc_lo, v0, v127
	v_add_co_ci_u32_e32 v147, vcc_lo, v134, v128, vcc_lo
	global_load_b32 v178, v[131:132], off
	global_load_b32 v175, v[146:147], off
.LBB143_154:                            ;   in Loop: Header=BB143_145 Depth=1
	s_or_b32 exec_lo, exec_lo, s9
	v_add_co_u32 v131, vcc_lo, v129, 3
	v_add_co_ci_u32_e32 v132, vcc_lo, 0, v130, vcc_lo
	v_dual_mov_b32 v182, 0 :: v_dual_mov_b32 v183, 0
	s_delay_alu instid0(VALU_DEP_2)
	v_cmp_gt_i64_e32 vcc_lo, s[16:17], v[131:132]
	v_mov_b32_e32 v131, 0
	scratch_store_b32 off, v131, off offset:176 ; 4-byte Folded Spill
	s_and_saveexec_b32 s9, vcc_lo
	s_cbranch_execz .LBB143_156
; %bb.155:                              ;   in Loop: Header=BB143_145 Depth=1
	v_add_co_u32 v131, vcc_lo, v251, v127
	v_add_co_ci_u32_e32 v132, vcc_lo, v252, v128, vcc_lo
	v_add_co_u32 v146, vcc_lo, v253, v127
	v_add_co_ci_u32_e32 v147, vcc_lo, v254, v128, vcc_lo
	global_load_b32 v183, v[131:132], off
	global_load_b32 v131, v[146:147], off
	s_waitcnt vmcnt(0)
	scratch_store_b32 off, v131, off offset:176 ; 4-byte Folded Spill
.LBB143_156:                            ;   in Loop: Header=BB143_145 Depth=1
	s_or_b32 exec_lo, exec_lo, s9
	v_add_co_u32 v131, vcc_lo, v129, 4
	v_add_co_ci_u32_e32 v132, vcc_lo, 0, v130, vcc_lo
	s_delay_alu instid0(VALU_DEP_1)
	v_cmp_gt_i64_e32 vcc_lo, s[16:17], v[131:132]
	v_mov_b32_e32 v131, 0
	scratch_store_b32 off, v131, off offset:180 ; 4-byte Folded Spill
	s_and_saveexec_b32 s9, vcc_lo
	s_cbranch_execz .LBB143_158
; %bb.157:                              ;   in Loop: Header=BB143_145 Depth=1
	v_add_co_u32 v131, vcc_lo, v247, v127
	v_add_co_ci_u32_e32 v132, vcc_lo, v248, v128, vcc_lo
	v_add_co_u32 v146, vcc_lo, v249, v127
	v_add_co_ci_u32_e32 v147, vcc_lo, v250, v128, vcc_lo
	global_load_b32 v182, v[131:132], off
	global_load_b32 v131, v[146:147], off
	s_waitcnt vmcnt(0)
	scratch_store_b32 off, v131, off offset:180 ; 4-byte Folded Spill
.LBB143_158:                            ;   in Loop: Header=BB143_145 Depth=1
	s_or_b32 exec_lo, exec_lo, s9
	v_add_co_u32 v131, vcc_lo, v129, 5
	v_add_co_ci_u32_e32 v132, vcc_lo, 0, v130, vcc_lo
	v_mov_b32_e32 v146, 0
	s_delay_alu instid0(VALU_DEP_2)
	v_cmp_gt_i64_e32 vcc_lo, s[16:17], v[131:132]
	v_mov_b32_e32 v131, 0
	s_clause 0x1
	scratch_store_b32 off, v146, off offset:184
	scratch_store_b32 off, v131, off offset:188
	v_mov_b32_e32 v131, 0
	scratch_store_b32 off, v131, off offset:192 ; 4-byte Folded Spill
	s_and_saveexec_b32 s9, vcc_lo
	s_cbranch_execz .LBB143_160
; %bb.159:                              ;   in Loop: Header=BB143_145 Depth=1
	v_add_co_u32 v131, vcc_lo, v243, v127
	v_add_co_ci_u32_e32 v132, vcc_lo, v244, v128, vcc_lo
	v_add_co_u32 v146, vcc_lo, v245, v127
	v_add_co_ci_u32_e32 v147, vcc_lo, v246, v128, vcc_lo
	global_load_b32 v131, v[131:132], off
	s_waitcnt vmcnt(0)
	scratch_store_b32 off, v131, off offset:188 ; 4-byte Folded Spill
	global_load_b32 v131, v[146:147], off
	s_waitcnt vmcnt(0)
	scratch_store_b32 off, v131, off offset:192 ; 4-byte Folded Spill
.LBB143_160:                            ;   in Loop: Header=BB143_145 Depth=1
	s_or_b32 exec_lo, exec_lo, s9
	v_add_co_u32 v131, vcc_lo, v129, 6
	v_add_co_ci_u32_e32 v132, vcc_lo, 0, v130, vcc_lo
	s_delay_alu instid0(VALU_DEP_1)
	v_cmp_gt_i64_e32 vcc_lo, s[16:17], v[131:132]
	v_mov_b32_e32 v131, 0
	scratch_store_b32 off, v131, off offset:196 ; 4-byte Folded Spill
	s_and_saveexec_b32 s9, vcc_lo
	s_cbranch_execz .LBB143_162
; %bb.161:                              ;   in Loop: Header=BB143_145 Depth=1
	v_add_co_u32 v131, vcc_lo, v239, v127
	v_add_co_ci_u32_e32 v132, vcc_lo, v240, v128, vcc_lo
	v_add_co_u32 v146, vcc_lo, v241, v127
	v_add_co_ci_u32_e32 v147, vcc_lo, v242, v128, vcc_lo
	global_load_b32 v131, v[131:132], off
	s_waitcnt vmcnt(0)
	scratch_store_b32 off, v131, off offset:184 ; 4-byte Folded Spill
	global_load_b32 v131, v[146:147], off
	s_waitcnt vmcnt(0)
	scratch_store_b32 off, v131, off offset:196 ; 4-byte Folded Spill
.LBB143_162:                            ;   in Loop: Header=BB143_145 Depth=1
	s_or_b32 exec_lo, exec_lo, s9
	v_add_co_u32 v131, vcc_lo, v129, 7
	v_add_co_ci_u32_e32 v132, vcc_lo, 0, v130, vcc_lo
	v_mov_b32_e32 v146, 0
	s_delay_alu instid0(VALU_DEP_2)
	v_cmp_gt_i64_e32 vcc_lo, s[16:17], v[131:132]
	v_mov_b32_e32 v131, 0
	s_clause 0x1
	scratch_store_b32 off, v146, off offset:200
	scratch_store_b32 off, v131, off offset:204
	v_mov_b32_e32 v131, 0
	scratch_store_b32 off, v131, off offset:208 ; 4-byte Folded Spill
	s_and_saveexec_b32 s9, vcc_lo
	s_cbranch_execz .LBB143_164
; %bb.163:                              ;   in Loop: Header=BB143_145 Depth=1
	v_add_co_u32 v131, vcc_lo, v235, v127
	v_add_co_ci_u32_e32 v132, vcc_lo, v236, v128, vcc_lo
	v_add_co_u32 v146, vcc_lo, v237, v127
	v_add_co_ci_u32_e32 v147, vcc_lo, v238, v128, vcc_lo
	global_load_b32 v131, v[131:132], off
	s_waitcnt vmcnt(0)
	scratch_store_b32 off, v131, off offset:204 ; 4-byte Folded Spill
	global_load_b32 v131, v[146:147], off
	s_waitcnt vmcnt(0)
	scratch_store_b32 off, v131, off offset:208 ; 4-byte Folded Spill
.LBB143_164:                            ;   in Loop: Header=BB143_145 Depth=1
	s_or_b32 exec_lo, exec_lo, s9
	v_add_co_u32 v131, vcc_lo, v129, 8
	v_add_co_ci_u32_e32 v132, vcc_lo, 0, v130, vcc_lo
	s_delay_alu instid0(VALU_DEP_1)
	v_cmp_gt_i64_e32 vcc_lo, s[16:17], v[131:132]
	v_mov_b32_e32 v131, 0
	scratch_store_b32 off, v131, off offset:212 ; 4-byte Folded Spill
	s_and_saveexec_b32 s9, vcc_lo
	s_cbranch_execz .LBB143_166
; %bb.165:                              ;   in Loop: Header=BB143_145 Depth=1
	v_add_co_u32 v131, vcc_lo, v231, v127
	v_add_co_ci_u32_e32 v132, vcc_lo, v232, v128, vcc_lo
	v_add_co_u32 v146, vcc_lo, v233, v127
	v_add_co_ci_u32_e32 v147, vcc_lo, v234, v128, vcc_lo
	global_load_b32 v131, v[131:132], off
	s_waitcnt vmcnt(0)
	scratch_store_b32 off, v131, off offset:200 ; 4-byte Folded Spill
	global_load_b32 v131, v[146:147], off
	s_waitcnt vmcnt(0)
	scratch_store_b32 off, v131, off offset:212 ; 4-byte Folded Spill
.LBB143_166:                            ;   in Loop: Header=BB143_145 Depth=1
	;; [unrolled: 47-line block ×6, first 2 shown]
	s_or_b32 exec_lo, exec_lo, s9
	v_add_co_u32 v146, vcc_lo, v129, 17
	v_add_co_ci_u32_e32 v147, vcc_lo, 0, v130, vcc_lo
	v_dual_mov_b32 v131, 0 :: v_dual_mov_b32 v132, 0
	s_delay_alu instid0(VALU_DEP_2)
	v_cmp_gt_i64_e32 vcc_lo, s[16:17], v[146:147]
	v_mov_b32_e32 v146, 0
	scratch_store_b32 off, v131, off offset:280 ; 4-byte Folded Spill
	s_and_saveexec_b32 s9, vcc_lo
	s_cbranch_execz .LBB143_184
; %bb.183:                              ;   in Loop: Header=BB143_145 Depth=1
	v_add_co_u32 v146, vcc_lo, v195, v127
	v_add_co_ci_u32_e32 v147, vcc_lo, v196, v128, vcc_lo
	v_add_co_u32 v148, vcc_lo, v197, v127
	v_add_co_ci_u32_e32 v149, vcc_lo, v198, v128, vcc_lo
	global_load_b32 v132, v[146:147], off
	global_load_b32 v146, v[148:149], off
.LBB143_184:                            ;   in Loop: Header=BB143_145 Depth=1
	s_or_b32 exec_lo, exec_lo, s9
	v_add_co_u32 v147, vcc_lo, v129, 18
	v_add_co_ci_u32_e32 v148, vcc_lo, 0, v130, vcc_lo
	s_delay_alu instid0(VALU_DEP_1)
	v_cmp_gt_i64_e32 vcc_lo, s[16:17], v[147:148]
	v_mov_b32_e32 v147, 0
	s_and_saveexec_b32 s9, vcc_lo
	s_cbranch_execz .LBB143_186
; %bb.185:                              ;   in Loop: Header=BB143_145 Depth=1
	v_add_co_u32 v147, vcc_lo, v191, v127
	v_add_co_ci_u32_e32 v148, vcc_lo, v192, v128, vcc_lo
	v_add_co_u32 v149, vcc_lo, v193, v127
	v_add_co_ci_u32_e32 v150, vcc_lo, v194, v128, vcc_lo
	global_load_b32 v131, v[147:148], off
	global_load_b32 v147, v[149:150], off
	s_waitcnt vmcnt(1)
	scratch_store_b32 off, v131, off offset:280 ; 4-byte Folded Spill
.LBB143_186:                            ;   in Loop: Header=BB143_145 Depth=1
	s_or_b32 exec_lo, exec_lo, s9
	v_add_co_u32 v149, vcc_lo, v129, 19
	v_add_co_ci_u32_e32 v150, vcc_lo, 0, v130, vcc_lo
	v_mov_b32_e32 v148, 0
	s_delay_alu instid0(VALU_DEP_2)
	v_cmp_gt_i64_e32 vcc_lo, s[16:17], v[149:150]
	v_dual_mov_b32 v149, 0 :: v_dual_mov_b32 v150, 0
	s_and_saveexec_b32 s9, vcc_lo
	s_cbranch_execz .LBB143_188
; %bb.187:                              ;   in Loop: Header=BB143_145 Depth=1
	v_add_co_u32 v149, vcc_lo, v187, v127
	v_add_co_ci_u32_e32 v150, vcc_lo, v188, v128, vcc_lo
	v_add_co_u32 v151, vcc_lo, v189, v127
	v_add_co_ci_u32_e32 v152, vcc_lo, v190, v128, vcc_lo
	global_load_b32 v149, v[149:150], off
	global_load_b32 v150, v[151:152], off
.LBB143_188:                            ;   in Loop: Header=BB143_145 Depth=1
	s_or_b32 exec_lo, exec_lo, s9
	v_add_co_u32 v151, vcc_lo, v129, 20
	v_add_co_ci_u32_e32 v152, vcc_lo, 0, v130, vcc_lo
	s_delay_alu instid0(VALU_DEP_1)
	v_cmp_gt_i64_e32 vcc_lo, s[16:17], v[151:152]
	v_mov_b32_e32 v151, 0
	s_and_saveexec_b32 s9, vcc_lo
	s_cbranch_execz .LBB143_190
; %bb.189:                              ;   in Loop: Header=BB143_145 Depth=1
	scratch_load_b32 v131, off, off offset:172 ; 4-byte Folded Reload
	s_waitcnt vmcnt(0)
	v_add_co_u32 v151, vcc_lo, v131, v127
	v_add_co_ci_u32_e32 v152, vcc_lo, v184, v128, vcc_lo
	v_add_co_u32 v153, vcc_lo, v185, v127
	v_add_co_ci_u32_e32 v154, vcc_lo, v186, v128, vcc_lo
	global_load_b32 v148, v[151:152], off
	global_load_b32 v151, v[153:154], off
.LBB143_190:                            ;   in Loop: Header=BB143_145 Depth=1
	s_or_b32 exec_lo, exec_lo, s9
	v_add_co_u32 v153, vcc_lo, v129, 21
	v_add_co_ci_u32_e32 v154, vcc_lo, 0, v130, vcc_lo
	v_mov_b32_e32 v152, 0
	s_delay_alu instid0(VALU_DEP_2)
	v_cmp_gt_i64_e32 vcc_lo, s[16:17], v[153:154]
	v_dual_mov_b32 v153, 0 :: v_dual_mov_b32 v154, 0
	s_and_saveexec_b32 s9, vcc_lo
	s_cbranch_execz .LBB143_192
; %bb.191:                              ;   in Loop: Header=BB143_145 Depth=1
	s_clause 0x1
	scratch_load_b32 v153, off, off offset:164
	scratch_load_b32 v131, off, off offset:168
	s_waitcnt vmcnt(1)
	v_add_co_u32 v153, vcc_lo, v153, v127
	v_add_co_ci_u32_e32 v154, vcc_lo, v180, v128, vcc_lo
	v_add_co_u32 v155, vcc_lo, v181, v127
	s_waitcnt vmcnt(0)
	v_add_co_ci_u32_e32 v156, vcc_lo, v131, v128, vcc_lo
	global_load_b32 v153, v[153:154], off
	global_load_b32 v154, v[155:156], off
.LBB143_192:                            ;   in Loop: Header=BB143_145 Depth=1
	s_or_b32 exec_lo, exec_lo, s9
	v_add_co_u32 v155, vcc_lo, v129, 22
	v_add_co_ci_u32_e32 v156, vcc_lo, 0, v130, vcc_lo
	s_delay_alu instid0(VALU_DEP_1)
	v_cmp_gt_i64_e32 vcc_lo, s[16:17], v[155:156]
	v_mov_b32_e32 v155, 0
	s_and_saveexec_b32 s9, vcc_lo
	s_cbranch_execz .LBB143_194
; %bb.193:                              ;   in Loop: Header=BB143_145 Depth=1
	scratch_load_b32 v152, off, off offset:148 ; 4-byte Folded Reload
	s_waitcnt vmcnt(0)
	v_add_co_u32 v155, vcc_lo, v152, v127
	scratch_load_b32 v152, off, off offset:152 ; 4-byte Folded Reload
	s_waitcnt vmcnt(0)
	v_add_co_ci_u32_e32 v156, vcc_lo, v152, v128, vcc_lo
	scratch_load_b32 v152, off, off offset:156 ; 4-byte Folded Reload
	s_waitcnt vmcnt(0)
	v_add_co_u32 v157, vcc_lo, v152, v127
	scratch_load_b32 v152, off, off offset:160 ; 4-byte Folded Reload
	s_waitcnt vmcnt(0)
	v_add_co_ci_u32_e32 v158, vcc_lo, v152, v128, vcc_lo
	global_load_b32 v152, v[155:156], off
	global_load_b32 v155, v[157:158], off
.LBB143_194:                            ;   in Loop: Header=BB143_145 Depth=1
	s_or_b32 exec_lo, exec_lo, s9
	v_add_co_u32 v157, vcc_lo, v129, 23
	v_add_co_ci_u32_e32 v158, vcc_lo, 0, v130, vcc_lo
	v_mov_b32_e32 v156, 0
	s_delay_alu instid0(VALU_DEP_2)
	v_cmp_gt_i64_e32 vcc_lo, s[16:17], v[157:158]
	v_dual_mov_b32 v157, 0 :: v_dual_mov_b32 v158, 0
	s_and_saveexec_b32 s9, vcc_lo
	s_cbranch_execz .LBB143_196
; %bb.195:                              ;   in Loop: Header=BB143_145 Depth=1
	s_clause 0x3
	scratch_load_b32 v157, off, off offset:132
	scratch_load_b32 v158, off, off offset:136
	scratch_load_b32 v159, off, off offset:140
	scratch_load_b32 v160, off, off offset:144
	s_waitcnt vmcnt(3)
	v_add_co_u32 v157, vcc_lo, v157, v127
	s_waitcnt vmcnt(2)
	v_add_co_ci_u32_e32 v158, vcc_lo, v158, v128, vcc_lo
	s_waitcnt vmcnt(1)
	v_add_co_u32 v159, vcc_lo, v159, v127
	s_waitcnt vmcnt(0)
	v_add_co_ci_u32_e32 v160, vcc_lo, v160, v128, vcc_lo
	global_load_b32 v157, v[157:158], off
	global_load_b32 v158, v[159:160], off
.LBB143_196:                            ;   in Loop: Header=BB143_145 Depth=1
	s_or_b32 exec_lo, exec_lo, s9
	v_add_co_u32 v159, vcc_lo, v129, 24
	v_add_co_ci_u32_e32 v160, vcc_lo, 0, v130, vcc_lo
	s_delay_alu instid0(VALU_DEP_1)
	v_cmp_gt_i64_e32 vcc_lo, s[16:17], v[159:160]
	v_mov_b32_e32 v159, 0
	s_and_saveexec_b32 s9, vcc_lo
	s_cbranch_execz .LBB143_198
; %bb.197:                              ;   in Loop: Header=BB143_145 Depth=1
	scratch_load_b32 v156, off, off offset:116 ; 4-byte Folded Reload
	s_waitcnt vmcnt(0)
	v_add_co_u32 v159, vcc_lo, v156, v127
	scratch_load_b32 v156, off, off offset:120 ; 4-byte Folded Reload
	s_waitcnt vmcnt(0)
	v_add_co_ci_u32_e32 v160, vcc_lo, v156, v128, vcc_lo
	scratch_load_b32 v156, off, off offset:124 ; 4-byte Folded Reload
	s_waitcnt vmcnt(0)
	v_add_co_u32 v161, vcc_lo, v156, v127
	scratch_load_b32 v156, off, off offset:128 ; 4-byte Folded Reload
	s_waitcnt vmcnt(0)
	v_add_co_ci_u32_e32 v162, vcc_lo, v156, v128, vcc_lo
	global_load_b32 v156, v[159:160], off
	global_load_b32 v159, v[161:162], off
.LBB143_198:                            ;   in Loop: Header=BB143_145 Depth=1
	s_or_b32 exec_lo, exec_lo, s9
	v_add_co_u32 v161, vcc_lo, v129, 25
	v_add_co_ci_u32_e32 v162, vcc_lo, 0, v130, vcc_lo
	v_mov_b32_e32 v160, 0
	s_delay_alu instid0(VALU_DEP_2)
	v_cmp_gt_i64_e32 vcc_lo, s[16:17], v[161:162]
	v_dual_mov_b32 v161, 0 :: v_dual_mov_b32 v162, 0
	s_and_saveexec_b32 s9, vcc_lo
	s_cbranch_execz .LBB143_200
; %bb.199:                              ;   in Loop: Header=BB143_145 Depth=1
	s_clause 0x3
	scratch_load_b32 v161, off, off offset:100
	scratch_load_b32 v162, off, off offset:104
	scratch_load_b32 v163, off, off offset:108
	scratch_load_b32 v164, off, off offset:112
	s_waitcnt vmcnt(3)
	v_add_co_u32 v161, vcc_lo, v161, v127
	s_waitcnt vmcnt(2)
	v_add_co_ci_u32_e32 v162, vcc_lo, v162, v128, vcc_lo
	s_waitcnt vmcnt(1)
	v_add_co_u32 v163, vcc_lo, v163, v127
	s_waitcnt vmcnt(0)
	v_add_co_ci_u32_e32 v164, vcc_lo, v164, v128, vcc_lo
	global_load_b32 v161, v[161:162], off
	global_load_b32 v162, v[163:164], off
.LBB143_200:                            ;   in Loop: Header=BB143_145 Depth=1
	;; [unrolled: 50-line block ×4, first 2 shown]
	s_or_b32 exec_lo, exec_lo, s9
	v_add_co_u32 v171, vcc_lo, v129, 30
	v_add_co_ci_u32_e32 v172, vcc_lo, 0, v130, vcc_lo
	s_delay_alu instid0(VALU_DEP_1)
	v_cmp_gt_i64_e32 vcc_lo, s[16:17], v[171:172]
	v_mov_b32_e32 v171, 0
	s_and_saveexec_b32 s9, vcc_lo
	s_cbranch_execz .LBB143_210
; %bb.209:                              ;   in Loop: Header=BB143_145 Depth=1
	scratch_load_b32 v168, off, off offset:20 ; 4-byte Folded Reload
	s_waitcnt vmcnt(0)
	v_add_co_u32 v171, vcc_lo, v168, v127
	scratch_load_b32 v168, off, off offset:24 ; 4-byte Folded Reload
	s_waitcnt vmcnt(0)
	v_add_co_ci_u32_e32 v172, vcc_lo, v168, v128, vcc_lo
	scratch_load_b32 v168, off, off offset:28 ; 4-byte Folded Reload
	s_waitcnt vmcnt(0)
	v_add_co_u32 v173, vcc_lo, v168, v127
	scratch_load_b32 v168, off, off offset:32 ; 4-byte Folded Reload
	s_waitcnt vmcnt(0)
	v_add_co_ci_u32_e32 v174, vcc_lo, v168, v128, vcc_lo
	global_load_b32 v168, v[171:172], off
	global_load_b32 v171, v[173:174], off
.LBB143_210:                            ;   in Loop: Header=BB143_145 Depth=1
	s_or_b32 exec_lo, exec_lo, s9
	v_add_co_u32 v172, vcc_lo, v129, 31
	v_add_co_ci_u32_e32 v173, vcc_lo, 0, v130, vcc_lo
	s_delay_alu instid0(VALU_DEP_1)
	v_cmp_gt_i64_e32 vcc_lo, s[16:17], v[172:173]
	v_mov_b32_e32 v172, 0
	s_and_saveexec_b32 s9, vcc_lo
	s_cbranch_execz .LBB143_212
; %bb.211:                              ;   in Loop: Header=BB143_145 Depth=1
	s_clause 0x2
	scratch_load_b32 v172, off, off offset:4
	scratch_load_b32 v173, off, off offset:8
	;; [unrolled: 1-line block ×3, first 2 shown]
	v_mov_b32_e32 v131, v181
	v_mov_b32_e32 v181, v180
	s_waitcnt vmcnt(3)
	v_mov_b32_e32 v180, v144
	v_dual_mov_b32 v144, v179 :: v_dual_mov_b32 v179, v178
	v_dual_mov_b32 v178, v177 :: v_dual_mov_b32 v177, v176
	v_mov_b32_e32 v176, v175
	scratch_load_b32 v175, off, off offset:16 ; 4-byte Folded Reload
	s_waitcnt vmcnt(3)
	v_add_co_u32 v172, vcc_lo, v172, v127
	s_waitcnt vmcnt(2)
	v_add_co_ci_u32_e32 v173, vcc_lo, v173, v128, vcc_lo
	s_waitcnt vmcnt(1)
	v_add_co_u32 v174, vcc_lo, v174, v127
	s_waitcnt vmcnt(0)
	v_add_co_ci_u32_e32 v175, vcc_lo, v175, v128, vcc_lo
	global_load_b32 v172, v[172:173], off
	global_load_b32 v173, v[174:175], off
	v_dual_mov_b32 v175, v176 :: v_dual_mov_b32 v176, v177
	v_dual_mov_b32 v177, v178 :: v_dual_mov_b32 v178, v179
	v_mov_b32_e32 v179, v144
	v_mov_b32_e32 v144, v180
	v_dual_mov_b32 v180, v181 :: v_dual_mov_b32 v181, v131
	s_waitcnt vmcnt(0)
	v_mul_f32_e32 v172, v172, v173
.LBB143_212:                            ;   in Loop: Header=BB143_145 Depth=1
	s_or_b32 exec_lo, exec_lo, s9
	scratch_load_b32 v131, off, off offset:176 ; 4-byte Folded Reload
	s_waitcnt vmcnt(1)
	v_dual_mul_f32 v173, v176, v177 :: v_dual_mul_f32 v174, v179, v144
	ds_bpermute_b32 v144, v126, v125
	ds_bpermute_b32 v176, v126, v125 offset:60
	ds_bpermute_b32 v179, v126, v125 offset:72
	v_mul_f32_e32 v132, v132, v146
	ds_bpermute_b32 v146, v126, v125 offset:80
	s_waitcnt lgkmcnt(3)
	v_fma_f32 v144, v173, v144, v145
	ds_bpermute_b32 v173, v126, v125 offset:4
	s_waitcnt lgkmcnt(0)
	v_fmac_f32_e32 v144, v174, v173
	ds_bpermute_b32 v174, v126, v125 offset:8
	v_mul_f32_e32 v173, v178, v175
	ds_bpermute_b32 v178, v126, v125 offset:64
	s_waitcnt lgkmcnt(1)
	v_fmac_f32_e32 v144, v173, v174
	ds_bpermute_b32 v174, v126, v125 offset:12
	s_waitcnt vmcnt(0)
	v_mul_f32_e32 v173, v183, v131
	scratch_load_b32 v131, off, off offset:180 ; 4-byte Folded Reload
	s_waitcnt lgkmcnt(0)
	v_fmac_f32_e32 v144, v173, v174
	ds_bpermute_b32 v174, v126, v125 offset:16
	s_waitcnt vmcnt(0)
	v_mul_f32_e32 v173, v182, v131
	s_waitcnt lgkmcnt(0)
	s_delay_alu instid0(VALU_DEP_1)
	v_fmac_f32_e32 v144, v173, v174
	s_clause 0x1
	scratch_load_b32 v131, off, off offset:188
	scratch_load_b32 v173, off, off offset:192
	ds_bpermute_b32 v174, v126, v125 offset:20
	s_waitcnt vmcnt(0)
	v_mul_f32_e32 v173, v131, v173
	s_waitcnt lgkmcnt(0)
	s_delay_alu instid0(VALU_DEP_1)
	v_fmac_f32_e32 v144, v173, v174
	s_clause 0x1
	scratch_load_b32 v131, off, off offset:184
	scratch_load_b32 v173, off, off offset:196
	;; [unrolled: 9-line block ×8, first 2 shown]
	ds_bpermute_b32 v174, v126, v125 offset:48
	s_waitcnt vmcnt(0)
	v_mul_f32_e32 v173, v131, v173
	s_clause 0x1
	scratch_load_b32 v131, off, off offset:252
	scratch_load_b32 v175, off, off offset:256
	s_waitcnt vmcnt(0)
	v_mul_f32_e32 v175, v131, v175
	s_clause 0x1
	scratch_load_b32 v131, off, off offset:244
	scratch_load_b32 v177, off, off offset:260
	s_waitcnt lgkmcnt(0)
	v_fmac_f32_e32 v144, v173, v174
	ds_bpermute_b32 v173, v126, v125 offset:52
	ds_bpermute_b32 v174, v126, v125 offset:56
	s_waitcnt vmcnt(0)
	v_mul_f32_e32 v177, v131, v177
	s_waitcnt lgkmcnt(1)
	v_fmac_f32_e32 v144, v175, v173
	s_clause 0x1
	scratch_load_b32 v131, off, off offset:268
	scratch_load_b32 v175, off, off offset:272
	ds_bpermute_b32 v173, v126, v125 offset:68
	s_waitcnt lgkmcnt(1)
	v_fmac_f32_e32 v144, v177, v174
	ds_bpermute_b32 v177, v126, v125 offset:76
	s_waitcnt vmcnt(0)
	v_mul_f32_e32 v175, v131, v175
	s_clause 0x1
	scratch_load_b32 v131, off, off offset:264
	scratch_load_b32 v174, off, off offset:276
	v_fmac_f32_e32 v144, v175, v176
	s_waitcnt vmcnt(0)
	v_mul_f32_e32 v174, v131, v174
	scratch_load_b32 v131, off, off offset:280 ; 4-byte Folded Reload
	s_waitcnt vmcnt(0)
	v_dual_fmac_f32 v144, v174, v178 :: v_dual_mul_f32 v131, v131, v147
	ds_bpermute_b32 v147, v126, v125 offset:84
	s_waitcnt lgkmcnt(2)
	v_fmac_f32_e32 v144, v132, v173
	v_mul_f32_e32 v132, v149, v150
	ds_bpermute_b32 v149, v126, v125 offset:88
	ds_bpermute_b32 v150, v126, v125 offset:96
	v_fmac_f32_e32 v144, v131, v179
	v_mul_f32_e32 v131, v148, v151
	ds_bpermute_b32 v148, v126, v125 offset:92
	s_waitcnt lgkmcnt(4)
	v_fmac_f32_e32 v144, v132, v177
	v_mul_f32_e32 v132, v153, v154
	s_delay_alu instid0(VALU_DEP_2)
	v_dual_fmac_f32 v144, v131, v146 :: v_dual_mul_f32 v131, v152, v155
	ds_bpermute_b32 v146, v126, v125 offset:100
	s_waitcnt lgkmcnt(4)
	v_fmac_f32_e32 v144, v132, v147
	v_mul_f32_e32 v132, v157, v158
	ds_bpermute_b32 v147, v126, v125 offset:104
	s_waitcnt lgkmcnt(4)
	v_dual_fmac_f32 v144, v131, v149 :: v_dual_mul_f32 v131, v156, v159
	ds_bpermute_b32 v149, v126, v125 offset:108
	s_waitcnt lgkmcnt(3)
	v_fmac_f32_e32 v144, v132, v148
	v_mul_f32_e32 v132, v161, v162
	ds_bpermute_b32 v148, v126, v125 offset:112
	v_dual_fmac_f32 v144, v131, v150 :: v_dual_mul_f32 v131, v160, v163
	ds_bpermute_b32 v150, v126, v125 offset:116
	s_waitcnt lgkmcnt(4)
	v_fmac_f32_e32 v144, v132, v146
	v_mul_f32_e32 v132, v165, v166
	v_mul_f32_e32 v146, v164, v167
	s_waitcnt lgkmcnt(3)
	s_delay_alu instid0(VALU_DEP_3)
	v_fmac_f32_e32 v144, v131, v147
	ds_bpermute_b32 v131, v126, v125 offset:120
	ds_bpermute_b32 v125, v126, v125 offset:124
	s_waitcnt lgkmcnt(4)
	v_fmac_f32_e32 v144, v132, v149
	v_mul_f32_e32 v132, v169, v170
	s_waitcnt lgkmcnt(3)
	s_delay_alu instid0(VALU_DEP_2) | instskip(SKIP_1) | instid1(VALU_DEP_1)
	v_fmac_f32_e32 v144, v146, v148
	s_waitcnt lgkmcnt(2)
	v_fmac_f32_e32 v144, v132, v150
	v_mul_f32_e32 v132, v168, v171
	s_waitcnt lgkmcnt(1)
	s_delay_alu instid0(VALU_DEP_1) | instskip(SKIP_1) | instid1(VALU_DEP_1)
	v_fmac_f32_e32 v144, v132, v131
	s_waitcnt lgkmcnt(0)
	v_fmac_f32_e32 v144, v172, v125
	s_branch .LBB143_217
.LBB143_213:                            ;   in Loop: Header=BB143_145 Depth=1
                                        ; implicit-def: $vgpr144
	s_cbranch_execz .LBB143_217
; %bb.214:                              ;   in Loop: Header=BB143_145 Depth=1
	s_load_b32 s9, s[10:11], 0x0
	s_waitcnt lgkmcnt(0)
	s_cmp_lt_u32 s14, s9
	s_cselect_b32 s9, 12, 18
	s_delay_alu instid0(SALU_CYCLE_1)
	s_add_u32 s24, s10, s9
	s_addc_u32 s25, s11, 0
	s_mov_b32 s9, exec_lo
	global_load_u16 v125, v126, s[24:25]
	s_clause 0x1
	scratch_load_b32 v131, off, off offset:284
	scratch_load_b32 v132, off, off offset:288
	s_waitcnt vmcnt(0)
	v_mad_u32_u24 v125, v131, v125, v132
	s_delay_alu instid0(VALU_DEP_1) | instskip(NEXT) | instid1(VALU_DEP_1)
	v_and_b32_e32 v125, 31, v125
	v_add_co_u32 v129, vcc_lo, v129, v125
	v_add_co_ci_u32_e32 v130, vcc_lo, 0, v130, vcc_lo
	v_mov_b32_e32 v125, 0
	s_delay_alu instid0(VALU_DEP_2)
	v_cmpx_gt_i64_e64 s[16:17], v[129:130]
	s_cbranch_execz .LBB143_216
; %bb.215:                              ;   in Loop: Header=BB143_145 Depth=1
	v_lshlrev_b64 v[129:130], 2, v[129:130]
	s_delay_alu instid0(VALU_DEP_1) | instskip(NEXT) | instid1(VALU_DEP_2)
	v_add_co_u32 v129, vcc_lo, s6, v129
	v_add_co_ci_u32_e32 v130, vcc_lo, s7, v130, vcc_lo
	global_load_b32 v125, v[129:130], off
.LBB143_216:                            ;   in Loop: Header=BB143_145 Depth=1
	s_or_b32 exec_lo, exec_lo, s9
	v_add_co_u32 v129, vcc_lo, v135, v127
	v_add_co_ci_u32_e32 v130, vcc_lo, v136, v128, vcc_lo
	global_load_b32 v131, v[129:130], off
	v_add_co_u32 v129, vcc_lo, v137, v127
	v_add_co_ci_u32_e32 v130, vcc_lo, v138, v128, vcc_lo
	global_load_b32 v129, v[129:130], off
	s_waitcnt vmcnt(2)
	ds_bpermute_b32 v130, v126, v125
	s_waitcnt vmcnt(0)
	v_mul_f32_e32 v129, v131, v129
	s_waitcnt lgkmcnt(0)
	s_delay_alu instid0(VALU_DEP_1)
	v_fmac_f32_e32 v145, v129, v130
	v_add_co_u32 v129, vcc_lo, v1, v127
	v_add_co_ci_u32_e32 v130, vcc_lo, v2, v128, vcc_lo
	global_load_b32 v131, v[129:130], off
	v_add_co_u32 v129, vcc_lo, v9, v127
	v_add_co_ci_u32_e32 v130, vcc_lo, v10, v128, vcc_lo
	global_load_b32 v129, v[129:130], off
	ds_bpermute_b32 v130, v126, v125 offset:4
	s_waitcnt vmcnt(0)
	v_mul_f32_e32 v129, v131, v129
	s_waitcnt lgkmcnt(0)
	s_delay_alu instid0(VALU_DEP_1)
	v_fmac_f32_e32 v145, v129, v130
	v_add_co_u32 v129, vcc_lo, v3, v127
	v_add_co_ci_u32_e32 v130, vcc_lo, v4, v128, vcc_lo
	global_load_b32 v131, v[129:130], off
	v_add_co_u32 v129, vcc_lo, v13, v127
	v_add_co_ci_u32_e32 v130, vcc_lo, v14, v128, vcc_lo
	global_load_b32 v129, v[129:130], off
	ds_bpermute_b32 v130, v126, v125 offset:8
	;; [unrolled: 12-line block ×30, first 2 shown]
	ds_bpermute_b32 v125, v126, v125 offset:124
	s_waitcnt vmcnt(0)
	v_mul_f32_e32 v129, v131, v129
	s_waitcnt lgkmcnt(1)
	s_delay_alu instid0(VALU_DEP_1)
	v_fmac_f32_e32 v145, v129, v130
	v_add_co_u32 v129, vcc_lo, v121, v127
	v_add_co_ci_u32_e32 v130, vcc_lo, v122, v128, vcc_lo
	global_load_b32 v131, v[129:130], off
	v_add_co_u32 v129, vcc_lo, v123, v127
	v_add_co_ci_u32_e32 v130, vcc_lo, v124, v128, vcc_lo
	global_load_b32 v129, v[129:130], off
	s_waitcnt vmcnt(0)
	v_mul_f32_e32 v129, v131, v129
	s_waitcnt lgkmcnt(0)
	s_delay_alu instid0(VALU_DEP_1) | instskip(NEXT) | instid1(VALU_DEP_1)
	v_fmac_f32_e32 v145, v129, v125
	v_mov_b32_e32 v144, v145
.LBB143_217:                            ;   in Loop: Header=BB143_145 Depth=1
	scratch_load_b32 v125, off, off         ; 4-byte Folded Reload
	v_add_co_u32 v1, vcc_lo, v1, s12
	v_add_co_ci_u32_e32 v2, vcc_lo, s13, v2, vcc_lo
	v_add_co_u32 v3, vcc_lo, v3, s12
	v_add_co_ci_u32_e32 v4, vcc_lo, s13, v4, vcc_lo
	;; [unrolled: 2-line block ×64, first 2 shown]
	s_add_u32 s22, s22, s3
	s_addc_u32 s23, s23, 0
	s_add_u32 s20, s20, s3
	v_cmp_ge_i64_e64 s9, s[22:23], s[16:17]
	s_addc_u32 s21, s21, 0
	s_waitcnt vmcnt(0)
	v_add_co_u32 v125, vcc_lo, v125, s3
	v_add_co_ci_u32_e32 v143, vcc_lo, 0, v143, vcc_lo
	scratch_store_b32 off, v125, off        ; 4-byte Folded Spill
	scratch_load_b32 v125, off, off offset:4 ; 4-byte Folded Reload
	s_waitcnt vmcnt(0)
	v_add_co_u32 v125, vcc_lo, v125, s12
	scratch_store_b32 off, v125, off offset:4 ; 4-byte Folded Spill
	scratch_load_b32 v125, off, off offset:8 ; 4-byte Folded Reload
	s_waitcnt vmcnt(0)
	v_add_co_ci_u32_e32 v125, vcc_lo, s13, v125, vcc_lo
	scratch_store_b32 off, v125, off offset:8 ; 4-byte Folded Spill
	scratch_load_b32 v125, off, off offset:12 ; 4-byte Folded Reload
	s_waitcnt vmcnt(0)
	v_add_co_u32 v125, vcc_lo, v125, s12
	scratch_store_b32 off, v125, off offset:12 ; 4-byte Folded Spill
	scratch_load_b32 v125, off, off offset:16 ; 4-byte Folded Reload
	s_waitcnt vmcnt(0)
	v_add_co_ci_u32_e32 v125, vcc_lo, s13, v125, vcc_lo
	scratch_store_b32 off, v125, off offset:16 ; 4-byte Folded Spill
	;; [unrolled: 8-line block ×20, first 2 shown]
	scratch_load_b32 v125, off, off offset:164 ; 4-byte Folded Reload
	s_waitcnt vmcnt(0)
	v_add_co_u32 v125, vcc_lo, v125, s12
	v_add_co_ci_u32_e32 v180, vcc_lo, s13, v180, vcc_lo
	v_add_co_u32 v181, vcc_lo, v181, s12
	scratch_store_b32 off, v125, off offset:164 ; 4-byte Folded Spill
	scratch_load_b32 v125, off, off offset:168 ; 4-byte Folded Reload
	s_waitcnt vmcnt(0)
	v_add_co_ci_u32_e32 v125, vcc_lo, s13, v125, vcc_lo
	scratch_store_b32 off, v125, off offset:168 ; 4-byte Folded Spill
	scratch_load_b32 v125, off, off offset:172 ; 4-byte Folded Reload
	s_waitcnt vmcnt(0)
	v_add_co_u32 v125, vcc_lo, v125, s12
	v_add_co_ci_u32_e32 v184, vcc_lo, s13, v184, vcc_lo
	v_add_co_u32 v185, vcc_lo, v185, s12
	v_add_co_ci_u32_e32 v186, vcc_lo, s13, v186, vcc_lo
	v_add_co_u32 v187, vcc_lo, v187, s12
	v_add_co_ci_u32_e32 v188, vcc_lo, s13, v188, vcc_lo
	v_add_co_u32 v189, vcc_lo, v189, s12
	v_add_co_ci_u32_e32 v190, vcc_lo, s13, v190, vcc_lo
	v_add_co_u32 v191, vcc_lo, v191, s12
	v_add_co_ci_u32_e32 v192, vcc_lo, s13, v192, vcc_lo
	v_add_co_u32 v193, vcc_lo, v193, s12
	v_add_co_ci_u32_e32 v194, vcc_lo, s13, v194, vcc_lo
	v_add_co_u32 v195, vcc_lo, v195, s12
	v_add_co_ci_u32_e32 v196, vcc_lo, s13, v196, vcc_lo
	v_add_co_u32 v197, vcc_lo, v197, s12
	v_add_co_ci_u32_e32 v198, vcc_lo, s13, v198, vcc_lo
	v_add_co_u32 v199, vcc_lo, v199, s12
	v_add_co_ci_u32_e32 v200, vcc_lo, s13, v200, vcc_lo
	v_add_co_u32 v201, vcc_lo, v201, s12
	v_add_co_ci_u32_e32 v202, vcc_lo, s13, v202, vcc_lo
	v_add_co_u32 v203, vcc_lo, v203, s12
	v_add_co_ci_u32_e32 v204, vcc_lo, s13, v204, vcc_lo
	v_add_co_u32 v205, vcc_lo, v205, s12
	v_add_co_ci_u32_e32 v206, vcc_lo, s13, v206, vcc_lo
	v_add_co_u32 v207, vcc_lo, v207, s12
	v_add_co_ci_u32_e32 v208, vcc_lo, s13, v208, vcc_lo
	v_add_co_u32 v209, vcc_lo, v209, s12
	v_add_co_ci_u32_e32 v210, vcc_lo, s13, v210, vcc_lo
	v_add_co_u32 v211, vcc_lo, v211, s12
	v_add_co_ci_u32_e32 v212, vcc_lo, s13, v212, vcc_lo
	v_add_co_u32 v213, vcc_lo, v213, s12
	v_add_co_ci_u32_e32 v214, vcc_lo, s13, v214, vcc_lo
	v_add_co_u32 v215, vcc_lo, v215, s12
	v_add_co_ci_u32_e32 v216, vcc_lo, s13, v216, vcc_lo
	v_add_co_u32 v217, vcc_lo, v217, s12
	v_add_co_ci_u32_e32 v218, vcc_lo, s13, v218, vcc_lo
	v_add_co_u32 v219, vcc_lo, v219, s12
	v_add_co_ci_u32_e32 v220, vcc_lo, s13, v220, vcc_lo
	v_add_co_u32 v221, vcc_lo, v221, s12
	v_add_co_ci_u32_e32 v222, vcc_lo, s13, v222, vcc_lo
	v_add_co_u32 v223, vcc_lo, v223, s12
	v_add_co_ci_u32_e32 v224, vcc_lo, s13, v224, vcc_lo
	v_add_co_u32 v225, vcc_lo, v225, s12
	v_add_co_ci_u32_e32 v226, vcc_lo, s13, v226, vcc_lo
	v_add_co_u32 v227, vcc_lo, v227, s12
	v_add_co_ci_u32_e32 v228, vcc_lo, s13, v228, vcc_lo
	v_add_co_u32 v229, vcc_lo, v229, s12
	v_add_co_ci_u32_e32 v230, vcc_lo, s13, v230, vcc_lo
	v_add_co_u32 v231, vcc_lo, v231, s12
	v_add_co_ci_u32_e32 v232, vcc_lo, s13, v232, vcc_lo
	v_add_co_u32 v233, vcc_lo, v233, s12
	v_add_co_ci_u32_e32 v234, vcc_lo, s13, v234, vcc_lo
	v_add_co_u32 v235, vcc_lo, v235, s12
	v_add_co_ci_u32_e32 v236, vcc_lo, s13, v236, vcc_lo
	v_add_co_u32 v237, vcc_lo, v237, s12
	v_add_co_ci_u32_e32 v238, vcc_lo, s13, v238, vcc_lo
	v_add_co_u32 v239, vcc_lo, v239, s12
	v_add_co_ci_u32_e32 v240, vcc_lo, s13, v240, vcc_lo
	v_add_co_u32 v241, vcc_lo, v241, s12
	v_add_co_ci_u32_e32 v242, vcc_lo, s13, v242, vcc_lo
	v_add_co_u32 v243, vcc_lo, v243, s12
	v_add_co_ci_u32_e32 v244, vcc_lo, s13, v244, vcc_lo
	v_add_co_u32 v245, vcc_lo, v245, s12
	v_add_co_ci_u32_e32 v246, vcc_lo, s13, v246, vcc_lo
	v_add_co_u32 v247, vcc_lo, v247, s12
	v_add_co_ci_u32_e32 v248, vcc_lo, s13, v248, vcc_lo
	v_add_co_u32 v249, vcc_lo, v249, s12
	v_add_co_ci_u32_e32 v250, vcc_lo, s13, v250, vcc_lo
	v_add_co_u32 v251, vcc_lo, v251, s12
	v_add_co_ci_u32_e32 v252, vcc_lo, s13, v252, vcc_lo
	v_add_co_u32 v253, vcc_lo, v253, s12
	v_add_co_ci_u32_e32 v254, vcc_lo, s13, v254, vcc_lo
	v_add_co_u32 v255, vcc_lo, v255, s12
	v_add_co_ci_u32_e32 v133, vcc_lo, s13, v133, vcc_lo
	v_add_co_u32 v0, vcc_lo, v0, s12
	v_add_co_ci_u32_e32 v134, vcc_lo, s13, v134, vcc_lo
	v_add_co_u32 v139, vcc_lo, v139, s12
	v_add_co_ci_u32_e32 v140, vcc_lo, s13, v140, vcc_lo
	v_add_co_u32 v141, vcc_lo, v141, s12
	v_add_co_ci_u32_e32 v142, vcc_lo, s13, v142, vcc_lo
	s_and_b32 vcc_lo, exec_lo, s9
	scratch_store_b32 off, v125, off offset:172 ; 4-byte Folded Spill
	s_cbranch_vccnz .LBB143_219
; %bb.218:                              ;   in Loop: Header=BB143_145 Depth=1
	v_mov_b32_e32 v145, v144
	s_branch .LBB143_145
.LBB143_219:
	scratch_load_b32 v207, off, off offset:292 ; 4-byte Folded Reload
.LBB143_220:
	s_waitcnt vmcnt(0)
	v_and_b32_e32 v0, 0x3ff, v207
	s_mov_b32 s15, 0
	s_delay_alu instid0(SALU_CYCLE_1)
	s_lshl_b64 s[6:7], s[14:15], 6
	s_waitcnt lgkmcnt(0)
	s_cmp_lg_u64 s[4:5], 0
	v_or_b32_e32 v1, s6, v0
	v_mov_b32_e32 v2, s7
	s_cselect_b32 s3, -1, 0
	s_delay_alu instid0(VALU_DEP_1) | instskip(SKIP_1) | instid1(SALU_CYCLE_1)
	v_cmp_gt_i64_e32 vcc_lo, s[18:19], v[1:2]
	s_and_b32 s3, vcc_lo, s3
	s_and_saveexec_b32 s6, s3
	s_cbranch_execz .LBB143_222
; %bb.221:
	s_load_b32 s0, s[0:1], 0x4c
	v_bfe_u32 v3, v207, 10, 10
	v_mov_b32_e32 v4, 0
	s_waitcnt lgkmcnt(0)
	s_lshr_b32 s0, s0, 16
	s_delay_alu instid0(VALU_DEP_1) | instid1(SALU_CYCLE_1)
	v_mad_u64_u32 v[5:6], null, s0, s2, v[3:4]
	s_delay_alu instid0(VALU_DEP_1) | instskip(NEXT) | instid1(VALU_DEP_2)
	v_mul_lo_u32 v0, v6, s18
	v_mul_lo_u32 v6, v5, s19
	v_mad_u64_u32 v[3:4], null, v5, s18, 0
	s_delay_alu instid0(VALU_DEP_1) | instskip(SKIP_1) | instid1(VALU_DEP_2)
	v_add3_u32 v4, v4, v6, v0
	v_lshlrev_b64 v[0:1], 2, v[1:2]
	v_lshlrev_b64 v[3:4], 2, v[3:4]
	s_delay_alu instid0(VALU_DEP_1) | instskip(NEXT) | instid1(VALU_DEP_2)
	v_add_co_u32 v2, vcc_lo, s4, v3
	v_add_co_ci_u32_e32 v3, vcc_lo, s5, v4, vcc_lo
	s_delay_alu instid0(VALU_DEP_2) | instskip(NEXT) | instid1(VALU_DEP_2)
	v_add_co_u32 v0, vcc_lo, v2, v0
	v_add_co_ci_u32_e32 v1, vcc_lo, v3, v1, vcc_lo
	global_store_b32 v[0:1], v144, off
.LBB143_222:
	s_endpgm
	.section	.rodata,"a",@progbits
	.p2align	6, 0x0
	.amdhsa_kernel _ZN2at6native12_GLOBAL__N_135GammaBetaBackwardCUDAKernelTemplateIffLj64ELj1ELj32ELb1ELb0ELb1EEEvllPKT_S5_PKT0_S8_PS3_S9_
		.amdhsa_group_segment_fixed_size 0
		.amdhsa_private_segment_fixed_size 300
		.amdhsa_kernarg_size 320
		.amdhsa_user_sgpr_count 14
		.amdhsa_user_sgpr_dispatch_ptr 0
		.amdhsa_user_sgpr_queue_ptr 0
		.amdhsa_user_sgpr_kernarg_segment_ptr 1
		.amdhsa_user_sgpr_dispatch_id 0
		.amdhsa_user_sgpr_private_segment_size 0
		.amdhsa_wavefront_size32 1
		.amdhsa_uses_dynamic_stack 0
		.amdhsa_enable_private_segment 1
		.amdhsa_system_sgpr_workgroup_id_x 1
		.amdhsa_system_sgpr_workgroup_id_y 1
		.amdhsa_system_sgpr_workgroup_id_z 0
		.amdhsa_system_sgpr_workgroup_info 0
		.amdhsa_system_vgpr_workitem_id 1
		.amdhsa_next_free_vgpr 256
		.amdhsa_next_free_sgpr 30
		.amdhsa_reserve_vcc 1
		.amdhsa_float_round_mode_32 0
		.amdhsa_float_round_mode_16_64 0
		.amdhsa_float_denorm_mode_32 3
		.amdhsa_float_denorm_mode_16_64 3
		.amdhsa_dx10_clamp 1
		.amdhsa_ieee_mode 1
		.amdhsa_fp16_overflow 0
		.amdhsa_workgroup_processor_mode 1
		.amdhsa_memory_ordered 1
		.amdhsa_forward_progress 0
		.amdhsa_shared_vgpr_count 0
		.amdhsa_exception_fp_ieee_invalid_op 0
		.amdhsa_exception_fp_denorm_src 0
		.amdhsa_exception_fp_ieee_div_zero 0
		.amdhsa_exception_fp_ieee_overflow 0
		.amdhsa_exception_fp_ieee_underflow 0
		.amdhsa_exception_fp_ieee_inexact 0
		.amdhsa_exception_int_div_zero 0
	.end_amdhsa_kernel
	.section	.text._ZN2at6native12_GLOBAL__N_135GammaBetaBackwardCUDAKernelTemplateIffLj64ELj1ELj32ELb1ELb0ELb1EEEvllPKT_S5_PKT0_S8_PS3_S9_,"axG",@progbits,_ZN2at6native12_GLOBAL__N_135GammaBetaBackwardCUDAKernelTemplateIffLj64ELj1ELj32ELb1ELb0ELb1EEEvllPKT_S5_PKT0_S8_PS3_S9_,comdat
.Lfunc_end143:
	.size	_ZN2at6native12_GLOBAL__N_135GammaBetaBackwardCUDAKernelTemplateIffLj64ELj1ELj32ELb1ELb0ELb1EEEvllPKT_S5_PKT0_S8_PS3_S9_, .Lfunc_end143-_ZN2at6native12_GLOBAL__N_135GammaBetaBackwardCUDAKernelTemplateIffLj64ELj1ELj32ELb1ELb0ELb1EEEvllPKT_S5_PKT0_S8_PS3_S9_
                                        ; -- End function
	.section	.AMDGPU.csdata,"",@progbits
; Kernel info:
; codeLenInByte = 24912
; NumSgprs: 32
; NumVgprs: 256
; ScratchSize: 300
; MemoryBound: 0
; FloatMode: 240
; IeeeMode: 1
; LDSByteSize: 0 bytes/workgroup (compile time only)
; SGPRBlocks: 3
; VGPRBlocks: 31
; NumSGPRsForWavesPerEU: 32
; NumVGPRsForWavesPerEU: 256
; Occupancy: 5
; WaveLimiterHint : 0
; COMPUTE_PGM_RSRC2:SCRATCH_EN: 1
; COMPUTE_PGM_RSRC2:USER_SGPR: 14
; COMPUTE_PGM_RSRC2:TRAP_HANDLER: 0
; COMPUTE_PGM_RSRC2:TGID_X_EN: 1
; COMPUTE_PGM_RSRC2:TGID_Y_EN: 1
; COMPUTE_PGM_RSRC2:TGID_Z_EN: 0
; COMPUTE_PGM_RSRC2:TIDIG_COMP_CNT: 1
	.section	.text._ZN2at6native12_GLOBAL__N_135GammaBetaBackwardCUDAKernelTemplateIffLj64ELj1ELj8ELb1ELb1ELb1EEEvllPKT_S5_PKT0_S8_PS3_S9_,"axG",@progbits,_ZN2at6native12_GLOBAL__N_135GammaBetaBackwardCUDAKernelTemplateIffLj64ELj1ELj8ELb1ELb1ELb1EEEvllPKT_S5_PKT0_S8_PS3_S9_,comdat
	.globl	_ZN2at6native12_GLOBAL__N_135GammaBetaBackwardCUDAKernelTemplateIffLj64ELj1ELj8ELb1ELb1ELb1EEEvllPKT_S5_PKT0_S8_PS3_S9_ ; -- Begin function _ZN2at6native12_GLOBAL__N_135GammaBetaBackwardCUDAKernelTemplateIffLj64ELj1ELj8ELb1ELb1ELb1EEEvllPKT_S5_PKT0_S8_PS3_S9_
	.p2align	8
	.type	_ZN2at6native12_GLOBAL__N_135GammaBetaBackwardCUDAKernelTemplateIffLj64ELj1ELj8ELb1ELb1ELb1EEEvllPKT_S5_PKT0_S8_PS3_S9_,@function
_ZN2at6native12_GLOBAL__N_135GammaBetaBackwardCUDAKernelTemplateIffLj64ELj1ELj8ELb1ELb1ELb1EEEvllPKT_S5_PKT0_S8_PS3_S9_: ; @_ZN2at6native12_GLOBAL__N_135GammaBetaBackwardCUDAKernelTemplateIffLj64ELj1ELj8ELb1ELb1ELb1EEEvllPKT_S5_PKT0_S8_PS3_S9_
; %bb.0:
	s_clause 0x1
	s_load_b128 s[4:7], s[0:1], 0x0
	s_load_b64 s[12:13], s[0:1], 0x30
	s_mov_b32 s17, 0
	s_lshl_b32 s16, s15, 3
	v_mov_b32_e32 v12, 0
	v_bfe_u32 v1, v0, 10, 10
	v_and_b32_e32 v0, 0x3ff, v0
	s_waitcnt lgkmcnt(0)
	v_cmp_ge_i64_e64 s2, s[16:17], s[4:5]
	s_delay_alu instid0(VALU_DEP_1)
	s_and_b32 vcc_lo, exec_lo, s2
	s_cbranch_vccnz .LBB144_7
; %bb.1:
	s_clause 0x3
	s_load_b32 s2, s[0:1], 0x4c
	s_load_b32 s3, s[0:1], 0x44
	s_load_b128 s[8:11], s[0:1], 0x10
	s_load_b64 s[20:21], s[0:1], 0x28
	v_dual_mov_b32 v9, 4 :: v_dual_lshlrev_b32 v4, 3, v1
	v_dual_mov_b32 v8, 8 :: v_dual_mov_b32 v3, 0
	v_lshl_or_b32 v2, s14, 6, v0
	s_delay_alu instid0(VALU_DEP_3) | instskip(NEXT) | instid1(VALU_DEP_1)
	v_add_co_u32 v4, s18, v4, s16
	v_add_co_ci_u32_e64 v5, null, 0, 0, s18
	s_delay_alu instid0(VALU_DEP_3) | instskip(NEXT) | instid1(VALU_DEP_3)
	v_lshlrev_b64 v[16:17], 2, v[2:3]
	v_mul_lo_u32 v12, s7, v4
	v_dual_mov_b32 v10, 12 :: v_dual_mov_b32 v11, 16
	s_delay_alu instid0(VALU_DEP_4)
	v_mul_lo_u32 v18, s6, v5
	v_dual_mov_b32 v13, 20 :: v_dual_mov_b32 v14, 24
	s_waitcnt lgkmcnt(0)
	s_and_b32 s2, s2, 0xffff
	s_lshl_b32 s18, s3, 3
	v_mad_u32_u24 v6, v1, s2, v0
	s_mul_i32 s3, s7, s18
	s_mul_hi_u32 s22, s6, s18
	s_mov_b32 s19, s17
	s_add_i32 s23, s22, s3
	v_dual_mov_b32 v15, 28 :: v_dual_and_b32 v22, 31, v6
	v_mad_u64_u32 v[6:7], null, s6, v4, 0
	s_mul_i32 s22, s6, s18
	s_delay_alu instid0(VALU_DEP_2) | instskip(SKIP_2) | instid1(VALU_DEP_4)
	v_add_co_u32 v4, vcc_lo, v4, v22
	v_add_co_ci_u32_e32 v5, vcc_lo, 0, v5, vcc_lo
	v_cmp_gt_u32_e64 s2, 8, v22
	v_add3_u32 v7, v7, v18, v12
	v_mov_b32_e32 v12, 0
	s_delay_alu instid0(VALU_DEP_4) | instskip(SKIP_3) | instid1(VALU_DEP_2)
	v_lshlrev_b64 v[18:19], 2, v[4:5]
	s_lshl_b64 s[22:23], s[22:23], 2
	s_lshl_b64 s[24:25], s[6:7], 2
	v_lshlrev_b64 v[20:21], 2, v[6:7]
	v_add_co_u32 v6, vcc_lo, s20, v18
	s_delay_alu instid0(VALU_DEP_3) | instskip(NEXT) | instid1(VALU_DEP_3)
	v_add_co_ci_u32_e32 v7, vcc_lo, s21, v19, vcc_lo
	v_add_co_u32 v2, vcc_lo, v20, v16
	s_delay_alu instid0(VALU_DEP_4)
	v_add_co_ci_u32_e32 v16, vcc_lo, v21, v17, vcc_lo
	s_lshl_b64 s[20:21], s[18:19], 2
	s_branch .LBB144_4
.LBB144_2:                              ;   in Loop: Header=BB144_4 Depth=1
	s_or_b32 exec_lo, exec_lo, s19
.LBB144_3:                              ;   in Loop: Header=BB144_4 Depth=1
	s_delay_alu instid0(SALU_CYCLE_1) | instskip(SKIP_4) | instid1(VALU_DEP_4)
	s_or_b32 exec_lo, exec_lo, s3
	v_add_co_u32 v18, vcc_lo, s8, v2
	v_add_co_ci_u32_e32 v19, vcc_lo, s9, v16, vcc_lo
	v_add_co_u32 v20, vcc_lo, s10, v2
	v_add_co_ci_u32_e32 v21, vcc_lo, s11, v16, vcc_lo
	v_add_co_u32 v22, vcc_lo, v18, s24
	s_delay_alu instid0(VALU_DEP_4) | instskip(NEXT) | instid1(VALU_DEP_4)
	v_add_co_ci_u32_e32 v23, vcc_lo, s25, v19, vcc_lo
	v_add_co_u32 v24, vcc_lo, v20, s24
	s_delay_alu instid0(VALU_DEP_4) | instskip(NEXT) | instid1(VALU_DEP_4)
	v_add_co_ci_u32_e32 v25, vcc_lo, s25, v21, vcc_lo
	v_add_co_u32 v26, vcc_lo, v22, s24
	s_delay_alu instid0(VALU_DEP_4)
	v_add_co_ci_u32_e32 v27, vcc_lo, s25, v23, vcc_lo
	global_load_b32 v28, v[18:19], off
	global_load_b32 v29, v[20:21], off
	;; [unrolled: 1-line block ×5, first 2 shown]
	v_add_co_u32 v18, vcc_lo, v24, s24
	v_add_co_ci_u32_e32 v19, vcc_lo, s25, v25, vcc_lo
	v_add_co_u32 v20, vcc_lo, v26, s24
	v_add_co_ci_u32_e32 v21, vcc_lo, s25, v27, vcc_lo
	s_delay_alu instid0(VALU_DEP_4) | instskip(NEXT) | instid1(VALU_DEP_4)
	v_add_co_u32 v22, vcc_lo, v18, s24
	v_add_co_ci_u32_e32 v23, vcc_lo, s25, v19, vcc_lo
	s_delay_alu instid0(VALU_DEP_4) | instskip(NEXT) | instid1(VALU_DEP_4)
	;; [unrolled: 3-line block ×3, first 2 shown]
	v_add_co_u32 v26, vcc_lo, v22, s24
	v_add_co_ci_u32_e32 v27, vcc_lo, s25, v23, vcc_lo
	global_load_b32 v33, v[18:19], off
	global_load_b32 v34, v[20:21], off
	;; [unrolled: 1-line block ×5, first 2 shown]
	v_add_co_u32 v18, vcc_lo, v24, s24
	v_add_co_ci_u32_e32 v19, vcc_lo, s25, v25, vcc_lo
	v_add_co_u32 v20, vcc_lo, v26, s24
	v_add_co_ci_u32_e32 v21, vcc_lo, s25, v27, vcc_lo
	s_delay_alu instid0(VALU_DEP_4) | instskip(NEXT) | instid1(VALU_DEP_4)
	v_add_co_u32 v22, vcc_lo, v18, s24
	v_add_co_ci_u32_e32 v23, vcc_lo, s25, v19, vcc_lo
	s_delay_alu instid0(VALU_DEP_4) | instskip(NEXT) | instid1(VALU_DEP_4)
	v_add_co_u32 v24, vcc_lo, v20, s24
	v_add_co_ci_u32_e32 v25, vcc_lo, s25, v21, vcc_lo
	global_load_b32 v26, v[18:19], off
	global_load_b32 v27, v[20:21], off
	;; [unrolled: 1-line block ×4, first 2 shown]
	v_add_co_u32 v18, vcc_lo, v22, s24
	v_add_co_ci_u32_e32 v19, vcc_lo, s25, v23, vcc_lo
	v_add_co_u32 v20, vcc_lo, v24, s24
	v_add_co_ci_u32_e32 v21, vcc_lo, s25, v25, vcc_lo
	global_load_b32 v18, v[18:19], off
	global_load_b32 v19, v[20:21], off
	s_waitcnt vmcnt(16)
	ds_bpermute_b32 v20, v3, v17
	ds_bpermute_b32 v21, v9, v17
	;; [unrolled: 1-line block ×4, first 2 shown]
	v_add_co_u32 v6, vcc_lo, v6, s20
	s_add_u32 s16, s16, s18
	v_add_co_ci_u32_e32 v7, vcc_lo, s21, v7, vcc_lo
	s_addc_u32 s17, s17, 0
	v_add_co_u32 v4, vcc_lo, v4, s18
	v_add_co_ci_u32_e32 v5, vcc_lo, 0, v5, vcc_lo
	v_cmp_lt_i64_e64 s3, s[16:17], s[4:5]
	v_add_co_u32 v2, vcc_lo, v2, s22
	v_add_co_ci_u32_e32 v16, vcc_lo, s23, v16, vcc_lo
	s_delay_alu instid0(VALU_DEP_3) | instskip(SKIP_3) | instid1(VALU_DEP_1)
	s_and_b32 vcc_lo, exec_lo, s3
	s_waitcnt vmcnt(14)
	v_mul_f32_e32 v23, v28, v29
	s_waitcnt lgkmcnt(3)
	v_fmac_f32_e32 v12, v23, v20
	s_waitcnt vmcnt(12)
	v_mul_f32_e32 v20, v30, v31
	ds_bpermute_b32 v23, v11, v17
	s_waitcnt lgkmcnt(3)
	v_fmac_f32_e32 v12, v20, v21
	ds_bpermute_b32 v21, v13, v17
	s_waitcnt vmcnt(10)
	v_mul_f32_e32 v20, v32, v33
	s_waitcnt lgkmcnt(3)
	s_delay_alu instid0(VALU_DEP_1)
	v_fmac_f32_e32 v12, v20, v22
	s_waitcnt vmcnt(8)
	v_mul_f32_e32 v20, v34, v35
	ds_bpermute_b32 v22, v14, v17
	ds_bpermute_b32 v17, v15, v17
	s_waitcnt lgkmcnt(4)
	v_fmac_f32_e32 v12, v20, v24
	s_waitcnt vmcnt(6)
	v_mul_f32_e32 v20, v36, v37
	s_waitcnt lgkmcnt(3)
	s_delay_alu instid0(VALU_DEP_1) | instskip(SKIP_3) | instid1(VALU_DEP_1)
	v_fmac_f32_e32 v12, v20, v23
	s_waitcnt vmcnt(4)
	v_mul_f32_e32 v20, v26, v27
	s_waitcnt lgkmcnt(2)
	v_fmac_f32_e32 v12, v20, v21
	s_waitcnt vmcnt(2)
	v_mul_f32_e32 v20, v38, v39
	s_waitcnt lgkmcnt(1)
	s_delay_alu instid0(VALU_DEP_1) | instskip(SKIP_3) | instid1(VALU_DEP_1)
	v_fmac_f32_e32 v12, v20, v22
	s_waitcnt vmcnt(0)
	v_mul_f32_e32 v18, v18, v19
	s_waitcnt lgkmcnt(0)
	v_fmac_f32_e32 v12, v18, v17
	s_cbranch_vccz .LBB144_7
.LBB144_4:                              ; =>This Inner Loop Header: Depth=1
	v_mov_b32_e32 v17, 0
	s_and_saveexec_b32 s3, s2
	s_cbranch_execz .LBB144_3
; %bb.5:                                ;   in Loop: Header=BB144_4 Depth=1
	v_mov_b32_e32 v17, 0
	s_mov_b32 s19, exec_lo
	v_cmpx_gt_i64_e64 s[4:5], v[4:5]
	s_cbranch_execz .LBB144_2
; %bb.6:                                ;   in Loop: Header=BB144_4 Depth=1
	global_load_b32 v17, v[6:7], off
	s_branch .LBB144_2
.LBB144_7:
	s_cmp_eq_u64 s[12:13], 0
	s_cbranch_scc1 .LBB144_9
; %bb.8:
	s_load_b32 s0, s[0:1], 0x4c
	v_mov_b32_e32 v2, 0
	v_lshlrev_b32_e32 v0, 2, v0
	s_waitcnt lgkmcnt(0)
	s_lshr_b32 s0, s0, 16
	s_delay_alu instid0(VALU_DEP_2) | instid1(SALU_CYCLE_1)
	v_mad_u64_u32 v[3:4], null, s0, s15, v[1:2]
	s_mov_b32 s15, 0
	s_delay_alu instid0(SALU_CYCLE_1) | instskip(NEXT) | instid1(SALU_CYCLE_1)
	s_lshl_b64 s[0:1], s[14:15], 8
	s_add_u32 s0, s0, s12
	s_addc_u32 s1, s1, s13
	s_delay_alu instid0(VALU_DEP_1) | instskip(NEXT) | instid1(VALU_DEP_2)
	v_mul_lo_u32 v4, v4, s6
	v_mul_lo_u32 v5, v3, s7
	v_mad_u64_u32 v[1:2], null, v3, s6, 0
	s_delay_alu instid0(VALU_DEP_1) | instskip(NEXT) | instid1(VALU_DEP_1)
	v_add3_u32 v2, v2, v5, v4
	v_lshlrev_b64 v[1:2], 2, v[1:2]
	s_delay_alu instid0(VALU_DEP_1) | instskip(NEXT) | instid1(VALU_DEP_2)
	v_add_co_u32 v1, vcc_lo, s0, v1
	v_add_co_ci_u32_e32 v2, vcc_lo, s1, v2, vcc_lo
	s_delay_alu instid0(VALU_DEP_2) | instskip(NEXT) | instid1(VALU_DEP_2)
	v_add_co_u32 v0, vcc_lo, v1, v0
	v_add_co_ci_u32_e32 v1, vcc_lo, 0, v2, vcc_lo
	global_store_b32 v[0:1], v12, off
.LBB144_9:
	s_nop 0
	s_sendmsg sendmsg(MSG_DEALLOC_VGPRS)
	s_endpgm
	.section	.rodata,"a",@progbits
	.p2align	6, 0x0
	.amdhsa_kernel _ZN2at6native12_GLOBAL__N_135GammaBetaBackwardCUDAKernelTemplateIffLj64ELj1ELj8ELb1ELb1ELb1EEEvllPKT_S5_PKT0_S8_PS3_S9_
		.amdhsa_group_segment_fixed_size 0
		.amdhsa_private_segment_fixed_size 0
		.amdhsa_kernarg_size 320
		.amdhsa_user_sgpr_count 14
		.amdhsa_user_sgpr_dispatch_ptr 0
		.amdhsa_user_sgpr_queue_ptr 0
		.amdhsa_user_sgpr_kernarg_segment_ptr 1
		.amdhsa_user_sgpr_dispatch_id 0
		.amdhsa_user_sgpr_private_segment_size 0
		.amdhsa_wavefront_size32 1
		.amdhsa_uses_dynamic_stack 0
		.amdhsa_enable_private_segment 0
		.amdhsa_system_sgpr_workgroup_id_x 1
		.amdhsa_system_sgpr_workgroup_id_y 1
		.amdhsa_system_sgpr_workgroup_id_z 0
		.amdhsa_system_sgpr_workgroup_info 0
		.amdhsa_system_vgpr_workitem_id 1
		.amdhsa_next_free_vgpr 40
		.amdhsa_next_free_sgpr 26
		.amdhsa_reserve_vcc 1
		.amdhsa_float_round_mode_32 0
		.amdhsa_float_round_mode_16_64 0
		.amdhsa_float_denorm_mode_32 3
		.amdhsa_float_denorm_mode_16_64 3
		.amdhsa_dx10_clamp 1
		.amdhsa_ieee_mode 1
		.amdhsa_fp16_overflow 0
		.amdhsa_workgroup_processor_mode 1
		.amdhsa_memory_ordered 1
		.amdhsa_forward_progress 0
		.amdhsa_shared_vgpr_count 0
		.amdhsa_exception_fp_ieee_invalid_op 0
		.amdhsa_exception_fp_denorm_src 0
		.amdhsa_exception_fp_ieee_div_zero 0
		.amdhsa_exception_fp_ieee_overflow 0
		.amdhsa_exception_fp_ieee_underflow 0
		.amdhsa_exception_fp_ieee_inexact 0
		.amdhsa_exception_int_div_zero 0
	.end_amdhsa_kernel
	.section	.text._ZN2at6native12_GLOBAL__N_135GammaBetaBackwardCUDAKernelTemplateIffLj64ELj1ELj8ELb1ELb1ELb1EEEvllPKT_S5_PKT0_S8_PS3_S9_,"axG",@progbits,_ZN2at6native12_GLOBAL__N_135GammaBetaBackwardCUDAKernelTemplateIffLj64ELj1ELj8ELb1ELb1ELb1EEEvllPKT_S5_PKT0_S8_PS3_S9_,comdat
.Lfunc_end144:
	.size	_ZN2at6native12_GLOBAL__N_135GammaBetaBackwardCUDAKernelTemplateIffLj64ELj1ELj8ELb1ELb1ELb1EEEvllPKT_S5_PKT0_S8_PS3_S9_, .Lfunc_end144-_ZN2at6native12_GLOBAL__N_135GammaBetaBackwardCUDAKernelTemplateIffLj64ELj1ELj8ELb1ELb1ELb1EEEvllPKT_S5_PKT0_S8_PS3_S9_
                                        ; -- End function
	.section	.AMDGPU.csdata,"",@progbits
; Kernel info:
; codeLenInByte = 1208
; NumSgprs: 28
; NumVgprs: 40
; ScratchSize: 0
; MemoryBound: 0
; FloatMode: 240
; IeeeMode: 1
; LDSByteSize: 0 bytes/workgroup (compile time only)
; SGPRBlocks: 3
; VGPRBlocks: 4
; NumSGPRsForWavesPerEU: 28
; NumVGPRsForWavesPerEU: 40
; Occupancy: 16
; WaveLimiterHint : 0
; COMPUTE_PGM_RSRC2:SCRATCH_EN: 0
; COMPUTE_PGM_RSRC2:USER_SGPR: 14
; COMPUTE_PGM_RSRC2:TRAP_HANDLER: 0
; COMPUTE_PGM_RSRC2:TGID_X_EN: 1
; COMPUTE_PGM_RSRC2:TGID_Y_EN: 1
; COMPUTE_PGM_RSRC2:TGID_Z_EN: 0
; COMPUTE_PGM_RSRC2:TIDIG_COMP_CNT: 1
	.section	.text._ZN2at6native12_GLOBAL__N_135GammaBetaBackwardCUDAKernelTemplateIffLj64ELj1ELj8ELb1ELb0ELb1EEEvllPKT_S5_PKT0_S8_PS3_S9_,"axG",@progbits,_ZN2at6native12_GLOBAL__N_135GammaBetaBackwardCUDAKernelTemplateIffLj64ELj1ELj8ELb1ELb0ELb1EEEvllPKT_S5_PKT0_S8_PS3_S9_,comdat
	.globl	_ZN2at6native12_GLOBAL__N_135GammaBetaBackwardCUDAKernelTemplateIffLj64ELj1ELj8ELb1ELb0ELb1EEEvllPKT_S5_PKT0_S8_PS3_S9_ ; -- Begin function _ZN2at6native12_GLOBAL__N_135GammaBetaBackwardCUDAKernelTemplateIffLj64ELj1ELj8ELb1ELb0ELb1EEEvllPKT_S5_PKT0_S8_PS3_S9_
	.p2align	8
	.type	_ZN2at6native12_GLOBAL__N_135GammaBetaBackwardCUDAKernelTemplateIffLj64ELj1ELj8ELb1ELb0ELb1EEEvllPKT_S5_PKT0_S8_PS3_S9_,@function
_ZN2at6native12_GLOBAL__N_135GammaBetaBackwardCUDAKernelTemplateIffLj64ELj1ELj8ELb1ELb0ELb1EEEvllPKT_S5_PKT0_S8_PS3_S9_: ; @_ZN2at6native12_GLOBAL__N_135GammaBetaBackwardCUDAKernelTemplateIffLj64ELj1ELj8ELb1ELb0ELb1EEEvllPKT_S5_PKT0_S8_PS3_S9_
; %bb.0:
	s_clause 0x1
	s_load_b256 s[16:23], s[0:1], 0x0
	s_load_b64 s[12:13], s[0:1], 0x28
	s_mov_b32 s2, s15
	s_lshl_b32 s15, s14, 6
	s_mov_b32 s35, 0
	s_or_b32 s34, s15, 63
	s_waitcnt lgkmcnt(0)
	v_cmp_ge_i64_e64 s3, s[34:35], s[18:19]
	s_lshl_b32 s34, s2, 3
	s_delay_alu instid0(SALU_CYCLE_1) | instskip(NEXT) | instid1(VALU_DEP_2)
	v_cmp_lt_i64_e64 s33, s[34:35], s[16:17]
	s_and_b32 vcc_lo, exec_lo, s3
	s_delay_alu instid0(VALU_DEP_1) | instskip(NEXT) | instid1(VALU_DEP_1)
	v_cndmask_b32_e64 v1, 0, 1, s33
	v_cmp_ne_u32_e64 s3, 1, v1
	s_cbranch_vccz .LBB145_49
; %bb.1:
	v_mov_b32_e32 v3, 0
	s_delay_alu instid0(VALU_DEP_2)
	s_and_b32 vcc_lo, exec_lo, s3
	s_cbranch_vccnz .LBB145_50
; %bb.2:
	v_bfe_u32 v29, v0, 10, 10
	s_load_b32 s4, s[0:1], 0x44
	v_dual_mov_b32 v2, 0 :: v_dual_and_b32 v31, 0x3ff, v0
	s_add_u32 s6, s0, 64
	s_delay_alu instid0(VALU_DEP_2) | instskip(NEXT) | instid1(VALU_DEP_2)
	v_dual_mov_b32 v65, 0 :: v_dual_lshlrev_b32 v30, 3, v29
	v_dual_mov_b32 v32, v2 :: v_dual_add_nc_u32 v1, s15, v31
	s_addc_u32 s7, s1, 0
	s_delay_alu instid0(VALU_DEP_2) | instskip(NEXT) | instid1(VALU_DEP_1)
	v_add_co_u32 v9, s3, v30, s34
	v_add_co_ci_u32_e64 v10, null, 0, 0, s3
	s_delay_alu instid0(VALU_DEP_3) | instskip(NEXT) | instid1(VALU_DEP_3)
	v_cmp_gt_i64_e64 s3, s[18:19], v[1:2]
	v_add_co_u32 v5, vcc_lo, v9, 7
	s_delay_alu instid0(VALU_DEP_3) | instskip(SKIP_1) | instid1(VALU_DEP_3)
	v_add_co_ci_u32_e32 v3, vcc_lo, 0, v10, vcc_lo
	v_add_co_u32 v8, vcc_lo, v9, 6
	v_mul_lo_u32 v6, s19, v5
	s_delay_alu instid0(VALU_DEP_3)
	v_mul_lo_u32 v7, s18, v3
	v_mad_u64_u32 v[3:4], null, s18, v5, 0
	v_add_co_ci_u32_e32 v5, vcc_lo, 0, v10, vcc_lo
	v_lshlrev_b64 v[25:26], 2, v[1:2]
	v_mul_lo_u32 v1, s19, v8
	s_waitcnt lgkmcnt(0)
	s_lshl_b32 s36, s4, 3
	s_mov_b32 s24, 0
	s_delay_alu instid0(VALU_DEP_4) | instskip(SKIP_3) | instid1(VALU_DEP_3)
	v_add3_u32 v4, v4, v7, v6
	v_mul_lo_u32 v7, s18, v5
	v_mad_u64_u32 v[5:6], null, s18, v8, 0
	s_mul_i32 s4, s19, s36
	v_lshlrev_b64 v[3:4], 2, v[3:4]
	s_mul_hi_u32 s5, s18, s36
	s_mul_i32 s8, s18, s36
	s_add_i32 s9, s5, s4
	s_mov_b64 s[10:11], s[34:35]
	s_delay_alu instid0(VALU_DEP_2) | instskip(SKIP_4) | instid1(VALU_DEP_1)
	v_add3_u32 v6, v6, v7, v1
	v_add_co_u32 v33, vcc_lo, s20, v3
	v_add_co_ci_u32_e32 v34, vcc_lo, s21, v4, vcc_lo
	v_add_co_u32 v1, vcc_lo, v9, 5
	v_add_co_u32 v35, s4, s22, v3
	v_add_co_ci_u32_e64 v36, s4, s23, v4, s4
	v_lshlrev_b64 v[3:4], 2, v[5:6]
	v_add_co_ci_u32_e32 v5, vcc_lo, 0, v10, vcc_lo
	v_add_co_u32 v12, vcc_lo, v9, 4
	v_mul_lo_u32 v11, s19, v1
	s_delay_alu instid0(VALU_DEP_3) | instskip(SKIP_4) | instid1(VALU_DEP_3)
	v_mul_lo_u32 v13, s18, v5
	v_mad_u64_u32 v[5:6], null, s18, v1, 0
	v_add_co_ci_u32_e32 v7, vcc_lo, 0, v10, vcc_lo
	v_mul_lo_u32 v1, s19, v12
	v_add_co_u32 v37, vcc_lo, s20, v3
	v_mul_lo_u32 v14, s18, v7
	v_mad_u64_u32 v[7:8], null, s18, v12, 0
	v_add3_u32 v6, v6, v13, v11
	v_add_co_ci_u32_e32 v38, vcc_lo, s21, v4, vcc_lo
	v_add_co_u32 v39, vcc_lo, s22, v3
	v_add_co_ci_u32_e32 v40, vcc_lo, s23, v4, vcc_lo
	s_delay_alu instid0(VALU_DEP_4) | instskip(SKIP_3) | instid1(VALU_DEP_4)
	v_lshlrev_b64 v[3:4], 2, v[5:6]
	v_add3_u32 v8, v8, v14, v1
	v_add_co_u32 v1, vcc_lo, v9, 3
	v_add_co_ci_u32_e32 v11, vcc_lo, 0, v10, vcc_lo
	v_add_co_u32 v41, vcc_lo, s20, v3
	s_delay_alu instid0(VALU_DEP_4)
	v_lshlrev_b64 v[5:6], 2, v[7:8]
	v_add_co_ci_u32_e32 v42, vcc_lo, s21, v4, vcc_lo
	v_mul_lo_u32 v12, s19, v1
	v_mul_lo_u32 v11, s18, v11
	v_mad_u64_u32 v[7:8], null, s18, v1, 0
	v_add_co_u32 v43, vcc_lo, s22, v3
	v_add_co_ci_u32_e32 v44, vcc_lo, s23, v4, vcc_lo
	v_add_co_u32 v45, vcc_lo, s20, v5
	v_add_co_ci_u32_e32 v46, vcc_lo, s21, v6, vcc_lo
	v_add_co_u32 v1, vcc_lo, v9, 2
	v_add3_u32 v8, v8, v11, v12
	v_add_co_ci_u32_e32 v11, vcc_lo, 0, v10, vcc_lo
	v_add_co_u32 v47, vcc_lo, s22, v5
	v_add_co_ci_u32_e32 v48, vcc_lo, s23, v6, vcc_lo
	v_mul_lo_u32 v12, s19, v1
	s_delay_alu instid0(VALU_DEP_4)
	v_mul_lo_u32 v11, s18, v11
	v_mad_u64_u32 v[5:6], null, s18, v1, 0
	v_lshlrev_b64 v[3:4], 2, v[7:8]
	v_mul_lo_u32 v1, s19, v9
	v_mul_lo_u32 v10, s18, v10
	v_mad_u64_u32 v[7:8], null, s18, v9, 0
	s_mov_b64 s[4:5], 7
	s_delay_alu instid0(VALU_DEP_4)
	v_add_co_u32 v49, vcc_lo, s20, v3
	v_add3_u32 v6, v6, v11, v12
	v_add_co_ci_u32_e32 v50, vcc_lo, s21, v4, vcc_lo
	v_add_co_u32 v51, vcc_lo, s22, v3
	v_add3_u32 v8, v8, v10, v1
	v_add_co_ci_u32_e32 v52, vcc_lo, s23, v4, vcc_lo
	v_lshlrev_b64 v[3:4], 2, v[5:6]
	v_add_co_u32 v5, vcc_lo, v7, s18
	s_delay_alu instid0(VALU_DEP_4) | instskip(SKIP_1) | instid1(VALU_DEP_3)
	v_add_co_ci_u32_e32 v6, vcc_lo, s19, v8, vcc_lo
	s_lshl_b64 s[8:9], s[8:9], 2
	v_add_co_u32 v53, vcc_lo, s20, v3
	s_delay_alu instid0(VALU_DEP_2) | instskip(SKIP_3) | instid1(VALU_DEP_4)
	v_lshlrev_b64 v[5:6], 2, v[5:6]
	v_add_co_ci_u32_e32 v54, vcc_lo, s21, v4, vcc_lo
	v_add_co_u32 v55, vcc_lo, s22, v3
	v_add_co_ci_u32_e32 v56, vcc_lo, s23, v4, vcc_lo
	v_add_co_u32 v57, vcc_lo, s20, v5
	v_lshlrev_b64 v[3:4], 2, v[7:8]
	v_add_co_ci_u32_e32 v58, vcc_lo, s21, v6, vcc_lo
	v_add_co_u32 v59, vcc_lo, s22, v5
	v_add_co_ci_u32_e32 v60, vcc_lo, s23, v6, vcc_lo
	s_delay_alu instid0(VALU_DEP_4)
	v_add_co_u32 v61, vcc_lo, s20, v3
	v_add_co_ci_u32_e32 v62, vcc_lo, s21, v4, vcc_lo
	v_add_co_u32 v63, vcc_lo, s22, v3
	v_add_co_ci_u32_e32 v64, vcc_lo, s23, v4, vcc_lo
.LBB145_3:                              ; =>This Inner Loop Header: Depth=1
	s_add_u32 s26, s34, s4
	s_addc_u32 s27, 0, s5
	v_add_co_u32 v27, vcc_lo, s34, v30
	v_cmp_ge_i64_e64 s25, s[26:27], s[16:17]
	v_add_co_ci_u32_e32 v28, vcc_lo, 0, v32, vcc_lo
	s_delay_alu instid0(VALU_DEP_2)
	s_and_b32 vcc_lo, exec_lo, s25
	s_cbranch_vccz .LBB145_25
; %bb.4:                                ;   in Loop: Header=BB145_3 Depth=1
	s_load_b32 s25, s[6:7], 0xc
	v_mov_b32_e32 v66, 0
	s_waitcnt lgkmcnt(0)
	s_and_b32 s25, s25, 0xffff
	s_delay_alu instid0(SALU_CYCLE_1) | instskip(SKIP_1) | instid1(VALU_DEP_1)
	v_mad_u32_u24 v1, v29, s25, v31
	s_mov_b32 s25, exec_lo
	v_and_b32_e32 v1, 31, v1
	s_delay_alu instid0(VALU_DEP_1)
	v_cmpx_gt_u32_e32 8, v1
	s_cbranch_execz .LBB145_8
; %bb.5:                                ;   in Loop: Header=BB145_3 Depth=1
	v_add_co_u32 v3, vcc_lo, v27, v1
	v_add_co_ci_u32_e32 v4, vcc_lo, 0, v28, vcc_lo
	v_mov_b32_e32 v66, 0
	s_mov_b32 s26, exec_lo
	s_delay_alu instid0(VALU_DEP_2)
	v_cmpx_gt_i64_e64 s[16:17], v[3:4]
	s_cbranch_execz .LBB145_7
; %bb.6:                                ;   in Loop: Header=BB145_3 Depth=1
	v_lshlrev_b64 v[3:4], 2, v[3:4]
	s_delay_alu instid0(VALU_DEP_1) | instskip(NEXT) | instid1(VALU_DEP_2)
	v_add_co_u32 v3, vcc_lo, s12, v3
	v_add_co_ci_u32_e32 v4, vcc_lo, s13, v4, vcc_lo
	global_load_b32 v66, v[3:4], off
.LBB145_7:                              ;   in Loop: Header=BB145_3 Depth=1
	s_or_b32 exec_lo, exec_lo, s26
.LBB145_8:                              ;   in Loop: Header=BB145_3 Depth=1
	s_delay_alu instid0(SALU_CYCLE_1)
	s_or_b32 exec_lo, exec_lo, s25
	s_mov_b32 s30, s24
	s_mov_b32 s31, s24
	;; [unrolled: 1-line block ×7, first 2 shown]
	v_dual_mov_b32 v9, s24 :: v_dual_mov_b32 v10, s25
	v_dual_mov_b32 v15, s30 :: v_dual_mov_b32 v16, s31
	;; [unrolled: 1-line block ×4, first 2 shown]
	v_cmp_gt_i64_e32 vcc_lo, s[16:17], v[27:28]
	s_delay_alu instid0(VALU_DEP_4) | instskip(NEXT) | instid1(VALU_DEP_3)
	v_dual_mov_b32 v24, v16 :: v_dual_mov_b32 v23, v15
	v_dual_mov_b32 v21, v13 :: v_dual_mov_b32 v22, v14
	;; [unrolled: 1-line block ×4, first 2 shown]
	s_and_b32 s26, s3, vcc_lo
	s_delay_alu instid0(SALU_CYCLE_1)
	s_and_saveexec_b32 s25, s26
	s_cbranch_execz .LBB145_10
; %bb.9:                                ;   in Loop: Header=BB145_3 Depth=1
	v_add_co_u32 v3, vcc_lo, v61, v25
	v_add_co_ci_u32_e32 v4, vcc_lo, v62, v26, vcc_lo
	v_mov_b32_e32 v8, v2
	v_mov_b32_e32 v5, v2
	;; [unrolled: 1-line block ×3, first 2 shown]
	global_load_b32 v1, v[3:4], off
	v_add_co_u32 v3, vcc_lo, v63, v25
	v_add_co_ci_u32_e32 v4, vcc_lo, v64, v26, vcc_lo
	v_mov_b32_e32 v7, v2
	v_mov_b32_e32 v15, v2
	global_load_b32 v9, v[3:4], off
	v_mov_b32_e32 v3, v2
	v_mov_b32_e32 v4, v2
	s_waitcnt vmcnt(1)
	v_dual_mov_b32 v11, v2 :: v_dual_mov_b32 v24, v8
	v_dual_mov_b32 v10, v2 :: v_dual_mov_b32 v23, v7
	;; [unrolled: 1-line block ×5, first 2 shown]
	v_mov_b32_e32 v16, v2
	v_mov_b32_e32 v22, v6
	v_dual_mov_b32 v18, v2 :: v_dual_mov_b32 v17, v1
.LBB145_10:                             ;   in Loop: Header=BB145_3 Depth=1
	s_or_b32 exec_lo, exec_lo, s25
	v_add_co_u32 v3, vcc_lo, v27, 1
	v_add_co_ci_u32_e32 v4, vcc_lo, 0, v28, vcc_lo
	s_delay_alu instid0(VALU_DEP_1) | instskip(SKIP_1) | instid1(SALU_CYCLE_1)
	v_cmp_gt_i64_e32 vcc_lo, s[16:17], v[3:4]
	s_and_b32 s26, s3, vcc_lo
	s_and_saveexec_b32 s25, s26
	s_cbranch_execz .LBB145_12
; %bb.11:                               ;   in Loop: Header=BB145_3 Depth=1
	v_add_co_u32 v3, vcc_lo, v57, v25
	v_add_co_ci_u32_e32 v4, vcc_lo, v58, v26, vcc_lo
	v_add_co_u32 v5, vcc_lo, v59, v25
	v_add_co_ci_u32_e32 v6, vcc_lo, v60, v26, vcc_lo
	global_load_b32 v18, v[3:4], off
	global_load_b32 v10, v[5:6], off
.LBB145_12:                             ;   in Loop: Header=BB145_3 Depth=1
	s_or_b32 exec_lo, exec_lo, s25
	v_add_co_u32 v3, vcc_lo, v27, 2
	v_add_co_ci_u32_e32 v4, vcc_lo, 0, v28, vcc_lo
	s_delay_alu instid0(VALU_DEP_1) | instskip(SKIP_1) | instid1(SALU_CYCLE_1)
	v_cmp_gt_i64_e32 vcc_lo, s[16:17], v[3:4]
	s_and_b32 s26, s3, vcc_lo
	s_and_saveexec_b32 s25, s26
	s_cbranch_execz .LBB145_14
; %bb.13:                               ;   in Loop: Header=BB145_3 Depth=1
	v_add_co_u32 v3, vcc_lo, v53, v25
	v_add_co_ci_u32_e32 v4, vcc_lo, v54, v26, vcc_lo
	v_add_co_u32 v5, vcc_lo, v55, v25
	v_add_co_ci_u32_e32 v6, vcc_lo, v56, v26, vcc_lo
	global_load_b32 v19, v[3:4], off
	global_load_b32 v11, v[5:6], off
.LBB145_14:                             ;   in Loop: Header=BB145_3 Depth=1
	;; [unrolled: 16-line block ×7, first 2 shown]
	s_or_b32 exec_lo, exec_lo, s25
	s_waitcnt vmcnt(0)
	ds_bpermute_b32 v1, v2, v66
	ds_bpermute_b32 v4, v2, v66 offset:4
	ds_bpermute_b32 v5, v2, v66 offset:8
	v_mul_f32_e32 v3, v9, v17
	ds_bpermute_b32 v6, v2, v66 offset:12
	v_mul_f32_e32 v7, v10, v18
	ds_bpermute_b32 v8, v2, v66 offset:16
	ds_bpermute_b32 v9, v2, v66 offset:20
	s_waitcnt lgkmcnt(5)
	v_fma_f32 v3, v3, v1, v65
	v_mul_f32_e32 v1, v11, v19
	s_waitcnt lgkmcnt(4)
	s_delay_alu instid0(VALU_DEP_2) | instskip(SKIP_2) | instid1(VALU_DEP_2)
	v_fmac_f32_e32 v3, v7, v4
	v_dual_mul_f32 v4, v12, v20 :: v_dual_mul_f32 v7, v13, v21
	s_waitcnt lgkmcnt(3)
	v_fmac_f32_e32 v3, v1, v5
	ds_bpermute_b32 v5, v2, v66 offset:24
	ds_bpermute_b32 v1, v2, v66 offset:28
	s_waitcnt lgkmcnt(4)
	v_fmac_f32_e32 v3, v4, v6
	s_waitcnt lgkmcnt(3)
	s_delay_alu instid0(VALU_DEP_1) | instskip(SKIP_1) | instid1(VALU_DEP_1)
	v_dual_mul_f32 v4, v14, v22 :: v_dual_fmac_f32 v3, v7, v8
	s_waitcnt lgkmcnt(2)
	v_dual_fmac_f32 v3, v4, v9 :: v_dual_mul_f32 v4, v15, v23
	s_waitcnt lgkmcnt(1)
	s_delay_alu instid0(VALU_DEP_1)
	v_fmac_f32_e32 v3, v4, v5
	s_branch .LBB145_40
.LBB145_25:                             ;   in Loop: Header=BB145_3 Depth=1
                                        ; implicit-def: $vgpr3
                                        ; implicit-def: $vgpr9_vgpr10_vgpr11_vgpr12_vgpr13_vgpr14_vgpr15_vgpr16
                                        ; implicit-def: $vgpr17_vgpr18_vgpr19_vgpr20_vgpr21_vgpr22_vgpr23_vgpr24
                                        ; implicit-def: $vgpr1
	s_cbranch_execz .LBB145_40
; %bb.26:                               ;   in Loop: Header=BB145_3 Depth=1
	s_load_b32 s25, s[6:7], 0x0
	v_mov_b32_e32 v66, 0
	s_waitcnt lgkmcnt(0)
	s_cmp_lt_u32 s14, s25
	s_cselect_b32 s25, 12, 18
	s_delay_alu instid0(SALU_CYCLE_1)
	s_add_u32 s26, s6, s25
	s_addc_u32 s27, s7, 0
	s_mov_b32 s25, exec_lo
	global_load_u16 v1, v2, s[26:27]
	s_waitcnt vmcnt(0)
	v_mad_u32_u24 v1, v29, v1, v31
	s_delay_alu instid0(VALU_DEP_1) | instskip(NEXT) | instid1(VALU_DEP_1)
	v_and_b32_e32 v1, 31, v1
	v_cmpx_gt_u32_e32 8, v1
	s_cbranch_execz .LBB145_30
; %bb.27:                               ;   in Loop: Header=BB145_3 Depth=1
	v_add_co_u32 v3, vcc_lo, v27, v1
	v_add_co_ci_u32_e32 v4, vcc_lo, 0, v28, vcc_lo
	v_mov_b32_e32 v66, 0
	s_mov_b32 s26, exec_lo
	s_delay_alu instid0(VALU_DEP_2)
	v_cmpx_gt_i64_e64 s[16:17], v[3:4]
	s_cbranch_execz .LBB145_29
; %bb.28:                               ;   in Loop: Header=BB145_3 Depth=1
	v_lshlrev_b64 v[3:4], 2, v[3:4]
	s_delay_alu instid0(VALU_DEP_1) | instskip(NEXT) | instid1(VALU_DEP_2)
	v_add_co_u32 v3, vcc_lo, s12, v3
	v_add_co_ci_u32_e32 v4, vcc_lo, s13, v4, vcc_lo
	global_load_b32 v66, v[3:4], off
.LBB145_29:                             ;   in Loop: Header=BB145_3 Depth=1
	s_or_b32 exec_lo, exec_lo, s26
.LBB145_30:                             ;   in Loop: Header=BB145_3 Depth=1
	s_delay_alu instid0(SALU_CYCLE_1)
	s_or_b32 exec_lo, exec_lo, s25
	s_mov_b32 s30, s24
	s_mov_b32 s31, s24
	;; [unrolled: 1-line block ×7, first 2 shown]
	v_dual_mov_b32 v9, s24 :: v_dual_mov_b32 v10, s25
	v_dual_mov_b32 v15, s30 :: v_dual_mov_b32 v16, s31
	;; [unrolled: 1-line block ×4, first 2 shown]
	s_delay_alu instid0(VALU_DEP_3) | instskip(NEXT) | instid1(VALU_DEP_3)
	v_dual_mov_b32 v24, v16 :: v_dual_mov_b32 v23, v15
	v_dual_mov_b32 v20, v12 :: v_dual_mov_b32 v19, v11
	s_delay_alu instid0(VALU_DEP_3)
	v_dual_mov_b32 v22, v14 :: v_dual_mov_b32 v21, v13
	v_dual_mov_b32 v18, v10 :: v_dual_mov_b32 v17, v9
	s_and_saveexec_b32 s25, s3
	s_cbranch_execnz .LBB145_42
; %bb.31:                               ;   in Loop: Header=BB145_3 Depth=1
	s_or_b32 exec_lo, exec_lo, s25
	s_and_saveexec_b32 s25, s3
	s_cbranch_execnz .LBB145_43
.LBB145_32:                             ;   in Loop: Header=BB145_3 Depth=1
	s_or_b32 exec_lo, exec_lo, s25
	s_and_saveexec_b32 s25, s3
	s_cbranch_execnz .LBB145_44
.LBB145_33:                             ;   in Loop: Header=BB145_3 Depth=1
	s_or_b32 exec_lo, exec_lo, s25
	s_and_saveexec_b32 s25, s3
	s_cbranch_execnz .LBB145_45
.LBB145_34:                             ;   in Loop: Header=BB145_3 Depth=1
	s_or_b32 exec_lo, exec_lo, s25
	s_and_saveexec_b32 s25, s3
	s_cbranch_execnz .LBB145_46
.LBB145_35:                             ;   in Loop: Header=BB145_3 Depth=1
	s_or_b32 exec_lo, exec_lo, s25
	s_and_saveexec_b32 s25, s3
	s_cbranch_execnz .LBB145_47
.LBB145_36:                             ;   in Loop: Header=BB145_3 Depth=1
	s_or_b32 exec_lo, exec_lo, s25
	s_and_saveexec_b32 s25, s3
	s_cbranch_execnz .LBB145_48
.LBB145_37:                             ;   in Loop: Header=BB145_3 Depth=1
	s_or_b32 exec_lo, exec_lo, s25
	s_and_saveexec_b32 s25, s3
	s_cbranch_execz .LBB145_39
.LBB145_38:                             ;   in Loop: Header=BB145_3 Depth=1
	v_add_co_u32 v3, vcc_lo, v33, v25
	v_add_co_ci_u32_e32 v4, vcc_lo, v34, v26, vcc_lo
	v_add_co_u32 v5, vcc_lo, v35, v25
	v_add_co_ci_u32_e32 v6, vcc_lo, v36, v26, vcc_lo
	global_load_b32 v24, v[3:4], off
	global_load_b32 v16, v[5:6], off
.LBB145_39:                             ;   in Loop: Header=BB145_3 Depth=1
	s_or_b32 exec_lo, exec_lo, s25
	s_waitcnt vmcnt(0)
	ds_bpermute_b32 v1, v2, v66
	ds_bpermute_b32 v3, v2, v66 offset:4
	ds_bpermute_b32 v4, v2, v66 offset:8
	v_mul_f32_e32 v5, v9, v17
	ds_bpermute_b32 v6, v2, v66 offset:12
	v_mul_f32_e32 v7, v10, v18
	ds_bpermute_b32 v8, v2, v66 offset:16
	s_waitcnt lgkmcnt(4)
	v_fmac_f32_e32 v65, v5, v1
	v_mul_f32_e32 v1, v11, v19
	ds_bpermute_b32 v5, v2, v66 offset:20
	s_waitcnt lgkmcnt(4)
	v_fmac_f32_e32 v65, v7, v3
	v_mul_f32_e32 v3, v12, v20
	s_waitcnt lgkmcnt(3)
	s_delay_alu instid0(VALU_DEP_2)
	v_fmac_f32_e32 v65, v1, v4
	ds_bpermute_b32 v4, v2, v66 offset:24
	v_mul_f32_e32 v1, v13, v21
	s_waitcnt lgkmcnt(3)
	v_fmac_f32_e32 v65, v3, v6
	v_mul_f32_e32 v3, v14, v22
	s_waitcnt lgkmcnt(2)
	s_delay_alu instid0(VALU_DEP_2)
	v_fmac_f32_e32 v65, v1, v8
	ds_bpermute_b32 v1, v2, v66 offset:28
	s_waitcnt lgkmcnt(2)
	v_fmac_f32_e32 v65, v3, v5
	v_mul_f32_e32 v3, v15, v23
	s_waitcnt lgkmcnt(1)
	s_delay_alu instid0(VALU_DEP_1) | instskip(NEXT) | instid1(VALU_DEP_1)
	v_fmac_f32_e32 v65, v3, v4
	v_mov_b32_e32 v3, v65
.LBB145_40:                             ;   in Loop: Header=BB145_3 Depth=1
	v_add_co_u32 v33, vcc_lo, v33, s8
	v_add_co_ci_u32_e32 v34, vcc_lo, s9, v34, vcc_lo
	v_add_co_u32 v35, vcc_lo, v35, s8
	v_add_co_ci_u32_e32 v36, vcc_lo, s9, v36, vcc_lo
	;; [unrolled: 2-line block ×14, first 2 shown]
	v_add_co_u32 v30, vcc_lo, v30, s36
	s_add_u32 s10, s10, s36
	v_add_co_ci_u32_e32 v32, vcc_lo, 0, v32, vcc_lo
	v_mul_f32_e32 v4, v24, v16
	s_addc_u32 s11, s11, 0
	v_add_co_u32 v61, vcc_lo, v61, s8
	v_add_co_ci_u32_e32 v62, vcc_lo, s9, v62, vcc_lo
	v_cmp_lt_i64_e64 s25, s[10:11], s[16:17]
	v_add_co_u32 v63, vcc_lo, v63, s8
	s_waitcnt lgkmcnt(0)
	v_fmac_f32_e32 v3, v4, v1
	v_add_co_ci_u32_e32 v64, vcc_lo, s9, v64, vcc_lo
	s_add_u32 s4, s4, s36
	s_addc_u32 s5, s5, 0
	s_and_b32 vcc_lo, exec_lo, s25
	s_cbranch_vccz .LBB145_50
; %bb.41:                               ;   in Loop: Header=BB145_3 Depth=1
	v_mov_b32_e32 v65, v3
	s_branch .LBB145_3
.LBB145_42:                             ;   in Loop: Header=BB145_3 Depth=1
	v_add_co_u32 v3, vcc_lo, v61, v25
	v_add_co_ci_u32_e32 v4, vcc_lo, v62, v26, vcc_lo
	v_mov_b32_e32 v8, v2
	v_mov_b32_e32 v5, v2
	;; [unrolled: 1-line block ×3, first 2 shown]
	global_load_b32 v1, v[3:4], off
	v_add_co_u32 v3, vcc_lo, v63, v25
	v_add_co_ci_u32_e32 v4, vcc_lo, v64, v26, vcc_lo
	v_mov_b32_e32 v7, v2
	v_mov_b32_e32 v15, v2
	global_load_b32 v9, v[3:4], off
	v_mov_b32_e32 v3, v2
	v_mov_b32_e32 v4, v2
	s_waitcnt vmcnt(1)
	v_dual_mov_b32 v11, v2 :: v_dual_mov_b32 v24, v8
	v_dual_mov_b32 v10, v2 :: v_dual_mov_b32 v23, v7
	;; [unrolled: 1-line block ×5, first 2 shown]
	v_mov_b32_e32 v16, v2
	v_mov_b32_e32 v22, v6
	v_dual_mov_b32 v18, v2 :: v_dual_mov_b32 v17, v1
	s_or_b32 exec_lo, exec_lo, s25
	s_and_saveexec_b32 s25, s3
	s_cbranch_execz .LBB145_32
.LBB145_43:                             ;   in Loop: Header=BB145_3 Depth=1
	v_add_co_u32 v3, vcc_lo, v57, v25
	v_add_co_ci_u32_e32 v4, vcc_lo, v58, v26, vcc_lo
	v_add_co_u32 v5, vcc_lo, v59, v25
	v_add_co_ci_u32_e32 v6, vcc_lo, v60, v26, vcc_lo
	global_load_b32 v18, v[3:4], off
	global_load_b32 v10, v[5:6], off
	s_or_b32 exec_lo, exec_lo, s25
	s_and_saveexec_b32 s25, s3
	s_cbranch_execz .LBB145_33
.LBB145_44:                             ;   in Loop: Header=BB145_3 Depth=1
	v_add_co_u32 v3, vcc_lo, v53, v25
	v_add_co_ci_u32_e32 v4, vcc_lo, v54, v26, vcc_lo
	v_add_co_u32 v5, vcc_lo, v55, v25
	v_add_co_ci_u32_e32 v6, vcc_lo, v56, v26, vcc_lo
	global_load_b32 v19, v[3:4], off
	global_load_b32 v11, v[5:6], off
	s_or_b32 exec_lo, exec_lo, s25
	s_and_saveexec_b32 s25, s3
	s_cbranch_execz .LBB145_34
.LBB145_45:                             ;   in Loop: Header=BB145_3 Depth=1
	v_add_co_u32 v3, vcc_lo, v49, v25
	v_add_co_ci_u32_e32 v4, vcc_lo, v50, v26, vcc_lo
	v_add_co_u32 v5, vcc_lo, v51, v25
	v_add_co_ci_u32_e32 v6, vcc_lo, v52, v26, vcc_lo
	global_load_b32 v20, v[3:4], off
	global_load_b32 v12, v[5:6], off
	s_or_b32 exec_lo, exec_lo, s25
	s_and_saveexec_b32 s25, s3
	s_cbranch_execz .LBB145_35
.LBB145_46:                             ;   in Loop: Header=BB145_3 Depth=1
	v_add_co_u32 v3, vcc_lo, v45, v25
	v_add_co_ci_u32_e32 v4, vcc_lo, v46, v26, vcc_lo
	v_add_co_u32 v5, vcc_lo, v47, v25
	v_add_co_ci_u32_e32 v6, vcc_lo, v48, v26, vcc_lo
	global_load_b32 v21, v[3:4], off
	global_load_b32 v13, v[5:6], off
	s_or_b32 exec_lo, exec_lo, s25
	s_and_saveexec_b32 s25, s3
	s_cbranch_execz .LBB145_36
.LBB145_47:                             ;   in Loop: Header=BB145_3 Depth=1
	v_add_co_u32 v3, vcc_lo, v41, v25
	v_add_co_ci_u32_e32 v4, vcc_lo, v42, v26, vcc_lo
	v_add_co_u32 v5, vcc_lo, v43, v25
	v_add_co_ci_u32_e32 v6, vcc_lo, v44, v26, vcc_lo
	global_load_b32 v22, v[3:4], off
	global_load_b32 v14, v[5:6], off
	s_or_b32 exec_lo, exec_lo, s25
	s_and_saveexec_b32 s25, s3
	s_cbranch_execz .LBB145_37
.LBB145_48:                             ;   in Loop: Header=BB145_3 Depth=1
	v_add_co_u32 v3, vcc_lo, v37, v25
	v_add_co_ci_u32_e32 v4, vcc_lo, v38, v26, vcc_lo
	v_add_co_u32 v5, vcc_lo, v39, v25
	v_add_co_ci_u32_e32 v6, vcc_lo, v40, v26, vcc_lo
	global_load_b32 v23, v[3:4], off
	global_load_b32 v15, v[5:6], off
	s_or_b32 exec_lo, exec_lo, s25
	s_and_saveexec_b32 s25, s3
	s_cbranch_execnz .LBB145_38
	s_branch .LBB145_39
.LBB145_49:
                                        ; implicit-def: $vgpr3
	s_load_b64 s[24:25], s[0:1], 0x30
	s_branch .LBB145_51
.LBB145_50:
	s_load_b64 s[24:25], s[0:1], 0x30
	s_cbranch_execnz .LBB145_83
.LBB145_51:
	v_mov_b32_e32 v3, 0
	s_and_not1_b32 vcc_lo, exec_lo, s33
	s_cbranch_vccnz .LBB145_83
; %bb.52:
	v_bfe_u32 v57, v0, 10, 10
	v_mov_b32_e32 v2, 0
	s_add_u32 s26, s0, 64
	s_addc_u32 s27, s1, 0
	s_lshl_b64 s[6:7], s[34:35], 2
	v_lshlrev_b32_e32 v3, 5, v57
	s_load_b32 s3, s[0:1], 0x44
	v_dual_mov_b32 v93, 0 :: v_dual_and_b32 v58, 0x3ff, v0
	v_mov_b32_e32 v60, v2
	s_delay_alu instid0(VALU_DEP_3) | instskip(NEXT) | instid1(VALU_DEP_1)
	v_add_co_u32 v3, s5, v3, s6
	v_add_co_ci_u32_e64 v4, null, 0, s7, s5
	s_delay_alu instid0(VALU_DEP_4) | instskip(NEXT) | instid1(VALU_DEP_3)
	v_add_nc_u32_e32 v1, s15, v58
	v_add_co_u32 v7, vcc_lo, v3, 4
	s_delay_alu instid0(VALU_DEP_3) | instskip(NEXT) | instid1(VALU_DEP_3)
	v_add_co_ci_u32_e32 v5, vcc_lo, 0, v4, vcc_lo
	v_lshlrev_b64 v[27:28], 2, v[1:2]
	v_add_co_u32 v1, vcc_lo, v3, 8
	s_delay_alu instid0(VALU_DEP_3) | instskip(SKIP_3) | instid1(VALU_DEP_3)
	v_mul_lo_u32 v8, s18, v5
	v_add_co_ci_u32_e32 v5, vcc_lo, 0, v4, vcc_lo
	v_add_co_u32 v11, vcc_lo, v3, 12
	v_lshlrev_b32_e32 v59, 3, v57
	v_mul_lo_u32 v10, s18, v5
	v_add_co_ci_u32_e32 v5, vcc_lo, 0, v4, vcc_lo
	v_add_co_u32 v13, vcc_lo, v3, 16
	s_waitcnt lgkmcnt(0)
	s_lshl_b32 s15, s3, 3
	v_add_co_ci_u32_e32 v6, vcc_lo, 0, v4, vcc_lo
	v_add_co_u32 v17, vcc_lo, v3, 20
	s_mul_i32 s3, s19, s15
	s_mul_hi_u32 s5, s18, s15
	v_mul_lo_u32 v14, s18, v5
	v_add_co_ci_u32_e32 v5, vcc_lo, 0, v4, vcc_lo
	s_add_i32 s7, s5, s3
	v_add_co_u32 v19, vcc_lo, v3, 24
	v_add_co_u32 v24, s3, v59, s34
	v_mul_lo_u32 v16, s18, v6
	v_add_co_ci_u32_e32 v6, vcc_lo, 0, v4, vcc_lo
	v_add_co_ci_u32_e64 v55, null, 0, 0, s3
	v_add_co_u32 v56, vcc_lo, v3, 28
	v_mul_lo_u32 v20, s18, v5
	s_delay_alu instid0(VALU_DEP_4) | instskip(SKIP_4) | instid1(VALU_DEP_4)
	v_mul_lo_u32 v22, s18, v6
	v_add_co_ci_u32_e32 v5, vcc_lo, 0, v4, vcc_lo
	v_mul_lo_u32 v6, s19, v24
	v_mul_lo_u32 v41, s18, v55
	v_mad_u64_u32 v[3:4], null, s18, v24, 0
	v_mul_lo_u32 v63, s18, v5
	v_mad_u64_u32 v[25:26], null, s18, v7, s[20:21]
	;; [unrolled: 2-line block ×3, first 2 shown]
	v_add3_u32 v4, v4, v41, v6
	v_mul_lo_u32 v12, s19, v1
	v_mad_u64_u32 v[41:42], null, s18, v7, s[22:23]
	v_mad_u64_u32 v[43:44], null, s18, v1, s[22:23]
	s_delay_alu instid0(VALU_DEP_4) | instskip(SKIP_3) | instid1(VALU_DEP_4)
	v_lshlrev_b64 v[5:6], 2, v[3:4]
	v_mad_u64_u32 v[31:32], null, s18, v11, s[20:21]
	v_mul_lo_u32 v15, s19, v11
	v_mad_u64_u32 v[45:46], null, s18, v11, s[22:23]
	v_add_co_u32 v61, vcc_lo, s20, v5
	v_add_co_ci_u32_e32 v62, vcc_lo, s21, v6, vcc_lo
	v_add_co_u32 v1, vcc_lo, v24, 7
	v_add_co_ci_u32_e32 v7, vcc_lo, 0, v55, vcc_lo
	v_mad_u64_u32 v[33:34], null, s18, v13, s[20:21]
	v_mul_lo_u32 v18, s19, v13
	v_mad_u64_u32 v[47:48], null, s18, v13, s[22:23]
	v_add_co_u32 v13, vcc_lo, v24, 6
	v_add3_u32 v26, v9, v26, v8
	v_add3_u32 v30, v12, v30, v10
	v_add3_u32 v42, v9, v42, v8
	v_add3_u32 v44, v12, v44, v10
	v_mul_lo_u32 v11, s19, v1
	v_mul_lo_u32 v12, s18, v7
	v_mad_u64_u32 v[7:8], null, s18, v1, 0
	v_add_co_ci_u32_e32 v9, vcc_lo, 0, v55, vcc_lo
	v_mad_u64_u32 v[39:40], null, s18, v56, s[20:21]
	v_mul_lo_u32 v64, s19, v56
	v_mad_u64_u32 v[53:54], null, s18, v56, s[22:23]
	v_add3_u32 v32, v15, v32, v14
	v_add3_u32 v46, v15, v46, v14
	v_mul_lo_u32 v1, s19, v13
	v_mul_lo_u32 v14, s18, v9
	v_mad_u64_u32 v[9:10], null, s18, v13, 0
	v_add3_u32 v8, v8, v12, v11
	v_add3_u32 v40, v64, v40, v63
	;; [unrolled: 1-line block ×3, first 2 shown]
	v_add_co_u32 v63, vcc_lo, s22, v5
	v_add_co_ci_u32_e32 v64, vcc_lo, s23, v6, vcc_lo
	v_lshlrev_b64 v[5:6], 2, v[7:8]
	v_add3_u32 v10, v10, v14, v1
	v_add_co_u32 v1, vcc_lo, v24, 5
	v_add_co_ci_u32_e32 v11, vcc_lo, 0, v55, vcc_lo
	s_delay_alu instid0(VALU_DEP_4) | instskip(NEXT) | instid1(VALU_DEP_4)
	v_add_co_u32 v65, vcc_lo, s20, v5
	v_lshlrev_b64 v[7:8], 2, v[9:10]
	v_add_co_ci_u32_e32 v66, vcc_lo, s21, v6, vcc_lo
	v_mul_lo_u32 v12, s19, v1
	v_mul_lo_u32 v11, s18, v11
	v_mad_u64_u32 v[9:10], null, s18, v1, 0
	v_add_co_u32 v67, vcc_lo, s22, v5
	v_add_co_ci_u32_e32 v68, vcc_lo, s23, v6, vcc_lo
	v_add_co_u32 v69, vcc_lo, s20, v7
	v_add_co_ci_u32_e32 v70, vcc_lo, s21, v8, vcc_lo
	v_add_co_u32 v1, vcc_lo, v24, 4
	v_add3_u32 v10, v10, v11, v12
	v_add_co_u32 v71, s3, s22, v7
	v_add_co_ci_u32_e32 v7, vcc_lo, 0, v55, vcc_lo
	v_add_co_u32 v12, vcc_lo, v24, 3
	s_delay_alu instid0(VALU_DEP_4)
	v_lshlrev_b64 v[5:6], 2, v[9:10]
	v_add_co_ci_u32_e32 v9, vcc_lo, 0, v55, vcc_lo
	v_add_co_ci_u32_e64 v72, s3, s23, v8, s3
	v_mul_lo_u32 v11, s19, v1
	v_mul_lo_u32 v13, s18, v7
	v_mad_u64_u32 v[7:8], null, s18, v1, 0
	v_mul_lo_u32 v1, s19, v12
	v_mul_lo_u32 v14, s18, v9
	v_mad_u64_u32 v[9:10], null, s18, v12, 0
	v_add_co_u32 v73, vcc_lo, s20, v5
	v_add_co_ci_u32_e32 v74, vcc_lo, s21, v6, vcc_lo
	v_add3_u32 v8, v8, v13, v11
	v_add_co_u32 v75, vcc_lo, s22, v5
	v_add_co_ci_u32_e32 v76, vcc_lo, s23, v6, vcc_lo
	v_add3_u32 v10, v10, v14, v1
	v_add_co_u32 v1, vcc_lo, v24, 2
	v_lshlrev_b64 v[5:6], 2, v[7:8]
	v_add_co_ci_u32_e32 v11, vcc_lo, 0, v55, vcc_lo
	s_delay_alu instid0(VALU_DEP_4) | instskip(NEXT) | instid1(VALU_DEP_4)
	v_lshlrev_b64 v[7:8], 2, v[9:10]
	v_mul_lo_u32 v12, s19, v1
	v_mad_u64_u32 v[9:10], null, s18, v1, 0
	v_add_co_u32 v77, vcc_lo, s20, v5
	v_mul_lo_u32 v11, s18, v11
	v_add_co_ci_u32_e32 v78, vcc_lo, s21, v6, vcc_lo
	v_add_co_u32 v79, vcc_lo, s22, v5
	v_add_co_ci_u32_e32 v80, vcc_lo, s23, v6, vcc_lo
	v_add_co_u32 v81, vcc_lo, s20, v7
	v_add_co_ci_u32_e32 v82, vcc_lo, s21, v8, vcc_lo
	v_add3_u32 v10, v10, v11, v12
	v_add_co_u32 v83, vcc_lo, s22, v7
	v_add_co_ci_u32_e32 v84, vcc_lo, s23, v8, vcc_lo
	v_add_co_u32 v3, vcc_lo, v3, s18
	s_delay_alu instid0(VALU_DEP_4) | instskip(SKIP_3) | instid1(VALU_DEP_4)
	v_lshlrev_b64 v[5:6], 2, v[9:10]
	v_add_co_ci_u32_e32 v4, vcc_lo, s19, v4, vcc_lo
	v_mad_u64_u32 v[35:36], null, s18, v17, s[20:21]
	v_mul_lo_u32 v21, s19, v17
	v_add_co_u32 v85, vcc_lo, s20, v5
	s_delay_alu instid0(VALU_DEP_4)
	v_lshlrev_b64 v[3:4], 2, v[3:4]
	v_add_co_ci_u32_e32 v86, vcc_lo, s21, v6, vcc_lo
	v_mad_u64_u32 v[37:38], null, s18, v19, s[20:21]
	v_mul_lo_u32 v23, s19, v19
	v_mad_u64_u32 v[49:50], null, s18, v17, s[22:23]
	v_mad_u64_u32 v[51:52], null, s18, v19, s[22:23]
	v_add_co_u32 v87, vcc_lo, s22, v5
	v_add_co_ci_u32_e32 v88, vcc_lo, s23, v6, vcc_lo
	v_add_co_u32 v89, vcc_lo, s20, v3
	v_add_co_ci_u32_e32 v90, vcc_lo, s21, v4, vcc_lo
	v_add_co_u32 v91, vcc_lo, s22, v3
	v_add3_u32 v34, v18, v34, v16
	v_add3_u32 v36, v21, v36, v20
	;; [unrolled: 1-line block ×6, first 2 shown]
	v_add_co_ci_u32_e32 v92, vcc_lo, s23, v4, vcc_lo
	s_mul_i32 s6, s18, s15
	s_mov_b32 s4, 0
	s_lshl_b64 s[20:21], s[6:7], 2
	s_mov_b64 s[22:23], 7
	s_mov_b64 s[28:29], s[34:35]
.LBB145_53:                             ; =>This Inner Loop Header: Depth=1
	s_add_u32 s6, s34, s22
	s_addc_u32 s7, 0, s23
	v_add_co_u32 v55, vcc_lo, s34, v59
	v_cmp_ge_i64_e64 s3, s[6:7], s[16:17]
	v_add_co_ci_u32_e32 v56, vcc_lo, 0, v60, vcc_lo
	s_delay_alu instid0(VALU_DEP_2)
	s_and_b32 vcc_lo, exec_lo, s3
	s_cbranch_vccz .LBB145_75
; %bb.54:                               ;   in Loop: Header=BB145_53 Depth=1
	s_load_b32 s3, s[26:27], 0xc
	v_mov_b32_e32 v94, 0
	s_waitcnt lgkmcnt(0)
	s_and_b32 s3, s3, 0xffff
	s_delay_alu instid0(SALU_CYCLE_1) | instskip(SKIP_1) | instid1(VALU_DEP_1)
	v_mad_u32_u24 v1, v57, s3, v58
	s_mov_b32 s3, exec_lo
	v_and_b32_e32 v1, 31, v1
	s_delay_alu instid0(VALU_DEP_1)
	v_cmpx_gt_u32_e32 8, v1
	s_cbranch_execz .LBB145_58
; %bb.55:                               ;   in Loop: Header=BB145_53 Depth=1
	v_add_co_u32 v3, vcc_lo, v55, v1
	v_add_co_ci_u32_e32 v4, vcc_lo, 0, v56, vcc_lo
	v_mov_b32_e32 v94, 0
	s_mov_b32 s5, exec_lo
	s_delay_alu instid0(VALU_DEP_2)
	v_cmpx_gt_i64_e64 s[16:17], v[3:4]
	s_cbranch_execz .LBB145_57
; %bb.56:                               ;   in Loop: Header=BB145_53 Depth=1
	v_lshlrev_b64 v[3:4], 2, v[3:4]
	s_delay_alu instid0(VALU_DEP_1) | instskip(NEXT) | instid1(VALU_DEP_2)
	v_add_co_u32 v3, vcc_lo, s12, v3
	v_add_co_ci_u32_e32 v4, vcc_lo, s13, v4, vcc_lo
	global_load_b32 v94, v[3:4], off
.LBB145_57:                             ;   in Loop: Header=BB145_53 Depth=1
	s_or_b32 exec_lo, exec_lo, s5
.LBB145_58:                             ;   in Loop: Header=BB145_53 Depth=1
	s_delay_alu instid0(SALU_CYCLE_1)
	s_or_b32 exec_lo, exec_lo, s3
	s_mov_b32 s11, s4
	s_mov_b32 s5, s4
	;; [unrolled: 1-line block ×7, first 2 shown]
	s_delay_alu instid0(SALU_CYCLE_1) | instskip(SKIP_3) | instid1(VALU_DEP_4)
	v_dual_mov_b32 v16, s11 :: v_dual_mov_b32 v15, s10
	v_dual_mov_b32 v14, s9 :: v_dual_mov_b32 v13, s8
	;; [unrolled: 1-line block ×5, first 2 shown]
	s_delay_alu instid0(VALU_DEP_4) | instskip(NEXT) | instid1(VALU_DEP_4)
	v_dual_mov_b32 v22, v14 :: v_dual_mov_b32 v21, v13
	v_dual_mov_b32 v20, v12 :: v_dual_mov_b32 v19, v11
	s_delay_alu instid0(VALU_DEP_4)
	v_dual_mov_b32 v18, v10 :: v_dual_mov_b32 v17, v9
	s_mov_b32 s3, exec_lo
	v_cmpx_gt_i64_e64 s[16:17], v[55:56]
	s_cbranch_execz .LBB145_60
; %bb.59:                               ;   in Loop: Header=BB145_53 Depth=1
	v_add_co_u32 v3, vcc_lo, v61, v27
	v_add_co_ci_u32_e32 v4, vcc_lo, v62, v28, vcc_lo
	v_mov_b32_e32 v8, v2
	v_mov_b32_e32 v5, v2
	;; [unrolled: 1-line block ×3, first 2 shown]
	global_load_b32 v1, v[3:4], off
	v_add_co_u32 v3, vcc_lo, v63, v27
	v_add_co_ci_u32_e32 v4, vcc_lo, v64, v28, vcc_lo
	v_mov_b32_e32 v7, v2
	v_mov_b32_e32 v15, v2
	global_load_b32 v9, v[3:4], off
	v_mov_b32_e32 v3, v2
	v_mov_b32_e32 v4, v2
	s_waitcnt vmcnt(1)
	v_dual_mov_b32 v11, v2 :: v_dual_mov_b32 v24, v8
	v_dual_mov_b32 v10, v2 :: v_dual_mov_b32 v23, v7
	;; [unrolled: 1-line block ×5, first 2 shown]
	v_mov_b32_e32 v16, v2
	v_mov_b32_e32 v22, v6
	v_dual_mov_b32 v18, v2 :: v_dual_mov_b32 v17, v1
.LBB145_60:                             ;   in Loop: Header=BB145_53 Depth=1
	s_or_b32 exec_lo, exec_lo, s3
	v_add_co_u32 v3, vcc_lo, v55, 1
	v_add_co_ci_u32_e32 v4, vcc_lo, 0, v56, vcc_lo
	s_mov_b32 s3, exec_lo
	s_delay_alu instid0(VALU_DEP_1)
	v_cmpx_gt_i64_e64 s[16:17], v[3:4]
	s_cbranch_execz .LBB145_62
; %bb.61:                               ;   in Loop: Header=BB145_53 Depth=1
	v_add_co_u32 v3, vcc_lo, v89, v27
	v_add_co_ci_u32_e32 v4, vcc_lo, v90, v28, vcc_lo
	v_add_co_u32 v5, vcc_lo, v91, v27
	v_add_co_ci_u32_e32 v6, vcc_lo, v92, v28, vcc_lo
	global_load_b32 v18, v[3:4], off
	global_load_b32 v10, v[5:6], off
.LBB145_62:                             ;   in Loop: Header=BB145_53 Depth=1
	s_or_b32 exec_lo, exec_lo, s3
	v_add_co_u32 v3, vcc_lo, v55, 2
	v_add_co_ci_u32_e32 v4, vcc_lo, 0, v56, vcc_lo
	s_mov_b32 s3, exec_lo
	s_delay_alu instid0(VALU_DEP_1)
	v_cmpx_gt_i64_e64 s[16:17], v[3:4]
	s_cbranch_execz .LBB145_64
; %bb.63:                               ;   in Loop: Header=BB145_53 Depth=1
	v_add_co_u32 v3, vcc_lo, v85, v27
	v_add_co_ci_u32_e32 v4, vcc_lo, v86, v28, vcc_lo
	v_add_co_u32 v5, vcc_lo, v87, v27
	v_add_co_ci_u32_e32 v6, vcc_lo, v88, v28, vcc_lo
	global_load_b32 v19, v[3:4], off
	global_load_b32 v11, v[5:6], off
.LBB145_64:                             ;   in Loop: Header=BB145_53 Depth=1
	;; [unrolled: 15-line block ×7, first 2 shown]
	s_or_b32 exec_lo, exec_lo, s3
	s_waitcnt vmcnt(0)
	ds_bpermute_b32 v1, v2, v94
	ds_bpermute_b32 v4, v2, v94 offset:4
	ds_bpermute_b32 v5, v2, v94 offset:8
	v_mul_f32_e32 v3, v9, v17
	ds_bpermute_b32 v6, v2, v94 offset:12
	v_mul_f32_e32 v7, v10, v18
	ds_bpermute_b32 v8, v2, v94 offset:16
	ds_bpermute_b32 v9, v2, v94 offset:20
	s_waitcnt lgkmcnt(5)
	v_fma_f32 v3, v3, v1, v93
	v_mul_f32_e32 v1, v11, v19
	s_waitcnt lgkmcnt(4)
	s_delay_alu instid0(VALU_DEP_2)
	v_fmac_f32_e32 v3, v7, v4
	v_mul_f32_e32 v4, v12, v20
	ds_bpermute_b32 v7, v2, v94 offset:24
	s_waitcnt lgkmcnt(4)
	v_fmac_f32_e32 v3, v1, v5
	v_mul_f32_e32 v1, v13, v21
	v_mul_f32_e32 v5, v14, v22
	s_waitcnt lgkmcnt(3)
	s_delay_alu instid0(VALU_DEP_3)
	v_fmac_f32_e32 v3, v4, v6
	ds_bpermute_b32 v4, v2, v94 offset:28
	s_waitcnt lgkmcnt(3)
	v_fmac_f32_e32 v3, v1, v8
	v_mul_f32_e32 v1, v15, v23
	s_waitcnt lgkmcnt(2)
	s_delay_alu instid0(VALU_DEP_2) | instskip(SKIP_1) | instid1(VALU_DEP_1)
	v_fmac_f32_e32 v3, v5, v9
	s_waitcnt lgkmcnt(1)
	v_fmac_f32_e32 v3, v1, v7
	v_mul_f32_e32 v1, v16, v24
	s_waitcnt lgkmcnt(0)
	s_delay_alu instid0(VALU_DEP_1)
	v_fmac_f32_e32 v3, v1, v4
	s_branch .LBB145_81
.LBB145_75:                             ;   in Loop: Header=BB145_53 Depth=1
                                        ; implicit-def: $vgpr3
	s_cbranch_execz .LBB145_81
; %bb.76:                               ;   in Loop: Header=BB145_53 Depth=1
	s_load_b32 s3, s[26:27], 0x0
	s_waitcnt lgkmcnt(0)
	s_cmp_lt_u32 s14, s3
	s_cselect_b32 s3, 12, 18
	s_delay_alu instid0(SALU_CYCLE_1)
	s_add_u32 s6, s26, s3
	s_addc_u32 s7, s27, 0
	s_mov_b32 s3, exec_lo
	global_load_u16 v1, v2, s[6:7]
	s_waitcnt vmcnt(0)
	v_mad_u32_u24 v1, v57, v1, v58
	s_delay_alu instid0(VALU_DEP_1) | instskip(SKIP_1) | instid1(VALU_DEP_2)
	v_and_b32_e32 v3, 31, v1
	v_mov_b32_e32 v1, 0
	v_cmpx_gt_u32_e32 8, v3
	s_cbranch_execz .LBB145_80
; %bb.77:                               ;   in Loop: Header=BB145_53 Depth=1
	v_add_co_u32 v3, vcc_lo, v55, v3
	v_add_co_ci_u32_e32 v4, vcc_lo, 0, v56, vcc_lo
	v_mov_b32_e32 v1, 0
	s_mov_b32 s5, exec_lo
	s_delay_alu instid0(VALU_DEP_2)
	v_cmpx_gt_i64_e64 s[16:17], v[3:4]
	s_cbranch_execz .LBB145_79
; %bb.78:                               ;   in Loop: Header=BB145_53 Depth=1
	v_lshlrev_b64 v[3:4], 2, v[3:4]
	s_delay_alu instid0(VALU_DEP_1) | instskip(NEXT) | instid1(VALU_DEP_2)
	v_add_co_u32 v3, vcc_lo, s12, v3
	v_add_co_ci_u32_e32 v4, vcc_lo, s13, v4, vcc_lo
	global_load_b32 v1, v[3:4], off
.LBB145_79:                             ;   in Loop: Header=BB145_53 Depth=1
	s_or_b32 exec_lo, exec_lo, s5
.LBB145_80:                             ;   in Loop: Header=BB145_53 Depth=1
	s_delay_alu instid0(SALU_CYCLE_1)
	s_or_b32 exec_lo, exec_lo, s3
	v_add_co_u32 v3, vcc_lo, v61, v27
	v_add_co_ci_u32_e32 v4, vcc_lo, v62, v28, vcc_lo
	v_add_co_u32 v5, vcc_lo, v63, v27
	v_add_co_ci_u32_e32 v6, vcc_lo, v64, v28, vcc_lo
	;; [unrolled: 2-line block ×4, first 2 shown]
	global_load_b32 v13, v[3:4], off
	global_load_b32 v14, v[5:6], off
	;; [unrolled: 1-line block ×4, first 2 shown]
	v_add_co_u32 v3, vcc_lo, v29, v27
	v_add_co_ci_u32_e32 v4, vcc_lo, v30, v28, vcc_lo
	v_add_co_u32 v5, vcc_lo, v43, v27
	v_add_co_ci_u32_e32 v6, vcc_lo, v44, v28, vcc_lo
	;; [unrolled: 2-line block ×5, first 2 shown]
	global_load_b32 v17, v[3:4], off
	global_load_b32 v18, v[5:6], off
	;; [unrolled: 1-line block ×5, first 2 shown]
	v_add_co_u32 v3, vcc_lo, v47, v27
	v_add_co_ci_u32_e32 v4, vcc_lo, v48, v28, vcc_lo
	v_add_co_u32 v5, vcc_lo, v35, v27
	v_add_co_ci_u32_e32 v6, vcc_lo, v36, v28, vcc_lo
	;; [unrolled: 2-line block ×5, first 2 shown]
	global_load_b32 v22, v[3:4], off
	global_load_b32 v23, v[5:6], off
	;; [unrolled: 1-line block ×5, first 2 shown]
	v_add_co_u32 v3, vcc_lo, v39, v27
	v_add_co_ci_u32_e32 v4, vcc_lo, v40, v28, vcc_lo
	v_add_co_u32 v5, vcc_lo, v53, v27
	v_add_co_ci_u32_e32 v6, vcc_lo, v54, v28, vcc_lo
	global_load_b32 v3, v[3:4], off
	global_load_b32 v4, v[5:6], off
	s_waitcnt vmcnt(16)
	ds_bpermute_b32 v5, v2, v1
	ds_bpermute_b32 v6, v2, v1 offset:4
	ds_bpermute_b32 v10, v2, v1 offset:8
	;; [unrolled: 1-line block ×3, first 2 shown]
	s_waitcnt vmcnt(14)
	v_mul_f32_e32 v12, v13, v14
	ds_bpermute_b32 v13, v2, v1 offset:16
	s_waitcnt vmcnt(12) lgkmcnt(4)
	v_dual_mul_f32 v14, v15, v16 :: v_dual_fmac_f32 v93, v12, v5
	ds_bpermute_b32 v5, v2, v1 offset:20
	s_waitcnt lgkmcnt(4)
	v_fmac_f32_e32 v93, v14, v6
	ds_bpermute_b32 v6, v2, v1 offset:24
	ds_bpermute_b32 v1, v2, v1 offset:28
	s_waitcnt vmcnt(10)
	v_mul_f32_e32 v12, v17, v18
	s_waitcnt vmcnt(8)
	v_mul_f32_e32 v14, v19, v20
	;; [unrolled: 2-line block ×3, first 2 shown]
	s_waitcnt lgkmcnt(5)
	v_fmac_f32_e32 v93, v12, v10
	v_mul_f32_e32 v10, v21, v22
	s_waitcnt vmcnt(2) lgkmcnt(4)
	s_delay_alu instid0(VALU_DEP_2) | instskip(SKIP_1) | instid1(VALU_DEP_1)
	v_dual_mul_f32 v8, v8, v9 :: v_dual_fmac_f32 v93, v14, v11
	s_waitcnt lgkmcnt(3)
	v_fmac_f32_e32 v93, v10, v13
	s_waitcnt vmcnt(0)
	v_mul_f32_e32 v3, v3, v4
	s_waitcnt lgkmcnt(2)
	s_delay_alu instid0(VALU_DEP_2) | instskip(SKIP_1) | instid1(VALU_DEP_1)
	v_fmac_f32_e32 v93, v7, v5
	s_waitcnt lgkmcnt(1)
	v_fmac_f32_e32 v93, v8, v6
	s_waitcnt lgkmcnt(0)
	s_delay_alu instid0(VALU_DEP_1) | instskip(NEXT) | instid1(VALU_DEP_1)
	v_fmac_f32_e32 v93, v3, v1
	v_mov_b32_e32 v3, v93
.LBB145_81:                             ;   in Loop: Header=BB145_53 Depth=1
	v_add_co_u32 v59, vcc_lo, v59, s15
	v_add_co_ci_u32_e32 v60, vcc_lo, 0, v60, vcc_lo
	v_add_co_u32 v25, vcc_lo, v25, s20
	v_add_co_ci_u32_e32 v26, vcc_lo, s21, v26, vcc_lo
	v_add_co_u32 v29, vcc_lo, v29, s20
	v_add_co_ci_u32_e32 v30, vcc_lo, s21, v30, vcc_lo
	v_add_co_u32 v31, vcc_lo, v31, s20
	v_add_co_ci_u32_e32 v32, vcc_lo, s21, v32, vcc_lo
	v_add_co_u32 v33, vcc_lo, v33, s20
	v_add_co_ci_u32_e32 v34, vcc_lo, s21, v34, vcc_lo
	v_add_co_u32 v35, vcc_lo, v35, s20
	v_add_co_ci_u32_e32 v36, vcc_lo, s21, v36, vcc_lo
	v_add_co_u32 v37, vcc_lo, v37, s20
	v_add_co_ci_u32_e32 v38, vcc_lo, s21, v38, vcc_lo
	v_add_co_u32 v39, vcc_lo, v39, s20
	v_add_co_ci_u32_e32 v40, vcc_lo, s21, v40, vcc_lo
	v_add_co_u32 v61, vcc_lo, v61, s20
	v_add_co_ci_u32_e32 v62, vcc_lo, s21, v62, vcc_lo
	v_add_co_u32 v41, vcc_lo, v41, s20
	v_add_co_ci_u32_e32 v42, vcc_lo, s21, v42, vcc_lo
	v_add_co_u32 v43, vcc_lo, v43, s20
	v_add_co_ci_u32_e32 v44, vcc_lo, s21, v44, vcc_lo
	v_add_co_u32 v45, vcc_lo, v45, s20
	v_add_co_ci_u32_e32 v46, vcc_lo, s21, v46, vcc_lo
	v_add_co_u32 v47, vcc_lo, v47, s20
	v_add_co_ci_u32_e32 v48, vcc_lo, s21, v48, vcc_lo
	v_add_co_u32 v49, vcc_lo, v49, s20
	v_add_co_ci_u32_e32 v50, vcc_lo, s21, v50, vcc_lo
	v_add_co_u32 v51, vcc_lo, v51, s20
	v_add_co_ci_u32_e32 v52, vcc_lo, s21, v52, vcc_lo
	v_add_co_u32 v53, vcc_lo, v53, s20
	v_add_co_ci_u32_e32 v54, vcc_lo, s21, v54, vcc_lo
	v_add_co_u32 v63, vcc_lo, v63, s20
	v_add_co_ci_u32_e32 v64, vcc_lo, s21, v64, vcc_lo
	v_add_co_u32 v65, vcc_lo, v65, s20
	v_add_co_ci_u32_e32 v66, vcc_lo, s21, v66, vcc_lo
	v_add_co_u32 v67, vcc_lo, v67, s20
	v_add_co_ci_u32_e32 v68, vcc_lo, s21, v68, vcc_lo
	v_add_co_u32 v69, vcc_lo, v69, s20
	v_add_co_ci_u32_e32 v70, vcc_lo, s21, v70, vcc_lo
	v_add_co_u32 v71, vcc_lo, v71, s20
	v_add_co_ci_u32_e32 v72, vcc_lo, s21, v72, vcc_lo
	v_add_co_u32 v73, vcc_lo, v73, s20
	v_add_co_ci_u32_e32 v74, vcc_lo, s21, v74, vcc_lo
	v_add_co_u32 v75, vcc_lo, v75, s20
	v_add_co_ci_u32_e32 v76, vcc_lo, s21, v76, vcc_lo
	v_add_co_u32 v77, vcc_lo, v77, s20
	v_add_co_ci_u32_e32 v78, vcc_lo, s21, v78, vcc_lo
	v_add_co_u32 v79, vcc_lo, v79, s20
	v_add_co_ci_u32_e32 v80, vcc_lo, s21, v80, vcc_lo
	v_add_co_u32 v81, vcc_lo, v81, s20
	v_add_co_ci_u32_e32 v82, vcc_lo, s21, v82, vcc_lo
	v_add_co_u32 v83, vcc_lo, v83, s20
	v_add_co_ci_u32_e32 v84, vcc_lo, s21, v84, vcc_lo
	v_add_co_u32 v85, vcc_lo, v85, s20
	v_add_co_ci_u32_e32 v86, vcc_lo, s21, v86, vcc_lo
	v_add_co_u32 v87, vcc_lo, v87, s20
	s_add_u32 s28, s28, s15
	v_add_co_ci_u32_e32 v88, vcc_lo, s21, v88, vcc_lo
	s_addc_u32 s29, s29, 0
	v_add_co_u32 v89, vcc_lo, v89, s20
	v_add_co_ci_u32_e32 v90, vcc_lo, s21, v90, vcc_lo
	v_cmp_ge_i64_e64 s3, s[28:29], s[16:17]
	v_add_co_u32 v91, vcc_lo, v91, s20
	v_add_co_ci_u32_e32 v92, vcc_lo, s21, v92, vcc_lo
	s_add_u32 s22, s22, s15
	s_addc_u32 s23, s23, 0
	s_delay_alu instid0(VALU_DEP_3)
	s_and_b32 vcc_lo, exec_lo, s3
	s_cbranch_vccnz .LBB145_83
; %bb.82:                               ;   in Loop: Header=BB145_53 Depth=1
	v_mov_b32_e32 v93, v3
	s_branch .LBB145_53
.LBB145_83:
	s_mov_b32 s15, 0
	s_delay_alu instid0(SALU_CYCLE_1) | instskip(NEXT) | instid1(SALU_CYCLE_1)
	s_lshl_b64 s[4:5], s[14:15], 6
	v_dual_mov_b32 v2, s5 :: v_dual_and_b32 v1, 0x3ff, v0
	s_waitcnt lgkmcnt(0)
	s_cmp_lg_u64 s[24:25], 0
	s_cselect_b32 s3, -1, 0
	s_delay_alu instid0(VALU_DEP_1) | instskip(NEXT) | instid1(VALU_DEP_1)
	v_or_b32_e32 v1, s4, v1
	v_cmp_gt_i64_e32 vcc_lo, s[18:19], v[1:2]
	s_and_b32 s3, vcc_lo, s3
	s_delay_alu instid0(SALU_CYCLE_1)
	s_and_saveexec_b32 s4, s3
	s_cbranch_execz .LBB145_85
; %bb.84:
	s_load_b32 s0, s[0:1], 0x4c
	v_bfe_u32 v4, v0, 10, 10
	v_mov_b32_e32 v5, 0
	s_waitcnt lgkmcnt(0)
	s_lshr_b32 s0, s0, 16
	s_delay_alu instid0(VALU_DEP_1) | instid1(SALU_CYCLE_1)
	v_mad_u64_u32 v[6:7], null, s0, s2, v[4:5]
	s_delay_alu instid0(VALU_DEP_1) | instskip(NEXT) | instid1(VALU_DEP_2)
	v_mul_lo_u32 v0, v7, s18
	v_mul_lo_u32 v7, v6, s19
	v_mad_u64_u32 v[4:5], null, v6, s18, 0
	s_delay_alu instid0(VALU_DEP_1) | instskip(SKIP_1) | instid1(VALU_DEP_2)
	v_add3_u32 v5, v5, v7, v0
	v_lshlrev_b64 v[0:1], 2, v[1:2]
	v_lshlrev_b64 v[4:5], 2, v[4:5]
	s_delay_alu instid0(VALU_DEP_1) | instskip(NEXT) | instid1(VALU_DEP_2)
	v_add_co_u32 v2, vcc_lo, s24, v4
	v_add_co_ci_u32_e32 v4, vcc_lo, s25, v5, vcc_lo
	s_delay_alu instid0(VALU_DEP_2) | instskip(NEXT) | instid1(VALU_DEP_2)
	v_add_co_u32 v0, vcc_lo, v2, v0
	v_add_co_ci_u32_e32 v1, vcc_lo, v4, v1, vcc_lo
	global_store_b32 v[0:1], v3, off
.LBB145_85:
	s_nop 0
	s_sendmsg sendmsg(MSG_DEALLOC_VGPRS)
	s_endpgm
	.section	.rodata,"a",@progbits
	.p2align	6, 0x0
	.amdhsa_kernel _ZN2at6native12_GLOBAL__N_135GammaBetaBackwardCUDAKernelTemplateIffLj64ELj1ELj8ELb1ELb0ELb1EEEvllPKT_S5_PKT0_S8_PS3_S9_
		.amdhsa_group_segment_fixed_size 0
		.amdhsa_private_segment_fixed_size 0
		.amdhsa_kernarg_size 320
		.amdhsa_user_sgpr_count 14
		.amdhsa_user_sgpr_dispatch_ptr 0
		.amdhsa_user_sgpr_queue_ptr 0
		.amdhsa_user_sgpr_kernarg_segment_ptr 1
		.amdhsa_user_sgpr_dispatch_id 0
		.amdhsa_user_sgpr_private_segment_size 0
		.amdhsa_wavefront_size32 1
		.amdhsa_uses_dynamic_stack 0
		.amdhsa_enable_private_segment 0
		.amdhsa_system_sgpr_workgroup_id_x 1
		.amdhsa_system_sgpr_workgroup_id_y 1
		.amdhsa_system_sgpr_workgroup_id_z 0
		.amdhsa_system_sgpr_workgroup_info 0
		.amdhsa_system_vgpr_workitem_id 1
		.amdhsa_next_free_vgpr 95
		.amdhsa_next_free_sgpr 37
		.amdhsa_reserve_vcc 1
		.amdhsa_float_round_mode_32 0
		.amdhsa_float_round_mode_16_64 0
		.amdhsa_float_denorm_mode_32 3
		.amdhsa_float_denorm_mode_16_64 3
		.amdhsa_dx10_clamp 1
		.amdhsa_ieee_mode 1
		.amdhsa_fp16_overflow 0
		.amdhsa_workgroup_processor_mode 1
		.amdhsa_memory_ordered 1
		.amdhsa_forward_progress 0
		.amdhsa_shared_vgpr_count 0
		.amdhsa_exception_fp_ieee_invalid_op 0
		.amdhsa_exception_fp_denorm_src 0
		.amdhsa_exception_fp_ieee_div_zero 0
		.amdhsa_exception_fp_ieee_overflow 0
		.amdhsa_exception_fp_ieee_underflow 0
		.amdhsa_exception_fp_ieee_inexact 0
		.amdhsa_exception_int_div_zero 0
	.end_amdhsa_kernel
	.section	.text._ZN2at6native12_GLOBAL__N_135GammaBetaBackwardCUDAKernelTemplateIffLj64ELj1ELj8ELb1ELb0ELb1EEEvllPKT_S5_PKT0_S8_PS3_S9_,"axG",@progbits,_ZN2at6native12_GLOBAL__N_135GammaBetaBackwardCUDAKernelTemplateIffLj64ELj1ELj8ELb1ELb0ELb1EEEvllPKT_S5_PKT0_S8_PS3_S9_,comdat
.Lfunc_end145:
	.size	_ZN2at6native12_GLOBAL__N_135GammaBetaBackwardCUDAKernelTemplateIffLj64ELj1ELj8ELb1ELb0ELb1EEEvllPKT_S5_PKT0_S8_PS3_S9_, .Lfunc_end145-_ZN2at6native12_GLOBAL__N_135GammaBetaBackwardCUDAKernelTemplateIffLj64ELj1ELj8ELb1ELb0ELb1EEEvllPKT_S5_PKT0_S8_PS3_S9_
                                        ; -- End function
	.section	.AMDGPU.csdata,"",@progbits
; Kernel info:
; codeLenInByte = 6928
; NumSgprs: 39
; NumVgprs: 95
; ScratchSize: 0
; MemoryBound: 0
; FloatMode: 240
; IeeeMode: 1
; LDSByteSize: 0 bytes/workgroup (compile time only)
; SGPRBlocks: 4
; VGPRBlocks: 11
; NumSGPRsForWavesPerEU: 39
; NumVGPRsForWavesPerEU: 95
; Occupancy: 16
; WaveLimiterHint : 0
; COMPUTE_PGM_RSRC2:SCRATCH_EN: 0
; COMPUTE_PGM_RSRC2:USER_SGPR: 14
; COMPUTE_PGM_RSRC2:TRAP_HANDLER: 0
; COMPUTE_PGM_RSRC2:TGID_X_EN: 1
; COMPUTE_PGM_RSRC2:TGID_Y_EN: 1
; COMPUTE_PGM_RSRC2:TGID_Z_EN: 0
; COMPUTE_PGM_RSRC2:TIDIG_COMP_CNT: 1
	.section	.text._ZN2at6native12_GLOBAL__N_135GammaBetaBackwardCUDAKernelTemplateIffLj64ELj8ELj64ELb0ELb1ELb1EEEvllPKT_S5_PKT0_S8_PS3_S9_,"axG",@progbits,_ZN2at6native12_GLOBAL__N_135GammaBetaBackwardCUDAKernelTemplateIffLj64ELj8ELj64ELb0ELb1ELb1EEEvllPKT_S5_PKT0_S8_PS3_S9_,comdat
	.globl	_ZN2at6native12_GLOBAL__N_135GammaBetaBackwardCUDAKernelTemplateIffLj64ELj8ELj64ELb0ELb1ELb1EEEvllPKT_S5_PKT0_S8_PS3_S9_ ; -- Begin function _ZN2at6native12_GLOBAL__N_135GammaBetaBackwardCUDAKernelTemplateIffLj64ELj8ELj64ELb0ELb1ELb1EEEvllPKT_S5_PKT0_S8_PS3_S9_
	.p2align	8
	.type	_ZN2at6native12_GLOBAL__N_135GammaBetaBackwardCUDAKernelTemplateIffLj64ELj8ELj64ELb0ELb1ELb1EEEvllPKT_S5_PKT0_S8_PS3_S9_,@function
_ZN2at6native12_GLOBAL__N_135GammaBetaBackwardCUDAKernelTemplateIffLj64ELj8ELj64ELb0ELb1ELb1EEEvllPKT_S5_PKT0_S8_PS3_S9_: ; @_ZN2at6native12_GLOBAL__N_135GammaBetaBackwardCUDAKernelTemplateIffLj64ELj8ELj64ELb0ELb1ELb1EEEvllPKT_S5_PKT0_S8_PS3_S9_
; %bb.0:
	s_load_b128 s[4:7], s[0:1], 0x0
	s_mov_b32 s13, 0
	s_lshl_b32 s12, s15, 6
	v_bfe_u32 v7, v0, 10, 10
	s_waitcnt lgkmcnt(0)
	v_cmp_lt_i64_e64 s2, s[12:13], s[4:5]
	s_delay_alu instid0(VALU_DEP_1)
	s_and_b32 vcc_lo, exec_lo, s2
	s_cbranch_vccnz .LBB146_2
; %bb.1:
	v_bfe_u32 v1, v0, 10, 10
	s_mov_b32 s8, 0
	s_mov_b32 s9, s13
	s_branch .LBB146_3
.LBB146_2:
	s_mov_b32 s9, -1
                                        ; implicit-def: $sgpr8
                                        ; implicit-def: $vgpr1
.LBB146_3:
	s_load_b64 s[2:3], s[0:1], 0x30
	v_and_b32_e32 v6, 0x3ff, v0
	v_mov_b32_e32 v0, s8
	s_and_not1_b32 vcc_lo, exec_lo, s9
	s_cbranch_vccnz .LBB146_11
; %bb.4:
	s_clause 0x3
	s_load_b32 s15, s[0:1], 0x4c
	s_load_b32 s16, s[0:1], 0x44
	s_load_b128 s[8:11], s[0:1], 0x10
	s_load_b64 s[18:19], s[0:1], 0x28
	v_dual_mov_b32 v9, 4 :: v_dual_lshlrev_b32 v2, 3, v7
	v_dual_mov_b32 v8, 8 :: v_dual_mov_b32 v1, 0
	v_lshl_add_u32 v0, s14, 6, v6
	s_delay_alu instid0(VALU_DEP_3) | instskip(NEXT) | instid1(VALU_DEP_1)
	v_add_co_u32 v2, s1, v2, s12
	v_add_co_ci_u32_e64 v3, null, 0, 0, s1
	s_delay_alu instid0(VALU_DEP_3) | instskip(NEXT) | instid1(VALU_DEP_3)
	v_lshlrev_b64 v[15:16], 2, v[0:1]
	v_mul_lo_u32 v17, s7, v2
	v_dual_mov_b32 v10, 12 :: v_dual_mov_b32 v11, 16
	s_delay_alu instid0(VALU_DEP_4)
	v_mul_lo_u32 v18, s6, v3
	v_dual_mov_b32 v13, 24 :: v_dual_mov_b32 v14, 28
	s_waitcnt lgkmcnt(0)
	s_and_b32 s0, s15, 0xffff
	s_lshl_b32 s16, s16, 6
	v_mad_u32_u24 v4, v7, s0, v6
	v_mov_b32_e32 v12, 20
	s_mul_i32 s1, s7, s16
	s_mul_hi_u32 s15, s6, s16
	s_delay_alu instid0(VALU_DEP_2) | instskip(SKIP_3) | instid1(VALU_DEP_2)
	v_dual_mov_b32 v0, 0 :: v_dual_and_b32 v21, 31, v4
	v_mad_u64_u32 v[4:5], null, s6, v2, 0
	s_mov_b32 s17, 0
	s_add_i32 s21, s15, s1
	v_add_co_u32 v2, vcc_lo, v2, v21
	v_add_co_ci_u32_e32 v3, vcc_lo, 0, v3, vcc_lo
	s_delay_alu instid0(VALU_DEP_3) | instskip(SKIP_2) | instid1(VALU_DEP_3)
	v_add3_u32 v5, v5, v18, v17
	v_cmp_gt_u32_e64 s0, 8, v21
	s_mul_i32 s20, s6, s16
	v_lshlrev_b64 v[17:18], 2, v[2:3]
	s_lshl_b64 s[20:21], s[20:21], 2
	v_lshlrev_b64 v[19:20], 2, v[4:5]
	s_lshl_b64 s[6:7], s[6:7], 2
	s_delay_alu instid0(VALU_DEP_2) | instskip(NEXT) | instid1(VALU_DEP_3)
	v_add_co_u32 v4, vcc_lo, s18, v17
	v_add_co_ci_u32_e32 v5, vcc_lo, s19, v18, vcc_lo
	s_delay_alu instid0(VALU_DEP_3) | instskip(NEXT) | instid1(VALU_DEP_4)
	v_add_co_u32 v15, vcc_lo, v19, v15
	v_add_co_ci_u32_e32 v16, vcc_lo, v20, v16, vcc_lo
	s_lshl_b64 s[18:19], s[16:17], 2
	s_branch .LBB146_7
.LBB146_5:                              ;   in Loop: Header=BB146_7 Depth=1
	s_or_b32 exec_lo, exec_lo, s15
.LBB146_6:                              ;   in Loop: Header=BB146_7 Depth=1
	s_delay_alu instid0(SALU_CYCLE_1) | instskip(SKIP_4) | instid1(VALU_DEP_4)
	s_or_b32 exec_lo, exec_lo, s1
	v_add_co_u32 v18, vcc_lo, s8, v15
	v_add_co_ci_u32_e32 v19, vcc_lo, s9, v16, vcc_lo
	v_add_co_u32 v20, vcc_lo, s10, v15
	v_add_co_ci_u32_e32 v21, vcc_lo, s11, v16, vcc_lo
	v_add_co_u32 v22, vcc_lo, v18, s6
	s_delay_alu instid0(VALU_DEP_4) | instskip(NEXT) | instid1(VALU_DEP_4)
	v_add_co_ci_u32_e32 v23, vcc_lo, s7, v19, vcc_lo
	v_add_co_u32 v24, vcc_lo, v20, s6
	s_delay_alu instid0(VALU_DEP_4) | instskip(NEXT) | instid1(VALU_DEP_4)
	v_add_co_ci_u32_e32 v25, vcc_lo, s7, v21, vcc_lo
	v_add_co_u32 v26, vcc_lo, v22, s6
	s_delay_alu instid0(VALU_DEP_4)
	v_add_co_ci_u32_e32 v27, vcc_lo, s7, v23, vcc_lo
	global_load_b32 v28, v[18:19], off
	global_load_b32 v29, v[20:21], off
	;; [unrolled: 1-line block ×5, first 2 shown]
	v_add_co_u32 v18, vcc_lo, v24, s6
	v_add_co_ci_u32_e32 v19, vcc_lo, s7, v25, vcc_lo
	v_add_co_u32 v20, vcc_lo, v26, s6
	v_add_co_ci_u32_e32 v21, vcc_lo, s7, v27, vcc_lo
	s_delay_alu instid0(VALU_DEP_4) | instskip(NEXT) | instid1(VALU_DEP_4)
	v_add_co_u32 v22, vcc_lo, v18, s6
	v_add_co_ci_u32_e32 v23, vcc_lo, s7, v19, vcc_lo
	s_delay_alu instid0(VALU_DEP_4) | instskip(NEXT) | instid1(VALU_DEP_4)
	;; [unrolled: 3-line block ×3, first 2 shown]
	v_add_co_u32 v26, vcc_lo, v22, s6
	v_add_co_ci_u32_e32 v27, vcc_lo, s7, v23, vcc_lo
	global_load_b32 v33, v[18:19], off
	global_load_b32 v34, v[20:21], off
	;; [unrolled: 1-line block ×5, first 2 shown]
	v_add_co_u32 v18, vcc_lo, v24, s6
	v_add_co_ci_u32_e32 v19, vcc_lo, s7, v25, vcc_lo
	v_add_co_u32 v20, vcc_lo, v26, s6
	v_add_co_ci_u32_e32 v21, vcc_lo, s7, v27, vcc_lo
	s_delay_alu instid0(VALU_DEP_4) | instskip(NEXT) | instid1(VALU_DEP_4)
	v_add_co_u32 v22, vcc_lo, v18, s6
	v_add_co_ci_u32_e32 v23, vcc_lo, s7, v19, vcc_lo
	s_delay_alu instid0(VALU_DEP_4) | instskip(NEXT) | instid1(VALU_DEP_4)
	v_add_co_u32 v24, vcc_lo, v20, s6
	v_add_co_ci_u32_e32 v25, vcc_lo, s7, v21, vcc_lo
	global_load_b32 v26, v[18:19], off
	global_load_b32 v27, v[20:21], off
	global_load_b32 v38, v[22:23], off
	global_load_b32 v39, v[24:25], off
	v_add_co_u32 v18, vcc_lo, v22, s6
	v_add_co_ci_u32_e32 v19, vcc_lo, s7, v23, vcc_lo
	v_add_co_u32 v20, vcc_lo, v24, s6
	v_add_co_ci_u32_e32 v21, vcc_lo, s7, v25, vcc_lo
	global_load_b32 v18, v[18:19], off
	global_load_b32 v19, v[20:21], off
	s_waitcnt vmcnt(16)
	ds_bpermute_b32 v20, v1, v17
	ds_bpermute_b32 v21, v9, v17
	;; [unrolled: 1-line block ×4, first 2 shown]
	v_add_co_u32 v4, vcc_lo, v4, s18
	s_add_u32 s12, s12, s16
	v_add_co_ci_u32_e32 v5, vcc_lo, s19, v5, vcc_lo
	s_addc_u32 s13, s13, 0
	v_add_co_u32 v2, vcc_lo, v2, s16
	v_add_co_ci_u32_e32 v3, vcc_lo, 0, v3, vcc_lo
	v_cmp_lt_i64_e64 s1, s[12:13], s[4:5]
	v_add_co_u32 v15, vcc_lo, v15, s20
	v_add_co_ci_u32_e32 v16, vcc_lo, s21, v16, vcc_lo
	s_delay_alu instid0(VALU_DEP_3) | instskip(SKIP_3) | instid1(VALU_DEP_1)
	s_and_b32 vcc_lo, exec_lo, s1
	s_waitcnt vmcnt(14)
	v_mul_f32_e32 v23, v28, v29
	s_waitcnt lgkmcnt(3)
	v_fmac_f32_e32 v0, v23, v20
	s_waitcnt vmcnt(12)
	v_mul_f32_e32 v20, v30, v31
	ds_bpermute_b32 v23, v11, v17
	s_waitcnt lgkmcnt(3)
	v_fmac_f32_e32 v0, v20, v21
	ds_bpermute_b32 v21, v12, v17
	s_waitcnt vmcnt(10)
	v_mul_f32_e32 v20, v32, v33
	s_waitcnt lgkmcnt(3)
	s_delay_alu instid0(VALU_DEP_1)
	v_fmac_f32_e32 v0, v20, v22
	s_waitcnt vmcnt(8)
	v_mul_f32_e32 v20, v34, v35
	ds_bpermute_b32 v22, v13, v17
	ds_bpermute_b32 v17, v14, v17
	s_waitcnt lgkmcnt(4)
	v_fmac_f32_e32 v0, v20, v24
	s_waitcnt vmcnt(6)
	v_mul_f32_e32 v20, v36, v37
	s_waitcnt lgkmcnt(3)
	s_delay_alu instid0(VALU_DEP_1) | instskip(SKIP_3) | instid1(VALU_DEP_1)
	v_fmac_f32_e32 v0, v20, v23
	s_waitcnt vmcnt(4)
	v_mul_f32_e32 v20, v26, v27
	s_waitcnt lgkmcnt(2)
	v_fmac_f32_e32 v0, v20, v21
	s_waitcnt vmcnt(2)
	v_mul_f32_e32 v20, v38, v39
	s_waitcnt lgkmcnt(1)
	s_delay_alu instid0(VALU_DEP_1) | instskip(SKIP_3) | instid1(VALU_DEP_1)
	v_fmac_f32_e32 v0, v20, v22
	s_waitcnt vmcnt(0)
	v_mul_f32_e32 v18, v18, v19
	s_waitcnt lgkmcnt(0)
	v_fmac_f32_e32 v0, v18, v17
	s_cbranch_vccz .LBB146_10
.LBB146_7:                              ; =>This Inner Loop Header: Depth=1
	v_mov_b32_e32 v17, 0
	s_and_saveexec_b32 s1, s0
	s_cbranch_execz .LBB146_6
; %bb.8:                                ;   in Loop: Header=BB146_7 Depth=1
	v_mov_b32_e32 v17, 0
	s_mov_b32 s15, exec_lo
	v_cmpx_gt_i64_e64 s[4:5], v[2:3]
	s_cbranch_execz .LBB146_5
; %bb.9:                                ;   in Loop: Header=BB146_7 Depth=1
	global_load_b32 v17, v[4:5], off
	s_branch .LBB146_5
.LBB146_10:
	v_mov_b32_e32 v1, v7
.LBB146_11:
	s_delay_alu instid0(VALU_DEP_1) | instskip(SKIP_3) | instid1(VALU_DEP_2)
	v_mad_u32_u24 v2, 0x41, v1, v6
	v_mov_b32_e32 v3, 0
	s_mov_b32 s15, 0
	s_mov_b32 s0, exec_lo
	v_sub_nc_u32_e32 v1, v2, v1
	v_lshl_add_u32 v2, v2, 2, 0
	ds_store_b32 v2, v0
	ds_store_b32 v2, v3 offset:2080
	s_waitcnt lgkmcnt(0)
	s_barrier
	buffer_gl0_inv
	v_cmpx_gt_u32_e32 0x800, v1
	s_cbranch_execz .LBB146_18
; %bb.12:
	v_mbcnt_lo_u32_b32 v2, -1, 0
	v_cmp_eq_u32_e64 s0, 0, v6
	s_cmp_lg_u64 s[2:3], 0
	v_and_b32_e32 v0, 31, v6
	s_cselect_b32 s1, -1, 0
	v_xor_b32_e32 v3, 4, v2
	v_xor_b32_e32 v4, 2, v2
	s_and_b32 s4, s0, s1
	v_xor_b32_e32 v5, 1, v2
	v_lshrrev_b32_e32 v1, 5, v1
	v_cmp_gt_i32_e64 s0, 32, v3
	v_cmp_gt_u32_e32 vcc_lo, 8, v0
	v_mul_u32_u24_e32 v0, 0x104, v0
	s_delay_alu instid0(VALU_DEP_4) | instskip(NEXT) | instid1(VALU_DEP_4)
	v_lshlrev_b32_e32 v7, 2, v1
	v_cndmask_b32_e64 v3, v2, v3, s0
	v_cmp_gt_i32_e64 s0, 32, v4
	v_add_nc_u32_e32 v6, -16, v1
	s_delay_alu instid0(VALU_DEP_2) | instskip(SKIP_1) | instid1(VALU_DEP_1)
	v_cndmask_b32_e64 v4, v2, v4, s0
	v_cmp_gt_i32_e64 s0, 32, v5
	v_cndmask_b32_e64 v5, v2, v5, s0
	s_lshl_b64 s[0:1], s[14:15], 8
	v_lshlrev_b32_e32 v2, 2, v3
	s_add_u32 s0, s2, s0
	v_lshlrev_b32_e32 v3, 2, v4
	v_lshlrev_b32_e32 v4, 2, v5
	v_add3_u32 v5, v0, v7, 0
	s_addc_u32 s1, s3, s1
	v_add_co_u32 v0, s0, s0, v7
	s_delay_alu instid0(VALU_DEP_1)
	v_add_co_ci_u32_e64 v1, null, s1, 0, s0
                                        ; implicit-def: $vgpr7
	s_set_inst_prefetch_distance 0x1
	s_branch .LBB146_14
	.p2align	6
.LBB146_13:                             ;   in Loop: Header=BB146_14 Depth=1
	s_or_b32 exec_lo, exec_lo, s0
	v_add_nc_u32_e32 v6, 16, v6
	v_add_co_u32 v0, s1, v0, 64
	v_add_nc_u32_e32 v5, 64, v5
	v_add_co_ci_u32_e64 v1, s1, 0, v1, s1
	s_delay_alu instid0(VALU_DEP_4) | instskip(NEXT) | instid1(VALU_DEP_1)
	v_cmp_lt_u32_e64 s0, 47, v6
	s_or_b32 s15, s0, s15
	s_delay_alu instid0(SALU_CYCLE_1)
	s_and_not1_b32 exec_lo, exec_lo, s15
	s_cbranch_execz .LBB146_18
.LBB146_14:                             ; =>This Inner Loop Header: Depth=1
	s_and_saveexec_b32 s0, vcc_lo
	s_cbranch_execz .LBB146_16
; %bb.15:                               ;   in Loop: Header=BB146_14 Depth=1
	ds_load_b32 v7, v5
.LBB146_16:                             ;   in Loop: Header=BB146_14 Depth=1
	s_or_b32 exec_lo, exec_lo, s0
	s_waitcnt lgkmcnt(0)
	ds_bpermute_b32 v8, v2, v7
	s_waitcnt lgkmcnt(0)
	v_add_f32_e32 v7, v7, v8
	ds_bpermute_b32 v8, v3, v7
	s_waitcnt lgkmcnt(0)
	v_add_f32_e32 v7, v7, v8
	;; [unrolled: 3-line block ×3, first 2 shown]
	s_and_saveexec_b32 s0, s4
	s_cbranch_execz .LBB146_13
; %bb.17:                               ;   in Loop: Header=BB146_14 Depth=1
	global_store_b32 v[0:1], v7, off
	s_branch .LBB146_13
.LBB146_18:
	s_set_inst_prefetch_distance 0x2
	s_nop 0
	s_sendmsg sendmsg(MSG_DEALLOC_VGPRS)
	s_endpgm
	.section	.rodata,"a",@progbits
	.p2align	6, 0x0
	.amdhsa_kernel _ZN2at6native12_GLOBAL__N_135GammaBetaBackwardCUDAKernelTemplateIffLj64ELj8ELj64ELb0ELb1ELb1EEEvllPKT_S5_PKT0_S8_PS3_S9_
		.amdhsa_group_segment_fixed_size 0
		.amdhsa_private_segment_fixed_size 0
		.amdhsa_kernarg_size 320
		.amdhsa_user_sgpr_count 14
		.amdhsa_user_sgpr_dispatch_ptr 0
		.amdhsa_user_sgpr_queue_ptr 0
		.amdhsa_user_sgpr_kernarg_segment_ptr 1
		.amdhsa_user_sgpr_dispatch_id 0
		.amdhsa_user_sgpr_private_segment_size 0
		.amdhsa_wavefront_size32 1
		.amdhsa_uses_dynamic_stack 0
		.amdhsa_enable_private_segment 0
		.amdhsa_system_sgpr_workgroup_id_x 1
		.amdhsa_system_sgpr_workgroup_id_y 1
		.amdhsa_system_sgpr_workgroup_id_z 0
		.amdhsa_system_sgpr_workgroup_info 0
		.amdhsa_system_vgpr_workitem_id 1
		.amdhsa_next_free_vgpr 40
		.amdhsa_next_free_sgpr 22
		.amdhsa_reserve_vcc 1
		.amdhsa_float_round_mode_32 0
		.amdhsa_float_round_mode_16_64 0
		.amdhsa_float_denorm_mode_32 3
		.amdhsa_float_denorm_mode_16_64 3
		.amdhsa_dx10_clamp 1
		.amdhsa_ieee_mode 1
		.amdhsa_fp16_overflow 0
		.amdhsa_workgroup_processor_mode 1
		.amdhsa_memory_ordered 1
		.amdhsa_forward_progress 0
		.amdhsa_shared_vgpr_count 0
		.amdhsa_exception_fp_ieee_invalid_op 0
		.amdhsa_exception_fp_denorm_src 0
		.amdhsa_exception_fp_ieee_div_zero 0
		.amdhsa_exception_fp_ieee_overflow 0
		.amdhsa_exception_fp_ieee_underflow 0
		.amdhsa_exception_fp_ieee_inexact 0
		.amdhsa_exception_int_div_zero 0
	.end_amdhsa_kernel
	.section	.text._ZN2at6native12_GLOBAL__N_135GammaBetaBackwardCUDAKernelTemplateIffLj64ELj8ELj64ELb0ELb1ELb1EEEvllPKT_S5_PKT0_S8_PS3_S9_,"axG",@progbits,_ZN2at6native12_GLOBAL__N_135GammaBetaBackwardCUDAKernelTemplateIffLj64ELj8ELj64ELb0ELb1ELb1EEEvllPKT_S5_PKT0_S8_PS3_S9_,comdat
.Lfunc_end146:
	.size	_ZN2at6native12_GLOBAL__N_135GammaBetaBackwardCUDAKernelTemplateIffLj64ELj8ELj64ELb0ELb1ELb1EEEvllPKT_S5_PKT0_S8_PS3_S9_, .Lfunc_end146-_ZN2at6native12_GLOBAL__N_135GammaBetaBackwardCUDAKernelTemplateIffLj64ELj8ELj64ELb0ELb1ELb1EEEvllPKT_S5_PKT0_S8_PS3_S9_
                                        ; -- End function
	.section	.AMDGPU.csdata,"",@progbits
; Kernel info:
; codeLenInByte = 1508
; NumSgprs: 24
; NumVgprs: 40
; ScratchSize: 0
; MemoryBound: 0
; FloatMode: 240
; IeeeMode: 1
; LDSByteSize: 0 bytes/workgroup (compile time only)
; SGPRBlocks: 2
; VGPRBlocks: 4
; NumSGPRsForWavesPerEU: 24
; NumVGPRsForWavesPerEU: 40
; Occupancy: 16
; WaveLimiterHint : 0
; COMPUTE_PGM_RSRC2:SCRATCH_EN: 0
; COMPUTE_PGM_RSRC2:USER_SGPR: 14
; COMPUTE_PGM_RSRC2:TRAP_HANDLER: 0
; COMPUTE_PGM_RSRC2:TGID_X_EN: 1
; COMPUTE_PGM_RSRC2:TGID_Y_EN: 1
; COMPUTE_PGM_RSRC2:TGID_Z_EN: 0
; COMPUTE_PGM_RSRC2:TIDIG_COMP_CNT: 1
	.section	.text._ZN2at6native12_GLOBAL__N_135GammaBetaBackwardCUDAKernelTemplateIffLj64ELj8ELj64ELb0ELb0ELb1EEEvllPKT_S5_PKT0_S8_PS3_S9_,"axG",@progbits,_ZN2at6native12_GLOBAL__N_135GammaBetaBackwardCUDAKernelTemplateIffLj64ELj8ELj64ELb0ELb0ELb1EEEvllPKT_S5_PKT0_S8_PS3_S9_,comdat
	.globl	_ZN2at6native12_GLOBAL__N_135GammaBetaBackwardCUDAKernelTemplateIffLj64ELj8ELj64ELb0ELb0ELb1EEEvllPKT_S5_PKT0_S8_PS3_S9_ ; -- Begin function _ZN2at6native12_GLOBAL__N_135GammaBetaBackwardCUDAKernelTemplateIffLj64ELj8ELj64ELb0ELb0ELb1EEEvllPKT_S5_PKT0_S8_PS3_S9_
	.p2align	8
	.type	_ZN2at6native12_GLOBAL__N_135GammaBetaBackwardCUDAKernelTemplateIffLj64ELj8ELj64ELb0ELb0ELb1EEEvllPKT_S5_PKT0_S8_PS3_S9_,@function
_ZN2at6native12_GLOBAL__N_135GammaBetaBackwardCUDAKernelTemplateIffLj64ELj8ELj64ELb0ELb0ELb1EEEvllPKT_S5_PKT0_S8_PS3_S9_: ; @_ZN2at6native12_GLOBAL__N_135GammaBetaBackwardCUDAKernelTemplateIffLj64ELj8ELj64ELb0ELb0ELb1EEEvllPKT_S5_PKT0_S8_PS3_S9_
; %bb.0:
	s_clause 0x1
	s_load_b256 s[4:11], s[0:1], 0x0
	s_load_b64 s[12:13], s[0:1], 0x28
	s_lshl_b32 s33, s14, 6
	s_mov_b32 s25, 0
	s_or_b32 s24, s33, 63
	s_waitcnt lgkmcnt(0)
	v_cmp_ge_i64_e64 s2, s[24:25], s[6:7]
	s_lshl_b32 s24, s15, 6
	s_delay_alu instid0(SALU_CYCLE_1) | instskip(NEXT) | instid1(VALU_DEP_2)
	v_cmp_lt_i64_e64 s15, s[24:25], s[4:5]
	s_and_b32 vcc_lo, exec_lo, s2
	s_delay_alu instid0(VALU_DEP_1) | instskip(NEXT) | instid1(VALU_DEP_1)
	v_cndmask_b32_e64 v1, 0, 1, s15
	v_cmp_ne_u32_e64 s2, 1, v1
	s_cbranch_vccz .LBB147_49
; %bb.1:
	v_mov_b32_e32 v1, 0
	s_delay_alu instid0(VALU_DEP_2)
	s_and_b32 vcc_lo, exec_lo, s2
	s_cbranch_vccnz .LBB147_50
; %bb.2:
	v_bfe_u32 v27, v0, 10, 10
	s_load_b32 s3, s[0:1], 0x44
	v_dual_mov_b32 v2, 0 :: v_dual_and_b32 v29, 0x3ff, v0
	s_add_u32 s26, s0, 64
	s_delay_alu instid0(VALU_DEP_2) | instskip(NEXT) | instid1(VALU_DEP_2)
	v_lshlrev_b32_e32 v28, 3, v27
	v_dual_mov_b32 v62, 0 :: v_dual_add_nc_u32 v1, s33, v29
	s_addc_u32 s27, s1, 0
	s_mov_b32 s16, 0
	s_delay_alu instid0(VALU_DEP_2) | instskip(NEXT) | instid1(VALU_DEP_1)
	v_add_co_u32 v9, s2, v28, s24
	v_add_co_ci_u32_e64 v10, null, 0, 0, s2
	v_cmp_gt_i64_e64 s2, s[6:7], v[1:2]
	s_delay_alu instid0(VALU_DEP_3) | instskip(NEXT) | instid1(VALU_DEP_3)
	v_add_co_u32 v5, vcc_lo, v9, 7
	v_add_co_ci_u32_e32 v3, vcc_lo, 0, v10, vcc_lo
	v_add_co_u32 v8, vcc_lo, v9, 6
	s_delay_alu instid0(VALU_DEP_3) | instskip(NEXT) | instid1(VALU_DEP_3)
	v_mul_lo_u32 v6, s7, v5
	v_mul_lo_u32 v7, s6, v3
	v_mad_u64_u32 v[3:4], null, s6, v5, 0
	v_add_co_ci_u32_e32 v5, vcc_lo, 0, v10, vcc_lo
	v_lshlrev_b64 v[25:26], 2, v[1:2]
	v_mul_lo_u32 v1, s7, v8
	s_waitcnt lgkmcnt(0)
	s_lshl_b32 s36, s3, 6
	s_mov_b64 s[34:35], s[24:25]
	s_delay_alu instid0(VALU_DEP_4) | instskip(SKIP_3) | instid1(VALU_DEP_3)
	v_add3_u32 v4, v4, v7, v6
	v_mul_lo_u32 v7, s6, v5
	v_mad_u64_u32 v[5:6], null, s6, v8, 0
	s_mul_i32 s3, s7, s36
	v_lshlrev_b64 v[3:4], 2, v[3:4]
	s_mul_hi_u32 s17, s6, s36
	s_mul_i32 s18, s6, s36
	s_add_i32 s19, s17, s3
	s_delay_alu instid0(VALU_DEP_2) | instskip(NEXT) | instid1(VALU_DEP_2)
	v_add3_u32 v6, v6, v7, v1
	v_add_co_u32 v30, vcc_lo, s8, v3
	v_add_co_ci_u32_e32 v31, vcc_lo, s9, v4, vcc_lo
	v_add_co_u32 v1, vcc_lo, v9, 5
	v_add_co_u32 v32, s3, s10, v3
	s_delay_alu instid0(VALU_DEP_1) | instskip(SKIP_4) | instid1(VALU_DEP_3)
	v_add_co_ci_u32_e64 v33, s3, s11, v4, s3
	v_lshlrev_b64 v[3:4], 2, v[5:6]
	v_add_co_ci_u32_e32 v5, vcc_lo, 0, v10, vcc_lo
	v_add_co_u32 v12, vcc_lo, v9, 4
	v_mul_lo_u32 v11, s7, v1
	v_mul_lo_u32 v13, s6, v5
	v_mad_u64_u32 v[5:6], null, s6, v1, 0
	v_add_co_ci_u32_e32 v7, vcc_lo, 0, v10, vcc_lo
	v_mul_lo_u32 v1, s7, v12
	v_add_co_u32 v34, vcc_lo, s8, v3
	s_delay_alu instid0(VALU_DEP_3)
	v_mul_lo_u32 v14, s6, v7
	v_mad_u64_u32 v[7:8], null, s6, v12, 0
	v_add3_u32 v6, v6, v13, v11
	v_add_co_ci_u32_e32 v35, vcc_lo, s9, v4, vcc_lo
	v_add_co_u32 v36, vcc_lo, s10, v3
	v_add_co_ci_u32_e32 v37, vcc_lo, s11, v4, vcc_lo
	s_delay_alu instid0(VALU_DEP_4) | instskip(SKIP_3) | instid1(VALU_DEP_4)
	v_lshlrev_b64 v[3:4], 2, v[5:6]
	v_add3_u32 v8, v8, v14, v1
	v_add_co_u32 v1, vcc_lo, v9, 3
	v_add_co_ci_u32_e32 v11, vcc_lo, 0, v10, vcc_lo
	v_add_co_u32 v38, vcc_lo, s8, v3
	s_delay_alu instid0(VALU_DEP_4)
	v_lshlrev_b64 v[5:6], 2, v[7:8]
	v_add_co_ci_u32_e32 v39, vcc_lo, s9, v4, vcc_lo
	v_mul_lo_u32 v12, s7, v1
	v_mul_lo_u32 v11, s6, v11
	v_mad_u64_u32 v[7:8], null, s6, v1, 0
	v_add_co_u32 v40, vcc_lo, s10, v3
	v_add_co_ci_u32_e32 v41, vcc_lo, s11, v4, vcc_lo
	v_add_co_u32 v42, vcc_lo, s8, v5
	v_add_co_ci_u32_e32 v43, vcc_lo, s9, v6, vcc_lo
	v_add_co_u32 v1, vcc_lo, v9, 2
	v_add3_u32 v8, v8, v11, v12
	v_add_co_ci_u32_e32 v11, vcc_lo, 0, v10, vcc_lo
	v_add_co_u32 v44, vcc_lo, s10, v5
	v_add_co_ci_u32_e32 v45, vcc_lo, s11, v6, vcc_lo
	v_mul_lo_u32 v12, s7, v1
	s_delay_alu instid0(VALU_DEP_4)
	v_mul_lo_u32 v11, s6, v11
	v_mad_u64_u32 v[5:6], null, s6, v1, 0
	v_lshlrev_b64 v[3:4], 2, v[7:8]
	v_mul_lo_u32 v1, s7, v9
	v_mul_lo_u32 v10, s6, v10
	v_mad_u64_u32 v[7:8], null, s6, v9, 0
	s_lshl_b64 s[28:29], s[18:19], 2
	s_delay_alu instid0(VALU_DEP_4)
	v_add_co_u32 v46, vcc_lo, s8, v3
	v_add3_u32 v6, v6, v11, v12
	v_add_co_ci_u32_e32 v47, vcc_lo, s9, v4, vcc_lo
	v_add_co_u32 v48, vcc_lo, s10, v3
	v_add3_u32 v8, v8, v10, v1
	v_add_co_ci_u32_e32 v49, vcc_lo, s11, v4, vcc_lo
	v_lshlrev_b64 v[3:4], 2, v[5:6]
	v_add_co_u32 v5, vcc_lo, v7, s6
	s_delay_alu instid0(VALU_DEP_4) | instskip(SKIP_1) | instid1(VALU_DEP_3)
	v_add_co_ci_u32_e32 v6, vcc_lo, s7, v8, vcc_lo
	s_add_u32 s30, s24, 63
	v_add_co_u32 v50, vcc_lo, s8, v3
	s_delay_alu instid0(VALU_DEP_2) | instskip(SKIP_3) | instid1(VALU_DEP_4)
	v_lshlrev_b64 v[5:6], 2, v[5:6]
	v_add_co_ci_u32_e32 v51, vcc_lo, s9, v4, vcc_lo
	v_add_co_u32 v52, vcc_lo, s10, v3
	v_add_co_ci_u32_e32 v53, vcc_lo, s11, v4, vcc_lo
	v_add_co_u32 v54, vcc_lo, s8, v5
	v_lshlrev_b64 v[3:4], 2, v[7:8]
	v_add_co_ci_u32_e32 v55, vcc_lo, s9, v6, vcc_lo
	v_add_co_u32 v56, vcc_lo, s10, v5
	v_add_co_ci_u32_e32 v57, vcc_lo, s11, v6, vcc_lo
	s_delay_alu instid0(VALU_DEP_4)
	v_add_co_u32 v58, vcc_lo, s8, v3
	v_add_co_ci_u32_e32 v59, vcc_lo, s9, v4, vcc_lo
	v_add_co_u32 v60, vcc_lo, s10, v3
	v_add_co_ci_u32_e32 v61, vcc_lo, s11, v4, vcc_lo
	s_addc_u32 s31, 0, 0
.LBB147_3:                              ; =>This Inner Loop Header: Depth=1
	s_delay_alu instid0(SALU_CYCLE_1) | instskip(SKIP_1) | instid1(VALU_DEP_1)
	v_cmp_ge_i64_e64 s3, s[30:31], s[4:5]
	v_add_co_u32 v63, s17, v28, s30
	v_add_co_ci_u32_e64 v64, null, 0, s31, s17
	s_delay_alu instid0(VALU_DEP_3)
	s_and_b32 vcc_lo, exec_lo, s3
	s_cbranch_vccz .LBB147_25
; %bb.4:                                ;   in Loop: Header=BB147_3 Depth=1
	s_load_b32 s3, s[26:27], 0xc
	v_mov_b32_e32 v65, 0
	s_waitcnt lgkmcnt(0)
	s_and_b32 s3, s3, 0xffff
	s_delay_alu instid0(SALU_CYCLE_1) | instskip(SKIP_1) | instid1(VALU_DEP_1)
	v_mad_u32_u24 v1, v27, s3, v29
	s_mov_b32 s3, exec_lo
	v_and_b32_e32 v1, 31, v1
	s_delay_alu instid0(VALU_DEP_1)
	v_cmpx_gt_u32_e32 8, v1
	s_cbranch_execz .LBB147_8
; %bb.5:                                ;   in Loop: Header=BB147_3 Depth=1
	v_add_co_u32 v1, vcc_lo, v63, v1
	v_add_co_ci_u32_e32 v4, vcc_lo, 0, v64, vcc_lo
	v_mov_b32_e32 v65, 0
	s_delay_alu instid0(VALU_DEP_3) | instskip(NEXT) | instid1(VALU_DEP_3)
	v_add_co_u32 v3, vcc_lo, 0xffffffc1, v1
	v_add_co_ci_u32_e32 v4, vcc_lo, -1, v4, vcc_lo
	s_mov_b32 s17, exec_lo
	s_delay_alu instid0(VALU_DEP_1)
	v_cmpx_gt_i64_e64 s[4:5], v[3:4]
	s_cbranch_execz .LBB147_7
; %bb.6:                                ;   in Loop: Header=BB147_3 Depth=1
	v_lshlrev_b64 v[3:4], 2, v[3:4]
	s_delay_alu instid0(VALU_DEP_1) | instskip(NEXT) | instid1(VALU_DEP_2)
	v_add_co_u32 v3, vcc_lo, s12, v3
	v_add_co_ci_u32_e32 v4, vcc_lo, s13, v4, vcc_lo
	global_load_b32 v65, v[3:4], off
.LBB147_7:                              ;   in Loop: Header=BB147_3 Depth=1
	s_or_b32 exec_lo, exec_lo, s17
.LBB147_8:                              ;   in Loop: Header=BB147_3 Depth=1
	s_delay_alu instid0(SALU_CYCLE_1)
	s_or_b32 exec_lo, exec_lo, s3
	v_add_co_u32 v3, vcc_lo, 0xffffffc1, v63
	v_add_co_ci_u32_e32 v4, vcc_lo, -1, v64, vcc_lo
	s_mov_b32 s22, s16
	s_mov_b32 s23, s16
	;; [unrolled: 1-line block ×7, first 2 shown]
	v_dual_mov_b32 v9, s16 :: v_dual_mov_b32 v10, s17
	v_dual_mov_b32 v15, s22 :: v_dual_mov_b32 v16, s23
	;; [unrolled: 1-line block ×4, first 2 shown]
	v_cmp_gt_i64_e32 vcc_lo, s[4:5], v[3:4]
	s_delay_alu instid0(VALU_DEP_4) | instskip(NEXT) | instid1(VALU_DEP_3)
	v_dual_mov_b32 v24, v16 :: v_dual_mov_b32 v23, v15
	v_dual_mov_b32 v21, v13 :: v_dual_mov_b32 v22, v14
	;; [unrolled: 1-line block ×4, first 2 shown]
	s_and_b32 s17, s2, vcc_lo
	s_delay_alu instid0(SALU_CYCLE_1)
	s_and_saveexec_b32 s3, s17
	s_cbranch_execz .LBB147_10
; %bb.9:                                ;   in Loop: Header=BB147_3 Depth=1
	v_add_co_u32 v3, vcc_lo, v58, v25
	v_add_co_ci_u32_e32 v4, vcc_lo, v59, v26, vcc_lo
	v_mov_b32_e32 v8, v2
	v_mov_b32_e32 v5, v2
	;; [unrolled: 1-line block ×3, first 2 shown]
	global_load_b32 v1, v[3:4], off
	v_add_co_u32 v3, vcc_lo, v60, v25
	v_add_co_ci_u32_e32 v4, vcc_lo, v61, v26, vcc_lo
	v_mov_b32_e32 v7, v2
	v_mov_b32_e32 v15, v2
	global_load_b32 v9, v[3:4], off
	v_mov_b32_e32 v3, v2
	v_mov_b32_e32 v4, v2
	s_waitcnt vmcnt(1)
	v_dual_mov_b32 v11, v2 :: v_dual_mov_b32 v24, v8
	v_dual_mov_b32 v10, v2 :: v_dual_mov_b32 v23, v7
	;; [unrolled: 1-line block ×5, first 2 shown]
	v_mov_b32_e32 v16, v2
	v_mov_b32_e32 v22, v6
	v_dual_mov_b32 v18, v2 :: v_dual_mov_b32 v17, v1
.LBB147_10:                             ;   in Loop: Header=BB147_3 Depth=1
	s_or_b32 exec_lo, exec_lo, s3
	v_add_co_u32 v3, vcc_lo, 0xffffffc2, v63
	v_add_co_ci_u32_e32 v4, vcc_lo, -1, v64, vcc_lo
	s_delay_alu instid0(VALU_DEP_1) | instskip(SKIP_1) | instid1(SALU_CYCLE_1)
	v_cmp_gt_i64_e32 vcc_lo, s[4:5], v[3:4]
	s_and_b32 s17, s2, vcc_lo
	s_and_saveexec_b32 s3, s17
	s_cbranch_execz .LBB147_12
; %bb.11:                               ;   in Loop: Header=BB147_3 Depth=1
	v_add_co_u32 v3, vcc_lo, v54, v25
	v_add_co_ci_u32_e32 v4, vcc_lo, v55, v26, vcc_lo
	v_add_co_u32 v5, vcc_lo, v56, v25
	v_add_co_ci_u32_e32 v6, vcc_lo, v57, v26, vcc_lo
	global_load_b32 v18, v[3:4], off
	global_load_b32 v10, v[5:6], off
.LBB147_12:                             ;   in Loop: Header=BB147_3 Depth=1
	s_or_b32 exec_lo, exec_lo, s3
	v_add_co_u32 v3, vcc_lo, 0xffffffc3, v63
	v_add_co_ci_u32_e32 v4, vcc_lo, -1, v64, vcc_lo
	s_delay_alu instid0(VALU_DEP_1) | instskip(SKIP_1) | instid1(SALU_CYCLE_1)
	v_cmp_gt_i64_e32 vcc_lo, s[4:5], v[3:4]
	s_and_b32 s17, s2, vcc_lo
	s_and_saveexec_b32 s3, s17
	s_cbranch_execz .LBB147_14
; %bb.13:                               ;   in Loop: Header=BB147_3 Depth=1
	v_add_co_u32 v3, vcc_lo, v50, v25
	v_add_co_ci_u32_e32 v4, vcc_lo, v51, v26, vcc_lo
	v_add_co_u32 v5, vcc_lo, v52, v25
	v_add_co_ci_u32_e32 v6, vcc_lo, v53, v26, vcc_lo
	global_load_b32 v19, v[3:4], off
	global_load_b32 v11, v[5:6], off
.LBB147_14:                             ;   in Loop: Header=BB147_3 Depth=1
	;; [unrolled: 16-line block ×7, first 2 shown]
	s_or_b32 exec_lo, exec_lo, s3
	s_waitcnt vmcnt(0)
	ds_bpermute_b32 v1, v2, v65
	ds_bpermute_b32 v3, v2, v65 offset:4
	ds_bpermute_b32 v4, v2, v65 offset:8
	v_mul_f32_e32 v5, v9, v17
	ds_bpermute_b32 v6, v2, v65 offset:12
	v_mul_f32_e32 v7, v10, v18
	ds_bpermute_b32 v8, v2, v65 offset:16
	ds_bpermute_b32 v9, v2, v65 offset:20
	s_waitcnt lgkmcnt(5)
	v_fma_f32 v1, v5, v1, v62
	v_mul_f32_e32 v5, v11, v19
	s_waitcnt lgkmcnt(4)
	s_delay_alu instid0(VALU_DEP_2) | instskip(SKIP_2) | instid1(VALU_DEP_2)
	v_fmac_f32_e32 v1, v7, v3
	v_mul_f32_e32 v3, v12, v20
	s_waitcnt lgkmcnt(3)
	v_fmac_f32_e32 v1, v5, v4
	ds_bpermute_b32 v4, v2, v65 offset:24
	v_mul_f32_e32 v5, v13, v21
	s_waitcnt lgkmcnt(3)
	v_fmac_f32_e32 v1, v3, v6
	v_mul_f32_e32 v6, v14, v22
	ds_bpermute_b32 v3, v2, v65 offset:28
	s_waitcnt lgkmcnt(3)
	v_fmac_f32_e32 v1, v5, v8
	v_mul_f32_e32 v5, v15, v23
	s_waitcnt lgkmcnt(2)
	s_delay_alu instid0(VALU_DEP_2) | instskip(SKIP_1) | instid1(VALU_DEP_1)
	v_fmac_f32_e32 v1, v6, v9
	s_waitcnt lgkmcnt(1)
	v_fmac_f32_e32 v1, v5, v4
	s_branch .LBB147_40
.LBB147_25:                             ;   in Loop: Header=BB147_3 Depth=1
                                        ; implicit-def: $vgpr1
                                        ; implicit-def: $vgpr9_vgpr10_vgpr11_vgpr12_vgpr13_vgpr14_vgpr15_vgpr16
                                        ; implicit-def: $vgpr17_vgpr18_vgpr19_vgpr20_vgpr21_vgpr22_vgpr23_vgpr24
                                        ; implicit-def: $vgpr3
	s_cbranch_execz .LBB147_40
; %bb.26:                               ;   in Loop: Header=BB147_3 Depth=1
	s_load_b32 s3, s[26:27], 0x0
	v_mov_b32_e32 v65, 0
	s_waitcnt lgkmcnt(0)
	s_cmp_lt_u32 s14, s3
	s_cselect_b32 s3, 12, 18
	s_delay_alu instid0(SALU_CYCLE_1)
	s_add_u32 s18, s26, s3
	s_addc_u32 s19, s27, 0
	s_mov_b32 s3, exec_lo
	global_load_u16 v1, v2, s[18:19]
	s_waitcnt vmcnt(0)
	v_mad_u32_u24 v1, v27, v1, v29
	s_delay_alu instid0(VALU_DEP_1) | instskip(NEXT) | instid1(VALU_DEP_1)
	v_and_b32_e32 v1, 31, v1
	v_cmpx_gt_u32_e32 8, v1
	s_cbranch_execz .LBB147_30
; %bb.27:                               ;   in Loop: Header=BB147_3 Depth=1
	v_add_co_u32 v1, vcc_lo, v63, v1
	v_add_co_ci_u32_e32 v4, vcc_lo, 0, v64, vcc_lo
	v_mov_b32_e32 v65, 0
	s_delay_alu instid0(VALU_DEP_3) | instskip(NEXT) | instid1(VALU_DEP_3)
	v_add_co_u32 v3, vcc_lo, 0xffffffc1, v1
	v_add_co_ci_u32_e32 v4, vcc_lo, -1, v4, vcc_lo
	s_mov_b32 s17, exec_lo
	s_delay_alu instid0(VALU_DEP_1)
	v_cmpx_gt_i64_e64 s[4:5], v[3:4]
	s_cbranch_execz .LBB147_29
; %bb.28:                               ;   in Loop: Header=BB147_3 Depth=1
	v_lshlrev_b64 v[3:4], 2, v[3:4]
	s_delay_alu instid0(VALU_DEP_1) | instskip(NEXT) | instid1(VALU_DEP_2)
	v_add_co_u32 v3, vcc_lo, s12, v3
	v_add_co_ci_u32_e32 v4, vcc_lo, s13, v4, vcc_lo
	global_load_b32 v65, v[3:4], off
.LBB147_29:                             ;   in Loop: Header=BB147_3 Depth=1
	s_or_b32 exec_lo, exec_lo, s17
.LBB147_30:                             ;   in Loop: Header=BB147_3 Depth=1
	s_delay_alu instid0(SALU_CYCLE_1)
	s_or_b32 exec_lo, exec_lo, s3
	s_mov_b32 s22, s16
	s_mov_b32 s23, s16
	;; [unrolled: 1-line block ×7, first 2 shown]
	v_dual_mov_b32 v9, s16 :: v_dual_mov_b32 v10, s17
	v_dual_mov_b32 v15, s22 :: v_dual_mov_b32 v16, s23
	;; [unrolled: 1-line block ×4, first 2 shown]
	s_delay_alu instid0(VALU_DEP_3) | instskip(NEXT) | instid1(VALU_DEP_3)
	v_dual_mov_b32 v24, v16 :: v_dual_mov_b32 v23, v15
	v_dual_mov_b32 v20, v12 :: v_dual_mov_b32 v19, v11
	s_delay_alu instid0(VALU_DEP_3)
	v_dual_mov_b32 v22, v14 :: v_dual_mov_b32 v21, v13
	v_dual_mov_b32 v18, v10 :: v_dual_mov_b32 v17, v9
	s_and_saveexec_b32 s3, s2
	s_cbranch_execnz .LBB147_42
; %bb.31:                               ;   in Loop: Header=BB147_3 Depth=1
	s_or_b32 exec_lo, exec_lo, s3
	s_and_saveexec_b32 s3, s2
	s_cbranch_execnz .LBB147_43
.LBB147_32:                             ;   in Loop: Header=BB147_3 Depth=1
	s_or_b32 exec_lo, exec_lo, s3
	s_and_saveexec_b32 s3, s2
	s_cbranch_execnz .LBB147_44
.LBB147_33:                             ;   in Loop: Header=BB147_3 Depth=1
	s_or_b32 exec_lo, exec_lo, s3
	s_and_saveexec_b32 s3, s2
	s_cbranch_execnz .LBB147_45
.LBB147_34:                             ;   in Loop: Header=BB147_3 Depth=1
	s_or_b32 exec_lo, exec_lo, s3
	s_and_saveexec_b32 s3, s2
	s_cbranch_execnz .LBB147_46
.LBB147_35:                             ;   in Loop: Header=BB147_3 Depth=1
	s_or_b32 exec_lo, exec_lo, s3
	s_and_saveexec_b32 s3, s2
	s_cbranch_execnz .LBB147_47
.LBB147_36:                             ;   in Loop: Header=BB147_3 Depth=1
	s_or_b32 exec_lo, exec_lo, s3
	s_and_saveexec_b32 s3, s2
	s_cbranch_execnz .LBB147_48
.LBB147_37:                             ;   in Loop: Header=BB147_3 Depth=1
	s_or_b32 exec_lo, exec_lo, s3
	s_and_saveexec_b32 s3, s2
	s_cbranch_execz .LBB147_39
.LBB147_38:                             ;   in Loop: Header=BB147_3 Depth=1
	v_add_co_u32 v3, vcc_lo, v30, v25
	v_add_co_ci_u32_e32 v4, vcc_lo, v31, v26, vcc_lo
	v_add_co_u32 v5, vcc_lo, v32, v25
	v_add_co_ci_u32_e32 v6, vcc_lo, v33, v26, vcc_lo
	global_load_b32 v24, v[3:4], off
	global_load_b32 v16, v[5:6], off
.LBB147_39:                             ;   in Loop: Header=BB147_3 Depth=1
	s_or_b32 exec_lo, exec_lo, s3
	s_waitcnt vmcnt(0)
	ds_bpermute_b32 v1, v2, v65
	ds_bpermute_b32 v3, v2, v65 offset:4
	ds_bpermute_b32 v4, v2, v65 offset:8
	;; [unrolled: 1-line block ×3, first 2 shown]
	v_mul_f32_e32 v7, v10, v18
	v_mul_f32_e32 v5, v9, v17
	ds_bpermute_b32 v8, v2, v65 offset:16
	s_waitcnt lgkmcnt(4)
	v_dual_fmac_f32 v62, v5, v1 :: v_dual_mul_f32 v1, v11, v19
	ds_bpermute_b32 v5, v2, v65 offset:20
	s_waitcnt lgkmcnt(4)
	v_dual_fmac_f32 v62, v7, v3 :: v_dual_mul_f32 v3, v12, v20
	s_waitcnt lgkmcnt(3)
	s_delay_alu instid0(VALU_DEP_1)
	v_fmac_f32_e32 v62, v1, v4
	ds_bpermute_b32 v1, v2, v65 offset:24
	v_mul_f32_e32 v4, v13, v21
	s_waitcnt lgkmcnt(3)
	v_fmac_f32_e32 v62, v3, v6
	v_mul_f32_e32 v6, v14, v22
	ds_bpermute_b32 v3, v2, v65 offset:28
	s_waitcnt lgkmcnt(3)
	v_fmac_f32_e32 v62, v4, v8
	v_mul_f32_e32 v4, v15, v23
	s_waitcnt lgkmcnt(2)
	s_delay_alu instid0(VALU_DEP_2) | instskip(SKIP_1) | instid1(VALU_DEP_1)
	v_fmac_f32_e32 v62, v6, v5
	s_waitcnt lgkmcnt(1)
	v_fmac_f32_e32 v62, v4, v1
	s_delay_alu instid0(VALU_DEP_1)
	v_mov_b32_e32 v1, v62
.LBB147_40:                             ;   in Loop: Header=BB147_3 Depth=1
	v_add_co_u32 v30, vcc_lo, v30, s28
	v_add_co_ci_u32_e32 v31, vcc_lo, s29, v31, vcc_lo
	v_add_co_u32 v32, vcc_lo, v32, s28
	v_add_co_ci_u32_e32 v33, vcc_lo, s29, v33, vcc_lo
	;; [unrolled: 2-line block ×13, first 2 shown]
	v_add_co_u32 v56, vcc_lo, v56, s28
	s_add_u32 s34, s34, s36
	v_add_co_ci_u32_e32 v57, vcc_lo, s29, v57, vcc_lo
	v_mul_f32_e32 v4, v24, v16
	s_addc_u32 s35, s35, 0
	v_add_co_u32 v58, vcc_lo, v58, s28
	v_cmp_lt_i64_e64 s3, s[34:35], s[4:5]
	v_add_co_ci_u32_e32 v59, vcc_lo, s29, v59, vcc_lo
	v_add_co_u32 v60, vcc_lo, v60, s28
	s_waitcnt lgkmcnt(0)
	v_fmac_f32_e32 v1, v4, v3
	v_add_co_ci_u32_e32 v61, vcc_lo, s29, v61, vcc_lo
	s_add_u32 s30, s30, s36
	s_addc_u32 s31, s31, 0
	s_and_b32 vcc_lo, exec_lo, s3
	s_cbranch_vccz .LBB147_50
; %bb.41:                               ;   in Loop: Header=BB147_3 Depth=1
	v_mov_b32_e32 v62, v1
	s_branch .LBB147_3
.LBB147_42:                             ;   in Loop: Header=BB147_3 Depth=1
	v_add_co_u32 v3, vcc_lo, v58, v25
	v_add_co_ci_u32_e32 v4, vcc_lo, v59, v26, vcc_lo
	v_mov_b32_e32 v8, v2
	v_mov_b32_e32 v5, v2
	;; [unrolled: 1-line block ×3, first 2 shown]
	global_load_b32 v1, v[3:4], off
	v_add_co_u32 v3, vcc_lo, v60, v25
	v_add_co_ci_u32_e32 v4, vcc_lo, v61, v26, vcc_lo
	v_mov_b32_e32 v7, v2
	v_mov_b32_e32 v15, v2
	global_load_b32 v9, v[3:4], off
	v_mov_b32_e32 v3, v2
	v_mov_b32_e32 v4, v2
	s_waitcnt vmcnt(1)
	v_dual_mov_b32 v11, v2 :: v_dual_mov_b32 v24, v8
	v_dual_mov_b32 v10, v2 :: v_dual_mov_b32 v23, v7
	;; [unrolled: 1-line block ×5, first 2 shown]
	v_mov_b32_e32 v16, v2
	v_mov_b32_e32 v22, v6
	v_dual_mov_b32 v18, v2 :: v_dual_mov_b32 v17, v1
	s_or_b32 exec_lo, exec_lo, s3
	s_and_saveexec_b32 s3, s2
	s_cbranch_execz .LBB147_32
.LBB147_43:                             ;   in Loop: Header=BB147_3 Depth=1
	v_add_co_u32 v3, vcc_lo, v54, v25
	v_add_co_ci_u32_e32 v4, vcc_lo, v55, v26, vcc_lo
	v_add_co_u32 v5, vcc_lo, v56, v25
	v_add_co_ci_u32_e32 v6, vcc_lo, v57, v26, vcc_lo
	global_load_b32 v18, v[3:4], off
	global_load_b32 v10, v[5:6], off
	s_or_b32 exec_lo, exec_lo, s3
	s_and_saveexec_b32 s3, s2
	s_cbranch_execz .LBB147_33
.LBB147_44:                             ;   in Loop: Header=BB147_3 Depth=1
	v_add_co_u32 v3, vcc_lo, v50, v25
	v_add_co_ci_u32_e32 v4, vcc_lo, v51, v26, vcc_lo
	v_add_co_u32 v5, vcc_lo, v52, v25
	v_add_co_ci_u32_e32 v6, vcc_lo, v53, v26, vcc_lo
	global_load_b32 v19, v[3:4], off
	global_load_b32 v11, v[5:6], off
	s_or_b32 exec_lo, exec_lo, s3
	s_and_saveexec_b32 s3, s2
	s_cbranch_execz .LBB147_34
.LBB147_45:                             ;   in Loop: Header=BB147_3 Depth=1
	v_add_co_u32 v3, vcc_lo, v46, v25
	v_add_co_ci_u32_e32 v4, vcc_lo, v47, v26, vcc_lo
	v_add_co_u32 v5, vcc_lo, v48, v25
	v_add_co_ci_u32_e32 v6, vcc_lo, v49, v26, vcc_lo
	global_load_b32 v20, v[3:4], off
	global_load_b32 v12, v[5:6], off
	s_or_b32 exec_lo, exec_lo, s3
	s_and_saveexec_b32 s3, s2
	s_cbranch_execz .LBB147_35
.LBB147_46:                             ;   in Loop: Header=BB147_3 Depth=1
	v_add_co_u32 v3, vcc_lo, v42, v25
	v_add_co_ci_u32_e32 v4, vcc_lo, v43, v26, vcc_lo
	v_add_co_u32 v5, vcc_lo, v44, v25
	v_add_co_ci_u32_e32 v6, vcc_lo, v45, v26, vcc_lo
	global_load_b32 v21, v[3:4], off
	global_load_b32 v13, v[5:6], off
	s_or_b32 exec_lo, exec_lo, s3
	s_and_saveexec_b32 s3, s2
	s_cbranch_execz .LBB147_36
.LBB147_47:                             ;   in Loop: Header=BB147_3 Depth=1
	v_add_co_u32 v3, vcc_lo, v38, v25
	v_add_co_ci_u32_e32 v4, vcc_lo, v39, v26, vcc_lo
	v_add_co_u32 v5, vcc_lo, v40, v25
	v_add_co_ci_u32_e32 v6, vcc_lo, v41, v26, vcc_lo
	global_load_b32 v22, v[3:4], off
	global_load_b32 v14, v[5:6], off
	s_or_b32 exec_lo, exec_lo, s3
	s_and_saveexec_b32 s3, s2
	s_cbranch_execz .LBB147_37
.LBB147_48:                             ;   in Loop: Header=BB147_3 Depth=1
	v_add_co_u32 v3, vcc_lo, v34, v25
	v_add_co_ci_u32_e32 v4, vcc_lo, v35, v26, vcc_lo
	v_add_co_u32 v5, vcc_lo, v36, v25
	v_add_co_ci_u32_e32 v6, vcc_lo, v37, v26, vcc_lo
	global_load_b32 v23, v[3:4], off
	global_load_b32 v15, v[5:6], off
	s_or_b32 exec_lo, exec_lo, s3
	s_and_saveexec_b32 s3, s2
	s_cbranch_execnz .LBB147_38
	s_branch .LBB147_39
.LBB147_49:
                                        ; implicit-def: $vgpr1
	s_branch .LBB147_51
.LBB147_50:
	s_cbranch_execnz .LBB147_83
.LBB147_51:
	v_mov_b32_e32 v1, 0
	s_and_not1_b32 vcc_lo, exec_lo, s15
	s_cbranch_vccnz .LBB147_83
; %bb.52:
	s_load_b32 s2, s[0:1], 0x44
	v_dual_mov_b32 v2, 0 :: v_dual_and_b32 v55, 0x3ff, v0
	v_bfe_u32 v56, v0, 10, 10
	s_add_u32 s26, s0, 64
	s_addc_u32 s27, s1, 0
	s_delay_alu instid0(VALU_DEP_2) | instskip(NEXT) | instid1(VALU_DEP_2)
	v_dual_mov_b32 v90, 0 :: v_dual_add_nc_u32 v1, s33, v55
	v_lshlrev_b32_e32 v3, 5, v56
	v_lshlrev_b32_e32 v57, 3, v56
	s_delay_alu instid0(VALU_DEP_3)
	v_lshlrev_b64 v[25:26], 2, v[1:2]
	s_waitcnt lgkmcnt(0)
	s_lshl_b32 s15, s2, 6
	s_add_u32 s28, s24, 63
	s_addc_u32 s29, 0, 0
	s_lshl_b64 s[2:3], s[24:25], 2
	s_mul_i32 s16, s7, s15
	v_add_co_u32 v1, s2, v3, s2
	s_delay_alu instid0(VALU_DEP_1) | instskip(SKIP_1) | instid1(VALU_DEP_3)
	v_add_co_ci_u32_e64 v3, null, 0, s3, s2
	v_add_co_u32 v74, s3, v57, s24
	v_add_co_u32 v7, vcc_lo, v1, 4
	s_delay_alu instid0(VALU_DEP_3) | instskip(SKIP_3) | instid1(VALU_DEP_4)
	v_add_co_ci_u32_e32 v4, vcc_lo, 0, v3, vcc_lo
	v_add_co_u32 v8, vcc_lo, v1, 8
	v_add_co_ci_u32_e32 v5, vcc_lo, 0, v3, vcc_lo
	v_add_co_u32 v11, vcc_lo, v1, 12
	v_mul_lo_u32 v9, s6, v4
	v_add_co_ci_u32_e32 v4, vcc_lo, 0, v3, vcc_lo
	v_add_co_u32 v14, vcc_lo, v1, 16
	v_mul_lo_u32 v12, s6, v5
	;; [unrolled: 3-line block ×4, first 2 shown]
	v_add_co_ci_u32_e32 v5, vcc_lo, 0, v3, vcc_lo
	v_add_co_ci_u32_e64 v75, null, 0, 0, s3
	v_add_co_u32 v1, vcc_lo, v1, 28
	v_mul_lo_u32 v21, s6, v4
	s_delay_alu instid0(VALU_DEP_4) | instskip(SKIP_4) | instid1(VALU_DEP_4)
	v_mul_lo_u32 v23, s6, v5
	v_add_co_ci_u32_e32 v5, vcc_lo, 0, v3, vcc_lo
	v_mul_lo_u32 v6, s7, v74
	v_mul_lo_u32 v41, s6, v75
	v_mad_u64_u32 v[3:4], null, s6, v74, 0
	v_mul_lo_u32 v60, s6, v5
	v_mad_u64_u32 v[27:28], null, s6, v7, s[8:9]
	;; [unrolled: 2-line block ×3, first 2 shown]
	v_add3_u32 v4, v4, v41, v6
	v_mad_u64_u32 v[41:42], null, s6, v7, s[10:11]
	v_mul_lo_u32 v13, s7, v8
	v_mad_u64_u32 v[43:44], null, s6, v8, s[10:11]
	s_delay_alu instid0(VALU_DEP_4)
	v_lshlrev_b64 v[5:6], 2, v[3:4]
	v_add3_u32 v28, v10, v28, v9
	v_mad_u64_u32 v[31:32], null, s6, v11, s[8:9]
	v_add3_u32 v42, v10, v42, v9
	v_add3_u32 v30, v13, v30, v12
	v_add_co_u32 v58, vcc_lo, s8, v5
	v_add_co_ci_u32_e32 v59, vcc_lo, s9, v6, vcc_lo
	v_add_co_u32 v9, vcc_lo, v74, 7
	v_add_co_ci_u32_e32 v7, vcc_lo, 0, v75, vcc_lo
	v_add3_u32 v44, v13, v44, v12
	v_add_co_u32 v12, vcc_lo, v74, 6
	v_mul_lo_u32 v16, s7, v11
	v_mad_u64_u32 v[39:40], null, s6, v1, s[8:9]
	v_mul_lo_u32 v61, s7, v1
	v_mad_u64_u32 v[45:46], null, s6, v11, s[10:11]
	v_mad_u64_u32 v[53:54], null, s6, v1, s[10:11]
	v_mul_lo_u32 v1, s7, v9
	v_mul_lo_u32 v11, s6, v7
	v_mad_u64_u32 v[7:8], null, s6, v9, 0
	v_add_co_ci_u32_e32 v10, vcc_lo, 0, v75, vcc_lo
	v_mad_u64_u32 v[33:34], null, s6, v14, s[8:9]
	v_mul_lo_u32 v19, s7, v14
	v_mad_u64_u32 v[47:48], null, s6, v14, s[10:11]
	v_mul_lo_u32 v13, s7, v12
	v_mul_lo_u32 v14, s6, v10
	v_mad_u64_u32 v[9:10], null, s6, v12, 0
	v_add3_u32 v8, v8, v11, v1
	v_add3_u32 v40, v61, v40, v60
	;; [unrolled: 1-line block ×3, first 2 shown]
	v_add_co_u32 v60, vcc_lo, s10, v5
	v_add_co_ci_u32_e32 v61, vcc_lo, s11, v6, vcc_lo
	v_lshlrev_b64 v[5:6], 2, v[7:8]
	v_add3_u32 v10, v10, v14, v13
	v_add_co_u32 v1, vcc_lo, v74, 5
	v_add_co_ci_u32_e32 v11, vcc_lo, 0, v75, vcc_lo
	s_delay_alu instid0(VALU_DEP_4) | instskip(NEXT) | instid1(VALU_DEP_4)
	v_add_co_u32 v62, vcc_lo, s8, v5
	v_lshlrev_b64 v[7:8], 2, v[9:10]
	v_add_co_ci_u32_e32 v63, vcc_lo, s9, v6, vcc_lo
	v_mul_lo_u32 v12, s7, v1
	v_mul_lo_u32 v11, s6, v11
	v_mad_u64_u32 v[9:10], null, s6, v1, 0
	v_add_co_u32 v64, vcc_lo, s10, v5
	v_add_co_ci_u32_e32 v65, vcc_lo, s11, v6, vcc_lo
	v_add_co_u32 v66, vcc_lo, s8, v7
	v_add_co_ci_u32_e32 v67, vcc_lo, s9, v8, vcc_lo
	s_mul_hi_u32 s2, s6, s15
	v_add_co_u32 v1, vcc_lo, v74, 4
	v_add3_u32 v10, v10, v11, v12
	s_add_i32 s3, s2, s16
	v_add_co_u32 v68, s2, s10, v7
	v_add_co_ci_u32_e32 v7, vcc_lo, 0, v75, vcc_lo
	v_add_co_u32 v12, vcc_lo, v74, 3
	v_lshlrev_b64 v[5:6], 2, v[9:10]
	v_add_co_ci_u32_e32 v9, vcc_lo, 0, v75, vcc_lo
	v_add_co_ci_u32_e64 v69, s2, s11, v8, s2
	v_mul_lo_u32 v11, s7, v1
	v_mul_lo_u32 v13, s6, v7
	v_mad_u64_u32 v[7:8], null, s6, v1, 0
	v_mul_lo_u32 v1, s7, v12
	v_mul_lo_u32 v14, s6, v9
	v_mad_u64_u32 v[9:10], null, s6, v12, 0
	v_add_co_u32 v70, vcc_lo, s8, v5
	v_add_co_ci_u32_e32 v71, vcc_lo, s9, v6, vcc_lo
	v_add3_u32 v8, v8, v13, v11
	v_add_co_u32 v72, vcc_lo, s10, v5
	v_add_co_ci_u32_e32 v73, vcc_lo, s11, v6, vcc_lo
	v_add3_u32 v10, v10, v14, v1
	v_add_co_u32 v1, vcc_lo, v74, 2
	v_lshlrev_b64 v[5:6], 2, v[7:8]
	v_add_co_ci_u32_e32 v11, vcc_lo, 0, v75, vcc_lo
	s_delay_alu instid0(VALU_DEP_4) | instskip(NEXT) | instid1(VALU_DEP_4)
	v_lshlrev_b64 v[7:8], 2, v[9:10]
	v_mul_lo_u32 v12, s7, v1
	v_mad_u64_u32 v[9:10], null, s6, v1, 0
	v_add_co_u32 v74, vcc_lo, s8, v5
	v_mul_lo_u32 v11, s6, v11
	v_add_co_ci_u32_e32 v75, vcc_lo, s9, v6, vcc_lo
	v_add_co_u32 v76, vcc_lo, s10, v5
	v_add_co_ci_u32_e32 v77, vcc_lo, s11, v6, vcc_lo
	v_add_co_u32 v78, vcc_lo, s8, v7
	v_add_co_ci_u32_e32 v79, vcc_lo, s9, v8, vcc_lo
	v_add3_u32 v10, v10, v11, v12
	v_add_co_u32 v80, vcc_lo, s10, v7
	v_add_co_ci_u32_e32 v81, vcc_lo, s11, v8, vcc_lo
	v_add_co_u32 v3, vcc_lo, v3, s6
	s_delay_alu instid0(VALU_DEP_4) | instskip(SKIP_3) | instid1(VALU_DEP_4)
	v_lshlrev_b64 v[5:6], 2, v[9:10]
	v_add_co_ci_u32_e32 v4, vcc_lo, s7, v4, vcc_lo
	v_mad_u64_u32 v[35:36], null, s6, v18, s[8:9]
	v_mul_lo_u32 v22, s7, v18
	v_add_co_u32 v82, vcc_lo, s8, v5
	s_delay_alu instid0(VALU_DEP_4)
	v_lshlrev_b64 v[3:4], 2, v[3:4]
	v_add_co_ci_u32_e32 v83, vcc_lo, s9, v6, vcc_lo
	v_mad_u64_u32 v[37:38], null, s6, v20, s[8:9]
	v_mul_lo_u32 v24, s7, v20
	v_mad_u64_u32 v[49:50], null, s6, v18, s[10:11]
	v_mad_u64_u32 v[51:52], null, s6, v20, s[10:11]
	v_add_co_u32 v84, vcc_lo, s10, v5
	v_add_co_ci_u32_e32 v85, vcc_lo, s11, v6, vcc_lo
	v_add_co_u32 v86, vcc_lo, s8, v3
	v_add_co_ci_u32_e32 v87, vcc_lo, s9, v4, vcc_lo
	v_add_co_u32 v88, vcc_lo, s10, v3
	v_add3_u32 v32, v16, v32, v15
	v_add3_u32 v34, v19, v34, v17
	;; [unrolled: 1-line block ×8, first 2 shown]
	v_add_co_ci_u32_e32 v89, vcc_lo, s11, v4, vcc_lo
	s_mul_i32 s2, s6, s15
	s_mov_b32 s16, 0
	s_lshl_b64 s[2:3], s[2:3], 2
.LBB147_53:                             ; =>This Inner Loop Header: Depth=1
	v_cmp_ge_i64_e64 s8, s[28:29], s[4:5]
	v_add_co_u32 v91, s9, v57, s28
	s_delay_alu instid0(VALU_DEP_1) | instskip(NEXT) | instid1(VALU_DEP_3)
	v_add_co_ci_u32_e64 v92, null, 0, s29, s9
	s_and_b32 vcc_lo, exec_lo, s8
	s_cbranch_vccz .LBB147_75
; %bb.54:                               ;   in Loop: Header=BB147_53 Depth=1
	s_load_b32 s8, s[26:27], 0xc
	v_mov_b32_e32 v93, 0
	s_waitcnt lgkmcnt(0)
	s_and_b32 s8, s8, 0xffff
	s_delay_alu instid0(SALU_CYCLE_1) | instskip(SKIP_1) | instid1(VALU_DEP_1)
	v_mad_u32_u24 v1, v56, s8, v55
	s_mov_b32 s8, exec_lo
	v_and_b32_e32 v1, 31, v1
	s_delay_alu instid0(VALU_DEP_1)
	v_cmpx_gt_u32_e32 8, v1
	s_cbranch_execz .LBB147_58
; %bb.55:                               ;   in Loop: Header=BB147_53 Depth=1
	v_add_co_u32 v1, vcc_lo, v91, v1
	v_add_co_ci_u32_e32 v4, vcc_lo, 0, v92, vcc_lo
	v_mov_b32_e32 v93, 0
	s_delay_alu instid0(VALU_DEP_3) | instskip(NEXT) | instid1(VALU_DEP_3)
	v_add_co_u32 v3, vcc_lo, 0xffffffc1, v1
	v_add_co_ci_u32_e32 v4, vcc_lo, -1, v4, vcc_lo
	s_mov_b32 s9, exec_lo
	s_delay_alu instid0(VALU_DEP_1)
	v_cmpx_gt_i64_e64 s[4:5], v[3:4]
	s_cbranch_execz .LBB147_57
; %bb.56:                               ;   in Loop: Header=BB147_53 Depth=1
	v_lshlrev_b64 v[3:4], 2, v[3:4]
	s_delay_alu instid0(VALU_DEP_1) | instskip(NEXT) | instid1(VALU_DEP_2)
	v_add_co_u32 v3, vcc_lo, s12, v3
	v_add_co_ci_u32_e32 v4, vcc_lo, s13, v4, vcc_lo
	global_load_b32 v93, v[3:4], off
.LBB147_57:                             ;   in Loop: Header=BB147_53 Depth=1
	s_or_b32 exec_lo, exec_lo, s9
.LBB147_58:                             ;   in Loop: Header=BB147_53 Depth=1
	s_delay_alu instid0(SALU_CYCLE_1)
	s_or_b32 exec_lo, exec_lo, s8
	s_mov_b32 s22, s16
	s_mov_b32 s23, s16
	;; [unrolled: 1-line block ×7, first 2 shown]
	v_dual_mov_b32 v9, s16 :: v_dual_mov_b32 v10, s17
	v_dual_mov_b32 v15, s22 :: v_dual_mov_b32 v16, s23
	;; [unrolled: 1-line block ×4, first 2 shown]
	v_add_co_u32 v3, vcc_lo, 0xffffffc1, v91
	s_delay_alu instid0(VALU_DEP_4) | instskip(SKIP_1) | instid1(VALU_DEP_4)
	v_dual_mov_b32 v24, v16 :: v_dual_mov_b32 v23, v15
	v_add_co_ci_u32_e32 v4, vcc_lo, -1, v92, vcc_lo
	v_dual_mov_b32 v22, v14 :: v_dual_mov_b32 v21, v13
	v_dual_mov_b32 v20, v12 :: v_dual_mov_b32 v19, v11
	;; [unrolled: 1-line block ×3, first 2 shown]
	s_mov_b32 s8, exec_lo
	v_cmpx_gt_i64_e64 s[4:5], v[3:4]
	s_cbranch_execz .LBB147_60
; %bb.59:                               ;   in Loop: Header=BB147_53 Depth=1
	v_add_co_u32 v3, vcc_lo, v58, v25
	v_add_co_ci_u32_e32 v4, vcc_lo, v59, v26, vcc_lo
	v_mov_b32_e32 v8, v2
	v_mov_b32_e32 v5, v2
	;; [unrolled: 1-line block ×3, first 2 shown]
	global_load_b32 v1, v[3:4], off
	v_add_co_u32 v3, vcc_lo, v60, v25
	v_add_co_ci_u32_e32 v4, vcc_lo, v61, v26, vcc_lo
	v_mov_b32_e32 v7, v2
	v_mov_b32_e32 v15, v2
	global_load_b32 v9, v[3:4], off
	v_mov_b32_e32 v3, v2
	v_mov_b32_e32 v4, v2
	s_waitcnt vmcnt(1)
	v_dual_mov_b32 v11, v2 :: v_dual_mov_b32 v24, v8
	v_dual_mov_b32 v10, v2 :: v_dual_mov_b32 v23, v7
	;; [unrolled: 1-line block ×5, first 2 shown]
	v_mov_b32_e32 v16, v2
	v_mov_b32_e32 v22, v6
	v_dual_mov_b32 v18, v2 :: v_dual_mov_b32 v17, v1
.LBB147_60:                             ;   in Loop: Header=BB147_53 Depth=1
	s_or_b32 exec_lo, exec_lo, s8
	v_add_co_u32 v3, vcc_lo, 0xffffffc2, v91
	v_add_co_ci_u32_e32 v4, vcc_lo, -1, v92, vcc_lo
	s_mov_b32 s8, exec_lo
	s_delay_alu instid0(VALU_DEP_1)
	v_cmpx_gt_i64_e64 s[4:5], v[3:4]
	s_cbranch_execz .LBB147_62
; %bb.61:                               ;   in Loop: Header=BB147_53 Depth=1
	v_add_co_u32 v3, vcc_lo, v86, v25
	v_add_co_ci_u32_e32 v4, vcc_lo, v87, v26, vcc_lo
	v_add_co_u32 v5, vcc_lo, v88, v25
	v_add_co_ci_u32_e32 v6, vcc_lo, v89, v26, vcc_lo
	global_load_b32 v18, v[3:4], off
	global_load_b32 v10, v[5:6], off
.LBB147_62:                             ;   in Loop: Header=BB147_53 Depth=1
	s_or_b32 exec_lo, exec_lo, s8
	v_add_co_u32 v3, vcc_lo, 0xffffffc3, v91
	v_add_co_ci_u32_e32 v4, vcc_lo, -1, v92, vcc_lo
	s_mov_b32 s8, exec_lo
	s_delay_alu instid0(VALU_DEP_1)
	v_cmpx_gt_i64_e64 s[4:5], v[3:4]
	s_cbranch_execz .LBB147_64
; %bb.63:                               ;   in Loop: Header=BB147_53 Depth=1
	v_add_co_u32 v3, vcc_lo, v82, v25
	v_add_co_ci_u32_e32 v4, vcc_lo, v83, v26, vcc_lo
	v_add_co_u32 v5, vcc_lo, v84, v25
	v_add_co_ci_u32_e32 v6, vcc_lo, v85, v26, vcc_lo
	global_load_b32 v19, v[3:4], off
	global_load_b32 v11, v[5:6], off
.LBB147_64:                             ;   in Loop: Header=BB147_53 Depth=1
	;; [unrolled: 15-line block ×7, first 2 shown]
	s_or_b32 exec_lo, exec_lo, s8
	s_waitcnt vmcnt(0)
	ds_bpermute_b32 v1, v2, v93
	ds_bpermute_b32 v3, v2, v93 offset:4
	ds_bpermute_b32 v4, v2, v93 offset:8
	v_mul_f32_e32 v5, v9, v17
	ds_bpermute_b32 v6, v2, v93 offset:12
	v_mul_f32_e32 v7, v10, v18
	ds_bpermute_b32 v8, v2, v93 offset:16
	ds_bpermute_b32 v9, v2, v93 offset:20
	s_waitcnt lgkmcnt(5)
	v_fma_f32 v1, v5, v1, v90
	v_mul_f32_e32 v5, v11, v19
	s_waitcnt lgkmcnt(4)
	s_delay_alu instid0(VALU_DEP_2)
	v_fmac_f32_e32 v1, v7, v3
	v_mul_f32_e32 v3, v12, v20
	ds_bpermute_b32 v7, v2, v93 offset:24
	s_waitcnt lgkmcnt(4)
	v_fmac_f32_e32 v1, v5, v4
	v_dual_mul_f32 v4, v13, v21 :: v_dual_mul_f32 v5, v14, v22
	s_waitcnt lgkmcnt(3)
	s_delay_alu instid0(VALU_DEP_2) | instskip(SKIP_4) | instid1(VALU_DEP_1)
	v_fmac_f32_e32 v1, v3, v6
	ds_bpermute_b32 v3, v2, v93 offset:28
	s_waitcnt lgkmcnt(3)
	v_dual_fmac_f32 v1, v4, v8 :: v_dual_mul_f32 v4, v15, v23
	s_waitcnt lgkmcnt(2)
	v_fmac_f32_e32 v1, v5, v9
	s_waitcnt lgkmcnt(1)
	s_delay_alu instid0(VALU_DEP_1) | instskip(SKIP_2) | instid1(VALU_DEP_1)
	v_fmac_f32_e32 v1, v4, v7
	v_mul_f32_e32 v4, v16, v24
	s_waitcnt lgkmcnt(0)
	v_fmac_f32_e32 v1, v4, v3
	s_branch .LBB147_81
.LBB147_75:                             ;   in Loop: Header=BB147_53 Depth=1
                                        ; implicit-def: $vgpr1
	s_cbranch_execz .LBB147_81
; %bb.76:                               ;   in Loop: Header=BB147_53 Depth=1
	s_load_b32 s8, s[26:27], 0x0
	s_waitcnt lgkmcnt(0)
	s_cmp_lt_u32 s14, s8
	s_cselect_b32 s8, 12, 18
	s_delay_alu instid0(SALU_CYCLE_1)
	s_add_u32 s8, s26, s8
	s_addc_u32 s9, s27, 0
	global_load_u16 v1, v2, s[8:9]
	s_mov_b32 s8, exec_lo
	s_waitcnt vmcnt(0)
	v_mad_u32_u24 v1, v56, v1, v55
	s_delay_alu instid0(VALU_DEP_1) | instskip(SKIP_1) | instid1(VALU_DEP_2)
	v_and_b32_e32 v3, 31, v1
	v_mov_b32_e32 v1, 0
	v_cmpx_gt_u32_e32 8, v3
	s_cbranch_execz .LBB147_80
; %bb.77:                               ;   in Loop: Header=BB147_53 Depth=1
	v_add_co_u32 v1, vcc_lo, v91, v3
	v_add_co_ci_u32_e32 v4, vcc_lo, 0, v92, vcc_lo
	s_mov_b32 s9, exec_lo
	s_delay_alu instid0(VALU_DEP_2) | instskip(NEXT) | instid1(VALU_DEP_2)
	v_add_co_u32 v3, vcc_lo, 0xffffffc1, v1
	v_add_co_ci_u32_e32 v4, vcc_lo, -1, v4, vcc_lo
	v_mov_b32_e32 v1, 0
	s_delay_alu instid0(VALU_DEP_2)
	v_cmpx_gt_i64_e64 s[4:5], v[3:4]
	s_cbranch_execz .LBB147_79
; %bb.78:                               ;   in Loop: Header=BB147_53 Depth=1
	v_lshlrev_b64 v[3:4], 2, v[3:4]
	s_delay_alu instid0(VALU_DEP_1) | instskip(NEXT) | instid1(VALU_DEP_2)
	v_add_co_u32 v3, vcc_lo, s12, v3
	v_add_co_ci_u32_e32 v4, vcc_lo, s13, v4, vcc_lo
	global_load_b32 v1, v[3:4], off
.LBB147_79:                             ;   in Loop: Header=BB147_53 Depth=1
	s_or_b32 exec_lo, exec_lo, s9
.LBB147_80:                             ;   in Loop: Header=BB147_53 Depth=1
	s_delay_alu instid0(SALU_CYCLE_1)
	s_or_b32 exec_lo, exec_lo, s8
	v_add_co_u32 v3, vcc_lo, v58, v25
	v_add_co_ci_u32_e32 v4, vcc_lo, v59, v26, vcc_lo
	v_add_co_u32 v5, vcc_lo, v60, v25
	v_add_co_ci_u32_e32 v6, vcc_lo, v61, v26, vcc_lo
	;; [unrolled: 2-line block ×4, first 2 shown]
	global_load_b32 v13, v[3:4], off
	global_load_b32 v14, v[5:6], off
	;; [unrolled: 1-line block ×4, first 2 shown]
	v_add_co_u32 v3, vcc_lo, v29, v25
	v_add_co_ci_u32_e32 v4, vcc_lo, v30, v26, vcc_lo
	v_add_co_u32 v5, vcc_lo, v43, v25
	v_add_co_ci_u32_e32 v6, vcc_lo, v44, v26, vcc_lo
	;; [unrolled: 2-line block ×5, first 2 shown]
	global_load_b32 v17, v[3:4], off
	global_load_b32 v18, v[5:6], off
	global_load_b32 v19, v[7:8], off
	global_load_b32 v20, v[9:10], off
	global_load_b32 v21, v[11:12], off
	v_add_co_u32 v3, vcc_lo, v47, v25
	v_add_co_ci_u32_e32 v4, vcc_lo, v48, v26, vcc_lo
	v_add_co_u32 v5, vcc_lo, v35, v25
	v_add_co_ci_u32_e32 v6, vcc_lo, v36, v26, vcc_lo
	;; [unrolled: 2-line block ×5, first 2 shown]
	global_load_b32 v22, v[3:4], off
	global_load_b32 v23, v[5:6], off
	;; [unrolled: 1-line block ×5, first 2 shown]
	v_add_co_u32 v3, vcc_lo, v39, v25
	v_add_co_ci_u32_e32 v4, vcc_lo, v40, v26, vcc_lo
	v_add_co_u32 v5, vcc_lo, v53, v25
	v_add_co_ci_u32_e32 v6, vcc_lo, v54, v26, vcc_lo
	global_load_b32 v3, v[3:4], off
	global_load_b32 v4, v[5:6], off
	s_waitcnt vmcnt(16)
	ds_bpermute_b32 v5, v2, v1
	ds_bpermute_b32 v6, v2, v1 offset:4
	ds_bpermute_b32 v10, v2, v1 offset:8
	;; [unrolled: 1-line block ×3, first 2 shown]
	s_waitcnt vmcnt(14)
	v_mul_f32_e32 v12, v13, v14
	ds_bpermute_b32 v13, v2, v1 offset:16
	s_waitcnt vmcnt(12)
	v_mul_f32_e32 v14, v15, v16
	s_waitcnt vmcnt(4) lgkmcnt(4)
	v_dual_mul_f32 v7, v23, v7 :: v_dual_fmac_f32 v90, v12, v5
	ds_bpermute_b32 v5, v2, v1 offset:20
	v_mul_f32_e32 v12, v17, v18
	s_waitcnt vmcnt(0)
	v_dual_mul_f32 v8, v8, v9 :: v_dual_mul_f32 v3, v3, v4
	s_waitcnt lgkmcnt(4)
	v_fmac_f32_e32 v90, v14, v6
	ds_bpermute_b32 v6, v2, v1 offset:24
	v_mul_f32_e32 v14, v19, v20
	ds_bpermute_b32 v1, v2, v1 offset:28
	s_waitcnt lgkmcnt(5)
	v_fmac_f32_e32 v90, v12, v10
	v_mul_f32_e32 v10, v21, v22
	s_waitcnt lgkmcnt(4)
	s_delay_alu instid0(VALU_DEP_2) | instskip(SKIP_1) | instid1(VALU_DEP_1)
	v_fmac_f32_e32 v90, v14, v11
	s_waitcnt lgkmcnt(3)
	v_fmac_f32_e32 v90, v10, v13
	s_waitcnt lgkmcnt(2)
	s_delay_alu instid0(VALU_DEP_1) | instskip(SKIP_1) | instid1(VALU_DEP_1)
	v_fmac_f32_e32 v90, v7, v5
	s_waitcnt lgkmcnt(1)
	v_fmac_f32_e32 v90, v8, v6
	s_waitcnt lgkmcnt(0)
	s_delay_alu instid0(VALU_DEP_1) | instskip(NEXT) | instid1(VALU_DEP_1)
	v_fmac_f32_e32 v90, v3, v1
	v_mov_b32_e32 v1, v90
.LBB147_81:                             ;   in Loop: Header=BB147_53 Depth=1
	v_add_co_u32 v27, vcc_lo, v27, s2
	v_add_co_ci_u32_e32 v28, vcc_lo, s3, v28, vcc_lo
	v_add_co_u32 v29, vcc_lo, v29, s2
	v_add_co_ci_u32_e32 v30, vcc_lo, s3, v30, vcc_lo
	v_add_co_u32 v31, vcc_lo, v31, s2
	v_add_co_ci_u32_e32 v32, vcc_lo, s3, v32, vcc_lo
	v_add_co_u32 v33, vcc_lo, v33, s2
	v_add_co_ci_u32_e32 v34, vcc_lo, s3, v34, vcc_lo
	v_add_co_u32 v35, vcc_lo, v35, s2
	v_add_co_ci_u32_e32 v36, vcc_lo, s3, v36, vcc_lo
	v_add_co_u32 v37, vcc_lo, v37, s2
	v_add_co_ci_u32_e32 v38, vcc_lo, s3, v38, vcc_lo
	v_add_co_u32 v39, vcc_lo, v39, s2
	v_add_co_ci_u32_e32 v40, vcc_lo, s3, v40, vcc_lo
	v_add_co_u32 v58, vcc_lo, v58, s2
	v_add_co_ci_u32_e32 v59, vcc_lo, s3, v59, vcc_lo
	v_add_co_u32 v41, vcc_lo, v41, s2
	v_add_co_ci_u32_e32 v42, vcc_lo, s3, v42, vcc_lo
	v_add_co_u32 v43, vcc_lo, v43, s2
	v_add_co_ci_u32_e32 v44, vcc_lo, s3, v44, vcc_lo
	v_add_co_u32 v45, vcc_lo, v45, s2
	v_add_co_ci_u32_e32 v46, vcc_lo, s3, v46, vcc_lo
	v_add_co_u32 v47, vcc_lo, v47, s2
	v_add_co_ci_u32_e32 v48, vcc_lo, s3, v48, vcc_lo
	v_add_co_u32 v49, vcc_lo, v49, s2
	v_add_co_ci_u32_e32 v50, vcc_lo, s3, v50, vcc_lo
	v_add_co_u32 v51, vcc_lo, v51, s2
	v_add_co_ci_u32_e32 v52, vcc_lo, s3, v52, vcc_lo
	v_add_co_u32 v53, vcc_lo, v53, s2
	v_add_co_ci_u32_e32 v54, vcc_lo, s3, v54, vcc_lo
	v_add_co_u32 v60, vcc_lo, v60, s2
	v_add_co_ci_u32_e32 v61, vcc_lo, s3, v61, vcc_lo
	v_add_co_u32 v62, vcc_lo, v62, s2
	v_add_co_ci_u32_e32 v63, vcc_lo, s3, v63, vcc_lo
	v_add_co_u32 v64, vcc_lo, v64, s2
	v_add_co_ci_u32_e32 v65, vcc_lo, s3, v65, vcc_lo
	v_add_co_u32 v66, vcc_lo, v66, s2
	v_add_co_ci_u32_e32 v67, vcc_lo, s3, v67, vcc_lo
	v_add_co_u32 v68, vcc_lo, v68, s2
	v_add_co_ci_u32_e32 v69, vcc_lo, s3, v69, vcc_lo
	v_add_co_u32 v70, vcc_lo, v70, s2
	v_add_co_ci_u32_e32 v71, vcc_lo, s3, v71, vcc_lo
	v_add_co_u32 v72, vcc_lo, v72, s2
	v_add_co_ci_u32_e32 v73, vcc_lo, s3, v73, vcc_lo
	v_add_co_u32 v74, vcc_lo, v74, s2
	v_add_co_ci_u32_e32 v75, vcc_lo, s3, v75, vcc_lo
	v_add_co_u32 v76, vcc_lo, v76, s2
	v_add_co_ci_u32_e32 v77, vcc_lo, s3, v77, vcc_lo
	v_add_co_u32 v78, vcc_lo, v78, s2
	v_add_co_ci_u32_e32 v79, vcc_lo, s3, v79, vcc_lo
	v_add_co_u32 v80, vcc_lo, v80, s2
	v_add_co_ci_u32_e32 v81, vcc_lo, s3, v81, vcc_lo
	v_add_co_u32 v82, vcc_lo, v82, s2
	v_add_co_ci_u32_e32 v83, vcc_lo, s3, v83, vcc_lo
	v_add_co_u32 v84, vcc_lo, v84, s2
	s_add_u32 s24, s24, s15
	v_add_co_ci_u32_e32 v85, vcc_lo, s3, v85, vcc_lo
	s_addc_u32 s25, s25, 0
	v_add_co_u32 v86, vcc_lo, v86, s2
	v_cmp_ge_i64_e64 s8, s[24:25], s[4:5]
	v_add_co_ci_u32_e32 v87, vcc_lo, s3, v87, vcc_lo
	v_add_co_u32 v88, vcc_lo, v88, s2
	v_add_co_ci_u32_e32 v89, vcc_lo, s3, v89, vcc_lo
	s_add_u32 s28, s28, s15
	s_addc_u32 s29, s29, 0
	s_and_b32 vcc_lo, exec_lo, s8
	s_cbranch_vccnz .LBB147_83
; %bb.82:                               ;   in Loop: Header=BB147_53 Depth=1
	v_mov_b32_e32 v90, v1
	s_branch .LBB147_53
.LBB147_83:
	v_and_b32_e32 v4, 0x3ff, v0
	v_bfe_u32 v0, v0, 10, 10
	s_mov_b32 s15, 0
	s_mov_b32 s2, exec_lo
	s_delay_alu instid0(VALU_DEP_1) | instskip(NEXT) | instid1(VALU_DEP_1)
	v_mad_u32_u24 v2, 0x41, v0, v4
	v_sub_nc_u32_e32 v0, v2, v0
	v_lshl_add_u32 v3, v2, 2, 0
	v_mov_b32_e32 v2, 0
	ds_store_b32 v3, v1
	ds_store_b32 v3, v2 offset:2080
	s_waitcnt lgkmcnt(0)
	s_barrier
	buffer_gl0_inv
	v_cmpx_gt_u32_e32 0x800, v0
	s_cbranch_execz .LBB147_90
; %bb.84:
	v_mbcnt_lo_u32_b32 v1, -1, 0
	s_load_b64 s[8:9], s[0:1], 0x30
	v_lshrrev_b32_e32 v3, 5, v0
	v_and_b32_e32 v5, 31, v4
	v_cmp_ne_u32_e32 vcc_lo, 0, v4
	v_xor_b32_e32 v0, 4, v1
	v_xor_b32_e32 v4, 2, v1
	s_lshl_b64 s[4:5], s[14:15], 6
	v_cmp_gt_u32_e64 s0, 8, v5
	v_mul_u32_u24_e32 v7, 0x104, v5
	v_cmp_gt_i32_e64 s1, 32, v0
	v_xor_b32_e32 v5, 1, v1
	v_lshlrev_b32_e32 v8, 2, v3
	s_delay_alu instid0(VALU_DEP_3) | instskip(SKIP_1) | instid1(VALU_DEP_3)
	v_cndmask_b32_e64 v0, v1, v0, s1
	v_cmp_gt_i32_e64 s1, 32, v4
	v_add3_u32 v7, v7, v8, 0
	s_delay_alu instid0(VALU_DEP_2)
	v_cndmask_b32_e64 v6, v1, v4, s1
	v_cmp_gt_i32_e64 s1, 32, v5
	s_waitcnt lgkmcnt(0)
	s_cmp_eq_u64 s[8:9], 0
	v_lshlrev_b32_e32 v4, 2, v0
	s_cselect_b32 s3, -1, 0
	s_lshl_b64 s[10:11], s[14:15], 8
	v_cndmask_b32_e64 v1, v1, v5, s1
	s_add_u32 s1, s8, s10
	s_addc_u32 s2, s9, s11
	v_add_co_u32 v0, s1, s1, v8
	v_lshlrev_b32_e32 v5, 2, v6
	v_lshlrev_b32_e32 v6, 2, v1
	v_add_co_ci_u32_e64 v1, null, s2, 0, s1
                                        ; implicit-def: $vgpr8
	s_set_inst_prefetch_distance 0x1
	s_branch .LBB147_86
	.p2align	6
.LBB147_85:                             ;   in Loop: Header=BB147_86 Depth=1
	s_or_b32 exec_lo, exec_lo, s1
	v_add_co_u32 v3, s1, v3, 16
	s_delay_alu instid0(VALU_DEP_1) | instskip(SKIP_1) | instid1(VALU_DEP_3)
	v_add_co_ci_u32_e64 v2, s1, 0, v2, s1
	v_add_co_u32 v0, s2, v0, 64
	v_add_nc_u32_e32 v9, -16, v3
	v_add_nc_u32_e32 v7, 64, v7
	v_add_co_ci_u32_e64 v1, s2, 0, v1, s2
	s_delay_alu instid0(VALU_DEP_3) | instskip(NEXT) | instid1(VALU_DEP_1)
	v_cmp_lt_u32_e64 s1, 47, v9
	s_or_b32 s15, s1, s15
	s_delay_alu instid0(SALU_CYCLE_1)
	s_and_not1_b32 exec_lo, exec_lo, s15
	s_cbranch_execz .LBB147_90
.LBB147_86:                             ; =>This Inner Loop Header: Depth=1
	s_and_saveexec_b32 s1, s0
	s_cbranch_execz .LBB147_88
; %bb.87:                               ;   in Loop: Header=BB147_86 Depth=1
	ds_load_b32 v8, v7
.LBB147_88:                             ;   in Loop: Header=BB147_86 Depth=1
	s_or_b32 exec_lo, exec_lo, s1
	s_waitcnt lgkmcnt(0)
	ds_bpermute_b32 v9, v4, v8
	s_waitcnt lgkmcnt(0)
	v_add_f32_e32 v8, v8, v9
	ds_bpermute_b32 v9, v5, v8
	s_waitcnt lgkmcnt(0)
	v_add_f32_e32 v10, v8, v9
	v_add_co_u32 v8, s1, s4, v3
	s_delay_alu instid0(VALU_DEP_1) | instskip(SKIP_2) | instid1(VALU_DEP_1)
	v_add_co_ci_u32_e64 v9, s1, s5, v2, s1
	ds_bpermute_b32 v11, v6, v10
	v_cmp_le_i64_e64 s1, s[6:7], v[8:9]
	s_or_b32 s1, vcc_lo, s1
	s_delay_alu instid0(SALU_CYCLE_1) | instskip(NEXT) | instid1(SALU_CYCLE_1)
	s_or_b32 s1, s3, s1
	s_xor_b32 s2, s1, -1
	s_waitcnt lgkmcnt(0)
	v_add_f32_e32 v8, v10, v11
	s_and_saveexec_b32 s1, s2
	s_cbranch_execz .LBB147_85
; %bb.89:                               ;   in Loop: Header=BB147_86 Depth=1
	global_store_b32 v[0:1], v8, off
	s_branch .LBB147_85
.LBB147_90:
	s_set_inst_prefetch_distance 0x2
	s_nop 0
	s_sendmsg sendmsg(MSG_DEALLOC_VGPRS)
	s_endpgm
	.section	.rodata,"a",@progbits
	.p2align	6, 0x0
	.amdhsa_kernel _ZN2at6native12_GLOBAL__N_135GammaBetaBackwardCUDAKernelTemplateIffLj64ELj8ELj64ELb0ELb0ELb1EEEvllPKT_S5_PKT0_S8_PS3_S9_
		.amdhsa_group_segment_fixed_size 0
		.amdhsa_private_segment_fixed_size 0
		.amdhsa_kernarg_size 320
		.amdhsa_user_sgpr_count 14
		.amdhsa_user_sgpr_dispatch_ptr 0
		.amdhsa_user_sgpr_queue_ptr 0
		.amdhsa_user_sgpr_kernarg_segment_ptr 1
		.amdhsa_user_sgpr_dispatch_id 0
		.amdhsa_user_sgpr_private_segment_size 0
		.amdhsa_wavefront_size32 1
		.amdhsa_uses_dynamic_stack 0
		.amdhsa_enable_private_segment 0
		.amdhsa_system_sgpr_workgroup_id_x 1
		.amdhsa_system_sgpr_workgroup_id_y 1
		.amdhsa_system_sgpr_workgroup_id_z 0
		.amdhsa_system_sgpr_workgroup_info 0
		.amdhsa_system_vgpr_workitem_id 1
		.amdhsa_next_free_vgpr 94
		.amdhsa_next_free_sgpr 37
		.amdhsa_reserve_vcc 1
		.amdhsa_float_round_mode_32 0
		.amdhsa_float_round_mode_16_64 0
		.amdhsa_float_denorm_mode_32 3
		.amdhsa_float_denorm_mode_16_64 3
		.amdhsa_dx10_clamp 1
		.amdhsa_ieee_mode 1
		.amdhsa_fp16_overflow 0
		.amdhsa_workgroup_processor_mode 1
		.amdhsa_memory_ordered 1
		.amdhsa_forward_progress 0
		.amdhsa_shared_vgpr_count 0
		.amdhsa_exception_fp_ieee_invalid_op 0
		.amdhsa_exception_fp_denorm_src 0
		.amdhsa_exception_fp_ieee_div_zero 0
		.amdhsa_exception_fp_ieee_overflow 0
		.amdhsa_exception_fp_ieee_underflow 0
		.amdhsa_exception_fp_ieee_inexact 0
		.amdhsa_exception_int_div_zero 0
	.end_amdhsa_kernel
	.section	.text._ZN2at6native12_GLOBAL__N_135GammaBetaBackwardCUDAKernelTemplateIffLj64ELj8ELj64ELb0ELb0ELb1EEEvllPKT_S5_PKT0_S8_PS3_S9_,"axG",@progbits,_ZN2at6native12_GLOBAL__N_135GammaBetaBackwardCUDAKernelTemplateIffLj64ELj8ELj64ELb0ELb0ELb1EEEvllPKT_S5_PKT0_S8_PS3_S9_,comdat
.Lfunc_end147:
	.size	_ZN2at6native12_GLOBAL__N_135GammaBetaBackwardCUDAKernelTemplateIffLj64ELj8ELj64ELb0ELb0ELb1EEEvllPKT_S5_PKT0_S8_PS3_S9_, .Lfunc_end147-_ZN2at6native12_GLOBAL__N_135GammaBetaBackwardCUDAKernelTemplateIffLj64ELj8ELj64ELb0ELb0ELb1EEEvllPKT_S5_PKT0_S8_PS3_S9_
                                        ; -- End function
	.section	.AMDGPU.csdata,"",@progbits
; Kernel info:
; codeLenInByte = 7316
; NumSgprs: 39
; NumVgprs: 94
; ScratchSize: 0
; MemoryBound: 0
; FloatMode: 240
; IeeeMode: 1
; LDSByteSize: 0 bytes/workgroup (compile time only)
; SGPRBlocks: 4
; VGPRBlocks: 11
; NumSGPRsForWavesPerEU: 39
; NumVGPRsForWavesPerEU: 94
; Occupancy: 16
; WaveLimiterHint : 0
; COMPUTE_PGM_RSRC2:SCRATCH_EN: 0
; COMPUTE_PGM_RSRC2:USER_SGPR: 14
; COMPUTE_PGM_RSRC2:TRAP_HANDLER: 0
; COMPUTE_PGM_RSRC2:TGID_X_EN: 1
; COMPUTE_PGM_RSRC2:TGID_Y_EN: 1
; COMPUTE_PGM_RSRC2:TGID_Z_EN: 0
; COMPUTE_PGM_RSRC2:TIDIG_COMP_CNT: 1
	.section	.text._ZN2at6native12_GLOBAL__N_135GammaBetaBackwardCUDAKernelTemplateIffLj64ELj16ELj128ELb0ELb1ELb1EEEvllPKT_S5_PKT0_S8_PS3_S9_,"axG",@progbits,_ZN2at6native12_GLOBAL__N_135GammaBetaBackwardCUDAKernelTemplateIffLj64ELj16ELj128ELb0ELb1ELb1EEEvllPKT_S5_PKT0_S8_PS3_S9_,comdat
	.globl	_ZN2at6native12_GLOBAL__N_135GammaBetaBackwardCUDAKernelTemplateIffLj64ELj16ELj128ELb0ELb1ELb1EEEvllPKT_S5_PKT0_S8_PS3_S9_ ; -- Begin function _ZN2at6native12_GLOBAL__N_135GammaBetaBackwardCUDAKernelTemplateIffLj64ELj16ELj128ELb0ELb1ELb1EEEvllPKT_S5_PKT0_S8_PS3_S9_
	.p2align	8
	.type	_ZN2at6native12_GLOBAL__N_135GammaBetaBackwardCUDAKernelTemplateIffLj64ELj16ELj128ELb0ELb1ELb1EEEvllPKT_S5_PKT0_S8_PS3_S9_,@function
_ZN2at6native12_GLOBAL__N_135GammaBetaBackwardCUDAKernelTemplateIffLj64ELj16ELj128ELb0ELb1ELb1EEEvllPKT_S5_PKT0_S8_PS3_S9_: ; @_ZN2at6native12_GLOBAL__N_135GammaBetaBackwardCUDAKernelTemplateIffLj64ELj16ELj128ELb0ELb1ELb1EEEvllPKT_S5_PKT0_S8_PS3_S9_
; %bb.0:
	s_load_b128 s[4:7], s[0:1], 0x0
	s_mov_b32 s13, 0
	s_lshl_b32 s12, s15, 7
	v_bfe_u32 v7, v0, 10, 10
	s_waitcnt lgkmcnt(0)
	v_cmp_lt_i64_e64 s2, s[12:13], s[4:5]
	s_delay_alu instid0(VALU_DEP_1)
	s_and_b32 vcc_lo, exec_lo, s2
	s_cbranch_vccnz .LBB148_2
; %bb.1:
	v_bfe_u32 v1, v0, 10, 10
	s_mov_b32 s8, 0
	s_mov_b32 s9, s13
	s_branch .LBB148_3
.LBB148_2:
	s_mov_b32 s9, -1
                                        ; implicit-def: $sgpr8
                                        ; implicit-def: $vgpr1
.LBB148_3:
	s_load_b64 s[2:3], s[0:1], 0x30
	v_and_b32_e32 v6, 0x3ff, v0
	v_mov_b32_e32 v0, s8
	s_and_not1_b32 vcc_lo, exec_lo, s9
	s_cbranch_vccnz .LBB148_11
; %bb.4:
	s_clause 0x3
	s_load_b32 s15, s[0:1], 0x4c
	s_load_b32 s16, s[0:1], 0x44
	s_load_b128 s[8:11], s[0:1], 0x10
	s_load_b64 s[18:19], s[0:1], 0x28
	v_dual_mov_b32 v9, 4 :: v_dual_lshlrev_b32 v2, 3, v7
	v_dual_mov_b32 v8, 8 :: v_dual_mov_b32 v1, 0
	v_lshl_add_u32 v0, s14, 6, v6
	s_delay_alu instid0(VALU_DEP_3) | instskip(NEXT) | instid1(VALU_DEP_1)
	v_add_co_u32 v2, s1, v2, s12
	v_add_co_ci_u32_e64 v3, null, 0, 0, s1
	s_delay_alu instid0(VALU_DEP_3) | instskip(NEXT) | instid1(VALU_DEP_3)
	v_lshlrev_b64 v[15:16], 2, v[0:1]
	v_mul_lo_u32 v17, s7, v2
	v_dual_mov_b32 v10, 12 :: v_dual_mov_b32 v11, 16
	s_delay_alu instid0(VALU_DEP_4)
	v_mul_lo_u32 v18, s6, v3
	v_dual_mov_b32 v13, 24 :: v_dual_mov_b32 v14, 28
	s_waitcnt lgkmcnt(0)
	s_and_b32 s0, s15, 0xffff
	s_lshl_b32 s16, s16, 7
	v_mad_u32_u24 v4, v7, s0, v6
	v_mov_b32_e32 v12, 20
	s_mul_i32 s1, s7, s16
	s_mul_hi_u32 s15, s6, s16
	s_delay_alu instid0(VALU_DEP_2) | instskip(SKIP_3) | instid1(VALU_DEP_2)
	v_dual_mov_b32 v0, 0 :: v_dual_and_b32 v21, 31, v4
	v_mad_u64_u32 v[4:5], null, s6, v2, 0
	s_mov_b32 s17, 0
	s_add_i32 s21, s15, s1
	v_add_co_u32 v2, vcc_lo, v2, v21
	v_add_co_ci_u32_e32 v3, vcc_lo, 0, v3, vcc_lo
	s_delay_alu instid0(VALU_DEP_3) | instskip(SKIP_2) | instid1(VALU_DEP_3)
	v_add3_u32 v5, v5, v18, v17
	v_cmp_gt_u32_e64 s0, 8, v21
	s_mul_i32 s20, s6, s16
	v_lshlrev_b64 v[17:18], 2, v[2:3]
	s_lshl_b64 s[20:21], s[20:21], 2
	v_lshlrev_b64 v[19:20], 2, v[4:5]
	s_lshl_b64 s[6:7], s[6:7], 2
	s_delay_alu instid0(VALU_DEP_2) | instskip(NEXT) | instid1(VALU_DEP_3)
	v_add_co_u32 v4, vcc_lo, s18, v17
	v_add_co_ci_u32_e32 v5, vcc_lo, s19, v18, vcc_lo
	s_delay_alu instid0(VALU_DEP_3) | instskip(NEXT) | instid1(VALU_DEP_4)
	v_add_co_u32 v15, vcc_lo, v19, v15
	v_add_co_ci_u32_e32 v16, vcc_lo, v20, v16, vcc_lo
	s_lshl_b64 s[18:19], s[16:17], 2
	s_branch .LBB148_7
.LBB148_5:                              ;   in Loop: Header=BB148_7 Depth=1
	s_or_b32 exec_lo, exec_lo, s15
.LBB148_6:                              ;   in Loop: Header=BB148_7 Depth=1
	s_delay_alu instid0(SALU_CYCLE_1) | instskip(SKIP_4) | instid1(VALU_DEP_4)
	s_or_b32 exec_lo, exec_lo, s1
	v_add_co_u32 v18, vcc_lo, s8, v15
	v_add_co_ci_u32_e32 v19, vcc_lo, s9, v16, vcc_lo
	v_add_co_u32 v20, vcc_lo, s10, v15
	v_add_co_ci_u32_e32 v21, vcc_lo, s11, v16, vcc_lo
	v_add_co_u32 v22, vcc_lo, v18, s6
	s_delay_alu instid0(VALU_DEP_4) | instskip(NEXT) | instid1(VALU_DEP_4)
	v_add_co_ci_u32_e32 v23, vcc_lo, s7, v19, vcc_lo
	v_add_co_u32 v24, vcc_lo, v20, s6
	s_delay_alu instid0(VALU_DEP_4) | instskip(NEXT) | instid1(VALU_DEP_4)
	v_add_co_ci_u32_e32 v25, vcc_lo, s7, v21, vcc_lo
	v_add_co_u32 v26, vcc_lo, v22, s6
	s_delay_alu instid0(VALU_DEP_4)
	v_add_co_ci_u32_e32 v27, vcc_lo, s7, v23, vcc_lo
	global_load_b32 v28, v[18:19], off
	global_load_b32 v29, v[20:21], off
	;; [unrolled: 1-line block ×5, first 2 shown]
	v_add_co_u32 v18, vcc_lo, v24, s6
	v_add_co_ci_u32_e32 v19, vcc_lo, s7, v25, vcc_lo
	v_add_co_u32 v20, vcc_lo, v26, s6
	v_add_co_ci_u32_e32 v21, vcc_lo, s7, v27, vcc_lo
	s_delay_alu instid0(VALU_DEP_4) | instskip(NEXT) | instid1(VALU_DEP_4)
	v_add_co_u32 v22, vcc_lo, v18, s6
	v_add_co_ci_u32_e32 v23, vcc_lo, s7, v19, vcc_lo
	s_delay_alu instid0(VALU_DEP_4) | instskip(NEXT) | instid1(VALU_DEP_4)
	;; [unrolled: 3-line block ×3, first 2 shown]
	v_add_co_u32 v26, vcc_lo, v22, s6
	v_add_co_ci_u32_e32 v27, vcc_lo, s7, v23, vcc_lo
	global_load_b32 v33, v[18:19], off
	global_load_b32 v34, v[20:21], off
	;; [unrolled: 1-line block ×5, first 2 shown]
	v_add_co_u32 v18, vcc_lo, v24, s6
	v_add_co_ci_u32_e32 v19, vcc_lo, s7, v25, vcc_lo
	v_add_co_u32 v20, vcc_lo, v26, s6
	v_add_co_ci_u32_e32 v21, vcc_lo, s7, v27, vcc_lo
	s_delay_alu instid0(VALU_DEP_4) | instskip(NEXT) | instid1(VALU_DEP_4)
	v_add_co_u32 v22, vcc_lo, v18, s6
	v_add_co_ci_u32_e32 v23, vcc_lo, s7, v19, vcc_lo
	s_delay_alu instid0(VALU_DEP_4) | instskip(NEXT) | instid1(VALU_DEP_4)
	v_add_co_u32 v24, vcc_lo, v20, s6
	v_add_co_ci_u32_e32 v25, vcc_lo, s7, v21, vcc_lo
	global_load_b32 v26, v[18:19], off
	global_load_b32 v27, v[20:21], off
	;; [unrolled: 1-line block ×4, first 2 shown]
	v_add_co_u32 v18, vcc_lo, v22, s6
	v_add_co_ci_u32_e32 v19, vcc_lo, s7, v23, vcc_lo
	v_add_co_u32 v20, vcc_lo, v24, s6
	v_add_co_ci_u32_e32 v21, vcc_lo, s7, v25, vcc_lo
	global_load_b32 v18, v[18:19], off
	global_load_b32 v19, v[20:21], off
	s_waitcnt vmcnt(16)
	ds_bpermute_b32 v20, v1, v17
	ds_bpermute_b32 v21, v9, v17
	;; [unrolled: 1-line block ×4, first 2 shown]
	v_add_co_u32 v4, vcc_lo, v4, s18
	s_add_u32 s12, s12, s16
	v_add_co_ci_u32_e32 v5, vcc_lo, s19, v5, vcc_lo
	s_addc_u32 s13, s13, 0
	v_add_co_u32 v2, vcc_lo, v2, s16
	v_add_co_ci_u32_e32 v3, vcc_lo, 0, v3, vcc_lo
	v_cmp_lt_i64_e64 s1, s[12:13], s[4:5]
	v_add_co_u32 v15, vcc_lo, v15, s20
	v_add_co_ci_u32_e32 v16, vcc_lo, s21, v16, vcc_lo
	s_delay_alu instid0(VALU_DEP_3) | instskip(SKIP_3) | instid1(VALU_DEP_1)
	s_and_b32 vcc_lo, exec_lo, s1
	s_waitcnt vmcnt(14)
	v_mul_f32_e32 v23, v28, v29
	s_waitcnt lgkmcnt(3)
	v_fmac_f32_e32 v0, v23, v20
	s_waitcnt vmcnt(12)
	v_mul_f32_e32 v20, v30, v31
	ds_bpermute_b32 v23, v11, v17
	s_waitcnt lgkmcnt(3)
	v_fmac_f32_e32 v0, v20, v21
	ds_bpermute_b32 v21, v12, v17
	s_waitcnt vmcnt(10)
	v_mul_f32_e32 v20, v32, v33
	s_waitcnt lgkmcnt(3)
	s_delay_alu instid0(VALU_DEP_1)
	v_fmac_f32_e32 v0, v20, v22
	s_waitcnt vmcnt(8)
	v_mul_f32_e32 v20, v34, v35
	ds_bpermute_b32 v22, v13, v17
	ds_bpermute_b32 v17, v14, v17
	s_waitcnt lgkmcnt(4)
	v_fmac_f32_e32 v0, v20, v24
	s_waitcnt vmcnt(6)
	v_mul_f32_e32 v20, v36, v37
	s_waitcnt lgkmcnt(3)
	s_delay_alu instid0(VALU_DEP_1) | instskip(SKIP_3) | instid1(VALU_DEP_1)
	v_fmac_f32_e32 v0, v20, v23
	s_waitcnt vmcnt(4)
	v_mul_f32_e32 v20, v26, v27
	s_waitcnt lgkmcnt(2)
	v_fmac_f32_e32 v0, v20, v21
	s_waitcnt vmcnt(2)
	v_mul_f32_e32 v20, v38, v39
	s_waitcnt lgkmcnt(1)
	s_delay_alu instid0(VALU_DEP_1) | instskip(SKIP_3) | instid1(VALU_DEP_1)
	v_fmac_f32_e32 v0, v20, v22
	s_waitcnt vmcnt(0)
	v_mul_f32_e32 v18, v18, v19
	s_waitcnt lgkmcnt(0)
	v_fmac_f32_e32 v0, v18, v17
	s_cbranch_vccz .LBB148_10
.LBB148_7:                              ; =>This Inner Loop Header: Depth=1
	v_mov_b32_e32 v17, 0
	s_and_saveexec_b32 s1, s0
	s_cbranch_execz .LBB148_6
; %bb.8:                                ;   in Loop: Header=BB148_7 Depth=1
	v_mov_b32_e32 v17, 0
	s_mov_b32 s15, exec_lo
	v_cmpx_gt_i64_e64 s[4:5], v[2:3]
	s_cbranch_execz .LBB148_5
; %bb.9:                                ;   in Loop: Header=BB148_7 Depth=1
	global_load_b32 v17, v[4:5], off
	s_branch .LBB148_5
.LBB148_10:
	v_mov_b32_e32 v1, v7
.LBB148_11:
	s_delay_alu instid0(VALU_DEP_1) | instskip(SKIP_3) | instid1(VALU_DEP_2)
	v_mad_u32_u24 v2, 0x41, v1, v6
	v_mov_b32_e32 v3, 0
	s_mov_b32 s15, 0
	s_mov_b32 s0, exec_lo
	v_sub_nc_u32_e32 v1, v2, v1
	v_lshl_add_u32 v2, v2, 2, 0
	ds_store_b32 v2, v0
	ds_store_b32 v2, v3 offset:4160
	s_waitcnt lgkmcnt(0)
	s_barrier
	buffer_gl0_inv
	v_cmpx_gt_u32_e32 0x800, v1
	s_cbranch_execz .LBB148_18
; %bb.12:
	v_mbcnt_lo_u32_b32 v2, -1, 0
	v_cmp_eq_u32_e64 s0, 0, v6
	s_cmp_lg_u64 s[2:3], 0
	v_and_b32_e32 v0, 31, v6
	s_cselect_b32 s1, -1, 0
	v_xor_b32_e32 v3, 8, v2
	s_and_b32 s1, s0, s1
	v_xor_b32_e32 v4, 4, v2
	v_xor_b32_e32 v5, 2, v2
	;; [unrolled: 1-line block ×3, first 2 shown]
	v_cmp_gt_i32_e64 s0, 32, v3
	v_lshrrev_b32_e32 v1, 5, v1
	v_cmp_gt_u32_e32 vcc_lo, 16, v0
	v_mul_u32_u24_e32 v0, 0x104, v0
	s_lshl_b64 s[4:5], s[14:15], 8
	v_cndmask_b32_e64 v3, v2, v3, s0
	v_cmp_gt_i32_e64 s0, 32, v4
	v_lshlrev_b32_e32 v8, 2, v1
	v_subrev_nc_u32_e32 v7, 32, v1
	s_delay_alu instid0(VALU_DEP_3) | instskip(SKIP_1) | instid1(VALU_DEP_1)
	v_cndmask_b32_e64 v4, v2, v4, s0
	v_cmp_gt_i32_e64 s0, 32, v5
	v_cndmask_b32_e64 v5, v2, v5, s0
	v_cmp_gt_i32_e64 s0, 32, v6
	s_delay_alu instid0(VALU_DEP_1)
	v_cndmask_b32_e64 v6, v2, v6, s0
	s_add_u32 s0, s2, s4
	v_lshlrev_b32_e32 v2, 2, v3
	v_lshlrev_b32_e32 v3, 2, v4
	;; [unrolled: 1-line block ×4, first 2 shown]
	v_add3_u32 v6, v0, v8, 0
	s_addc_u32 s2, s3, s5
	v_add_co_u32 v0, s0, s0, v8
	s_delay_alu instid0(VALU_DEP_1)
	v_add_co_ci_u32_e64 v1, null, s2, 0, s0
                                        ; implicit-def: $vgpr8
	s_set_inst_prefetch_distance 0x1
	s_branch .LBB148_14
	.p2align	6
.LBB148_13:                             ;   in Loop: Header=BB148_14 Depth=1
	s_or_b32 exec_lo, exec_lo, s0
	v_add_co_u32 v7, s0, v7, 32
	s_delay_alu instid0(VALU_DEP_1) | instskip(SKIP_4) | instid1(SALU_CYCLE_1)
	s_xor_b32 s2, s0, -1
	v_add_co_u32 v0, s0, 0x80, v0
	v_add_nc_u32_e32 v6, 0x80, v6
	v_add_co_ci_u32_e64 v1, s0, 0, v1, s0
	s_and_b32 s0, exec_lo, s2
	s_or_b32 s15, s0, s15
	s_delay_alu instid0(SALU_CYCLE_1)
	s_and_not1_b32 exec_lo, exec_lo, s15
	s_cbranch_execz .LBB148_18
.LBB148_14:                             ; =>This Inner Loop Header: Depth=1
	s_and_saveexec_b32 s0, vcc_lo
	s_cbranch_execz .LBB148_16
; %bb.15:                               ;   in Loop: Header=BB148_14 Depth=1
	ds_load_b32 v8, v6
.LBB148_16:                             ;   in Loop: Header=BB148_14 Depth=1
	s_or_b32 exec_lo, exec_lo, s0
	s_waitcnt lgkmcnt(0)
	ds_bpermute_b32 v9, v2, v8
	s_waitcnt lgkmcnt(0)
	v_add_f32_e32 v8, v8, v9
	ds_bpermute_b32 v9, v3, v8
	s_waitcnt lgkmcnt(0)
	v_add_f32_e32 v8, v8, v9
	;; [unrolled: 3-line block ×4, first 2 shown]
	s_and_saveexec_b32 s0, s1
	s_cbranch_execz .LBB148_13
; %bb.17:                               ;   in Loop: Header=BB148_14 Depth=1
	global_store_b32 v[0:1], v8, off
	s_branch .LBB148_13
.LBB148_18:
	s_set_inst_prefetch_distance 0x2
	s_nop 0
	s_sendmsg sendmsg(MSG_DEALLOC_VGPRS)
	s_endpgm
	.section	.rodata,"a",@progbits
	.p2align	6, 0x0
	.amdhsa_kernel _ZN2at6native12_GLOBAL__N_135GammaBetaBackwardCUDAKernelTemplateIffLj64ELj16ELj128ELb0ELb1ELb1EEEvllPKT_S5_PKT0_S8_PS3_S9_
		.amdhsa_group_segment_fixed_size 0
		.amdhsa_private_segment_fixed_size 0
		.amdhsa_kernarg_size 320
		.amdhsa_user_sgpr_count 14
		.amdhsa_user_sgpr_dispatch_ptr 0
		.amdhsa_user_sgpr_queue_ptr 0
		.amdhsa_user_sgpr_kernarg_segment_ptr 1
		.amdhsa_user_sgpr_dispatch_id 0
		.amdhsa_user_sgpr_private_segment_size 0
		.amdhsa_wavefront_size32 1
		.amdhsa_uses_dynamic_stack 0
		.amdhsa_enable_private_segment 0
		.amdhsa_system_sgpr_workgroup_id_x 1
		.amdhsa_system_sgpr_workgroup_id_y 1
		.amdhsa_system_sgpr_workgroup_id_z 0
		.amdhsa_system_sgpr_workgroup_info 0
		.amdhsa_system_vgpr_workitem_id 1
		.amdhsa_next_free_vgpr 40
		.amdhsa_next_free_sgpr 22
		.amdhsa_reserve_vcc 1
		.amdhsa_float_round_mode_32 0
		.amdhsa_float_round_mode_16_64 0
		.amdhsa_float_denorm_mode_32 3
		.amdhsa_float_denorm_mode_16_64 3
		.amdhsa_dx10_clamp 1
		.amdhsa_ieee_mode 1
		.amdhsa_fp16_overflow 0
		.amdhsa_workgroup_processor_mode 1
		.amdhsa_memory_ordered 1
		.amdhsa_forward_progress 0
		.amdhsa_shared_vgpr_count 0
		.amdhsa_exception_fp_ieee_invalid_op 0
		.amdhsa_exception_fp_denorm_src 0
		.amdhsa_exception_fp_ieee_div_zero 0
		.amdhsa_exception_fp_ieee_overflow 0
		.amdhsa_exception_fp_ieee_underflow 0
		.amdhsa_exception_fp_ieee_inexact 0
		.amdhsa_exception_int_div_zero 0
	.end_amdhsa_kernel
	.section	.text._ZN2at6native12_GLOBAL__N_135GammaBetaBackwardCUDAKernelTemplateIffLj64ELj16ELj128ELb0ELb1ELb1EEEvllPKT_S5_PKT0_S8_PS3_S9_,"axG",@progbits,_ZN2at6native12_GLOBAL__N_135GammaBetaBackwardCUDAKernelTemplateIffLj64ELj16ELj128ELb0ELb1ELb1EEEvllPKT_S5_PKT0_S8_PS3_S9_,comdat
.Lfunc_end148:
	.size	_ZN2at6native12_GLOBAL__N_135GammaBetaBackwardCUDAKernelTemplateIffLj64ELj16ELj128ELb0ELb1ELb1EEEvllPKT_S5_PKT0_S8_PS3_S9_, .Lfunc_end148-_ZN2at6native12_GLOBAL__N_135GammaBetaBackwardCUDAKernelTemplateIffLj64ELj16ELj128ELb0ELb1ELb1EEEvllPKT_S5_PKT0_S8_PS3_S9_
                                        ; -- End function
	.section	.AMDGPU.csdata,"",@progbits
; Kernel info:
; codeLenInByte = 1560
; NumSgprs: 24
; NumVgprs: 40
; ScratchSize: 0
; MemoryBound: 0
; FloatMode: 240
; IeeeMode: 1
; LDSByteSize: 0 bytes/workgroup (compile time only)
; SGPRBlocks: 2
; VGPRBlocks: 4
; NumSGPRsForWavesPerEU: 24
; NumVGPRsForWavesPerEU: 40
; Occupancy: 16
; WaveLimiterHint : 0
; COMPUTE_PGM_RSRC2:SCRATCH_EN: 0
; COMPUTE_PGM_RSRC2:USER_SGPR: 14
; COMPUTE_PGM_RSRC2:TRAP_HANDLER: 0
; COMPUTE_PGM_RSRC2:TGID_X_EN: 1
; COMPUTE_PGM_RSRC2:TGID_Y_EN: 1
; COMPUTE_PGM_RSRC2:TGID_Z_EN: 0
; COMPUTE_PGM_RSRC2:TIDIG_COMP_CNT: 1
	.section	.text._ZN2at6native12_GLOBAL__N_135GammaBetaBackwardCUDAKernelTemplateIffLj64ELj16ELj128ELb0ELb0ELb1EEEvllPKT_S5_PKT0_S8_PS3_S9_,"axG",@progbits,_ZN2at6native12_GLOBAL__N_135GammaBetaBackwardCUDAKernelTemplateIffLj64ELj16ELj128ELb0ELb0ELb1EEEvllPKT_S5_PKT0_S8_PS3_S9_,comdat
	.globl	_ZN2at6native12_GLOBAL__N_135GammaBetaBackwardCUDAKernelTemplateIffLj64ELj16ELj128ELb0ELb0ELb1EEEvllPKT_S5_PKT0_S8_PS3_S9_ ; -- Begin function _ZN2at6native12_GLOBAL__N_135GammaBetaBackwardCUDAKernelTemplateIffLj64ELj16ELj128ELb0ELb0ELb1EEEvllPKT_S5_PKT0_S8_PS3_S9_
	.p2align	8
	.type	_ZN2at6native12_GLOBAL__N_135GammaBetaBackwardCUDAKernelTemplateIffLj64ELj16ELj128ELb0ELb0ELb1EEEvllPKT_S5_PKT0_S8_PS3_S9_,@function
_ZN2at6native12_GLOBAL__N_135GammaBetaBackwardCUDAKernelTemplateIffLj64ELj16ELj128ELb0ELb0ELb1EEEvllPKT_S5_PKT0_S8_PS3_S9_: ; @_ZN2at6native12_GLOBAL__N_135GammaBetaBackwardCUDAKernelTemplateIffLj64ELj16ELj128ELb0ELb0ELb1EEEvllPKT_S5_PKT0_S8_PS3_S9_
; %bb.0:
	s_clause 0x1
	s_load_b256 s[4:11], s[0:1], 0x0
	s_load_b64 s[12:13], s[0:1], 0x28
	s_lshl_b32 s33, s14, 6
	s_mov_b32 s25, 0
	s_or_b32 s24, s33, 63
	s_waitcnt lgkmcnt(0)
	v_cmp_ge_i64_e64 s2, s[24:25], s[6:7]
	s_lshl_b32 s24, s15, 7
	s_delay_alu instid0(SALU_CYCLE_1) | instskip(NEXT) | instid1(VALU_DEP_2)
	v_cmp_lt_i64_e64 s15, s[24:25], s[4:5]
	s_and_b32 vcc_lo, exec_lo, s2
	s_delay_alu instid0(VALU_DEP_1) | instskip(NEXT) | instid1(VALU_DEP_1)
	v_cndmask_b32_e64 v1, 0, 1, s15
	v_cmp_ne_u32_e64 s2, 1, v1
	s_cbranch_vccz .LBB149_49
; %bb.1:
	v_mov_b32_e32 v1, 0
	s_delay_alu instid0(VALU_DEP_2)
	s_and_b32 vcc_lo, exec_lo, s2
	s_cbranch_vccnz .LBB149_50
; %bb.2:
	v_bfe_u32 v27, v0, 10, 10
	s_load_b32 s3, s[0:1], 0x44
	v_dual_mov_b32 v2, 0 :: v_dual_and_b32 v29, 0x3ff, v0
	s_add_u32 s26, s0, 64
	s_delay_alu instid0(VALU_DEP_2) | instskip(NEXT) | instid1(VALU_DEP_2)
	v_lshlrev_b32_e32 v28, 3, v27
	v_dual_mov_b32 v62, 0 :: v_dual_add_nc_u32 v1, s33, v29
	s_addc_u32 s27, s1, 0
	s_mov_b32 s16, 0
	s_delay_alu instid0(VALU_DEP_2) | instskip(NEXT) | instid1(VALU_DEP_1)
	v_add_co_u32 v9, s2, v28, s24
	v_add_co_ci_u32_e64 v10, null, 0, 0, s2
	v_cmp_gt_i64_e64 s2, s[6:7], v[1:2]
	s_delay_alu instid0(VALU_DEP_3) | instskip(NEXT) | instid1(VALU_DEP_3)
	v_add_co_u32 v5, vcc_lo, v9, 7
	v_add_co_ci_u32_e32 v3, vcc_lo, 0, v10, vcc_lo
	v_add_co_u32 v8, vcc_lo, v9, 6
	s_delay_alu instid0(VALU_DEP_3) | instskip(NEXT) | instid1(VALU_DEP_3)
	v_mul_lo_u32 v6, s7, v5
	v_mul_lo_u32 v7, s6, v3
	v_mad_u64_u32 v[3:4], null, s6, v5, 0
	v_add_co_ci_u32_e32 v5, vcc_lo, 0, v10, vcc_lo
	v_lshlrev_b64 v[25:26], 2, v[1:2]
	v_mul_lo_u32 v1, s7, v8
	s_waitcnt lgkmcnt(0)
	s_lshl_b32 s36, s3, 7
	s_mov_b64 s[34:35], s[24:25]
	s_delay_alu instid0(VALU_DEP_4) | instskip(SKIP_3) | instid1(VALU_DEP_3)
	v_add3_u32 v4, v4, v7, v6
	v_mul_lo_u32 v7, s6, v5
	v_mad_u64_u32 v[5:6], null, s6, v8, 0
	s_mul_i32 s3, s7, s36
	v_lshlrev_b64 v[3:4], 2, v[3:4]
	s_mul_hi_u32 s17, s6, s36
	s_mul_i32 s18, s6, s36
	s_add_i32 s19, s17, s3
	s_delay_alu instid0(VALU_DEP_2) | instskip(NEXT) | instid1(VALU_DEP_2)
	v_add3_u32 v6, v6, v7, v1
	v_add_co_u32 v30, vcc_lo, s8, v3
	v_add_co_ci_u32_e32 v31, vcc_lo, s9, v4, vcc_lo
	v_add_co_u32 v1, vcc_lo, v9, 5
	v_add_co_u32 v32, s3, s10, v3
	s_delay_alu instid0(VALU_DEP_1) | instskip(SKIP_4) | instid1(VALU_DEP_3)
	v_add_co_ci_u32_e64 v33, s3, s11, v4, s3
	v_lshlrev_b64 v[3:4], 2, v[5:6]
	v_add_co_ci_u32_e32 v5, vcc_lo, 0, v10, vcc_lo
	v_add_co_u32 v12, vcc_lo, v9, 4
	v_mul_lo_u32 v11, s7, v1
	v_mul_lo_u32 v13, s6, v5
	v_mad_u64_u32 v[5:6], null, s6, v1, 0
	v_add_co_ci_u32_e32 v7, vcc_lo, 0, v10, vcc_lo
	v_mul_lo_u32 v1, s7, v12
	v_add_co_u32 v34, vcc_lo, s8, v3
	s_delay_alu instid0(VALU_DEP_3)
	v_mul_lo_u32 v14, s6, v7
	v_mad_u64_u32 v[7:8], null, s6, v12, 0
	v_add3_u32 v6, v6, v13, v11
	v_add_co_ci_u32_e32 v35, vcc_lo, s9, v4, vcc_lo
	v_add_co_u32 v36, vcc_lo, s10, v3
	v_add_co_ci_u32_e32 v37, vcc_lo, s11, v4, vcc_lo
	s_delay_alu instid0(VALU_DEP_4) | instskip(SKIP_3) | instid1(VALU_DEP_4)
	v_lshlrev_b64 v[3:4], 2, v[5:6]
	v_add3_u32 v8, v8, v14, v1
	v_add_co_u32 v1, vcc_lo, v9, 3
	v_add_co_ci_u32_e32 v11, vcc_lo, 0, v10, vcc_lo
	v_add_co_u32 v38, vcc_lo, s8, v3
	s_delay_alu instid0(VALU_DEP_4)
	v_lshlrev_b64 v[5:6], 2, v[7:8]
	v_add_co_ci_u32_e32 v39, vcc_lo, s9, v4, vcc_lo
	v_mul_lo_u32 v12, s7, v1
	v_mul_lo_u32 v11, s6, v11
	v_mad_u64_u32 v[7:8], null, s6, v1, 0
	v_add_co_u32 v40, vcc_lo, s10, v3
	v_add_co_ci_u32_e32 v41, vcc_lo, s11, v4, vcc_lo
	v_add_co_u32 v42, vcc_lo, s8, v5
	v_add_co_ci_u32_e32 v43, vcc_lo, s9, v6, vcc_lo
	v_add_co_u32 v1, vcc_lo, v9, 2
	v_add3_u32 v8, v8, v11, v12
	v_add_co_ci_u32_e32 v11, vcc_lo, 0, v10, vcc_lo
	v_add_co_u32 v44, vcc_lo, s10, v5
	v_add_co_ci_u32_e32 v45, vcc_lo, s11, v6, vcc_lo
	v_mul_lo_u32 v12, s7, v1
	s_delay_alu instid0(VALU_DEP_4)
	v_mul_lo_u32 v11, s6, v11
	v_mad_u64_u32 v[5:6], null, s6, v1, 0
	v_lshlrev_b64 v[3:4], 2, v[7:8]
	v_mul_lo_u32 v1, s7, v9
	v_mul_lo_u32 v10, s6, v10
	v_mad_u64_u32 v[7:8], null, s6, v9, 0
	s_lshl_b64 s[28:29], s[18:19], 2
	s_delay_alu instid0(VALU_DEP_4)
	v_add_co_u32 v46, vcc_lo, s8, v3
	v_add3_u32 v6, v6, v11, v12
	v_add_co_ci_u32_e32 v47, vcc_lo, s9, v4, vcc_lo
	v_add_co_u32 v48, vcc_lo, s10, v3
	v_add3_u32 v8, v8, v10, v1
	v_add_co_ci_u32_e32 v49, vcc_lo, s11, v4, vcc_lo
	v_lshlrev_b64 v[3:4], 2, v[5:6]
	v_add_co_u32 v5, vcc_lo, v7, s6
	s_delay_alu instid0(VALU_DEP_4) | instskip(SKIP_1) | instid1(VALU_DEP_3)
	v_add_co_ci_u32_e32 v6, vcc_lo, s7, v8, vcc_lo
	s_add_u32 s30, s24, 0x7f
	v_add_co_u32 v50, vcc_lo, s8, v3
	s_delay_alu instid0(VALU_DEP_2) | instskip(SKIP_3) | instid1(VALU_DEP_4)
	v_lshlrev_b64 v[5:6], 2, v[5:6]
	v_add_co_ci_u32_e32 v51, vcc_lo, s9, v4, vcc_lo
	v_add_co_u32 v52, vcc_lo, s10, v3
	v_add_co_ci_u32_e32 v53, vcc_lo, s11, v4, vcc_lo
	v_add_co_u32 v54, vcc_lo, s8, v5
	v_lshlrev_b64 v[3:4], 2, v[7:8]
	v_add_co_ci_u32_e32 v55, vcc_lo, s9, v6, vcc_lo
	v_add_co_u32 v56, vcc_lo, s10, v5
	v_add_co_ci_u32_e32 v57, vcc_lo, s11, v6, vcc_lo
	s_delay_alu instid0(VALU_DEP_4)
	v_add_co_u32 v58, vcc_lo, s8, v3
	v_add_co_ci_u32_e32 v59, vcc_lo, s9, v4, vcc_lo
	v_add_co_u32 v60, vcc_lo, s10, v3
	v_add_co_ci_u32_e32 v61, vcc_lo, s11, v4, vcc_lo
	s_addc_u32 s31, 0, 0
.LBB149_3:                              ; =>This Inner Loop Header: Depth=1
	s_delay_alu instid0(SALU_CYCLE_1) | instskip(SKIP_1) | instid1(VALU_DEP_1)
	v_cmp_ge_i64_e64 s3, s[30:31], s[4:5]
	v_add_co_u32 v63, s17, v28, s30
	v_add_co_ci_u32_e64 v64, null, 0, s31, s17
	s_delay_alu instid0(VALU_DEP_3)
	s_and_b32 vcc_lo, exec_lo, s3
	s_cbranch_vccz .LBB149_25
; %bb.4:                                ;   in Loop: Header=BB149_3 Depth=1
	s_load_b32 s3, s[26:27], 0xc
	v_mov_b32_e32 v65, 0
	s_waitcnt lgkmcnt(0)
	s_and_b32 s3, s3, 0xffff
	s_delay_alu instid0(SALU_CYCLE_1) | instskip(SKIP_1) | instid1(VALU_DEP_1)
	v_mad_u32_u24 v1, v27, s3, v29
	s_mov_b32 s3, exec_lo
	v_and_b32_e32 v1, 31, v1
	s_delay_alu instid0(VALU_DEP_1)
	v_cmpx_gt_u32_e32 8, v1
	s_cbranch_execz .LBB149_8
; %bb.5:                                ;   in Loop: Header=BB149_3 Depth=1
	v_add_co_u32 v1, vcc_lo, v63, v1
	v_add_co_ci_u32_e32 v4, vcc_lo, 0, v64, vcc_lo
	v_mov_b32_e32 v65, 0
	s_delay_alu instid0(VALU_DEP_3) | instskip(NEXT) | instid1(VALU_DEP_3)
	v_add_co_u32 v3, vcc_lo, 0xffffff81, v1
	v_add_co_ci_u32_e32 v4, vcc_lo, -1, v4, vcc_lo
	s_mov_b32 s17, exec_lo
	s_delay_alu instid0(VALU_DEP_1)
	v_cmpx_gt_i64_e64 s[4:5], v[3:4]
	s_cbranch_execz .LBB149_7
; %bb.6:                                ;   in Loop: Header=BB149_3 Depth=1
	v_lshlrev_b64 v[3:4], 2, v[3:4]
	s_delay_alu instid0(VALU_DEP_1) | instskip(NEXT) | instid1(VALU_DEP_2)
	v_add_co_u32 v3, vcc_lo, s12, v3
	v_add_co_ci_u32_e32 v4, vcc_lo, s13, v4, vcc_lo
	global_load_b32 v65, v[3:4], off
.LBB149_7:                              ;   in Loop: Header=BB149_3 Depth=1
	s_or_b32 exec_lo, exec_lo, s17
.LBB149_8:                              ;   in Loop: Header=BB149_3 Depth=1
	s_delay_alu instid0(SALU_CYCLE_1)
	s_or_b32 exec_lo, exec_lo, s3
	v_add_co_u32 v3, vcc_lo, 0xffffff81, v63
	v_add_co_ci_u32_e32 v4, vcc_lo, -1, v64, vcc_lo
	s_mov_b32 s22, s16
	s_mov_b32 s23, s16
	;; [unrolled: 1-line block ×7, first 2 shown]
	v_dual_mov_b32 v9, s16 :: v_dual_mov_b32 v10, s17
	v_dual_mov_b32 v15, s22 :: v_dual_mov_b32 v16, s23
	;; [unrolled: 1-line block ×4, first 2 shown]
	v_cmp_gt_i64_e32 vcc_lo, s[4:5], v[3:4]
	s_delay_alu instid0(VALU_DEP_4) | instskip(NEXT) | instid1(VALU_DEP_3)
	v_dual_mov_b32 v24, v16 :: v_dual_mov_b32 v23, v15
	v_dual_mov_b32 v21, v13 :: v_dual_mov_b32 v22, v14
	;; [unrolled: 1-line block ×4, first 2 shown]
	s_and_b32 s17, s2, vcc_lo
	s_delay_alu instid0(SALU_CYCLE_1)
	s_and_saveexec_b32 s3, s17
	s_cbranch_execz .LBB149_10
; %bb.9:                                ;   in Loop: Header=BB149_3 Depth=1
	v_add_co_u32 v3, vcc_lo, v58, v25
	v_add_co_ci_u32_e32 v4, vcc_lo, v59, v26, vcc_lo
	v_mov_b32_e32 v8, v2
	v_mov_b32_e32 v5, v2
	;; [unrolled: 1-line block ×3, first 2 shown]
	global_load_b32 v1, v[3:4], off
	v_add_co_u32 v3, vcc_lo, v60, v25
	v_add_co_ci_u32_e32 v4, vcc_lo, v61, v26, vcc_lo
	v_mov_b32_e32 v7, v2
	v_mov_b32_e32 v15, v2
	global_load_b32 v9, v[3:4], off
	v_mov_b32_e32 v3, v2
	v_mov_b32_e32 v4, v2
	s_waitcnt vmcnt(1)
	v_dual_mov_b32 v11, v2 :: v_dual_mov_b32 v24, v8
	v_dual_mov_b32 v10, v2 :: v_dual_mov_b32 v23, v7
	;; [unrolled: 1-line block ×5, first 2 shown]
	v_mov_b32_e32 v16, v2
	v_mov_b32_e32 v22, v6
	v_dual_mov_b32 v18, v2 :: v_dual_mov_b32 v17, v1
.LBB149_10:                             ;   in Loop: Header=BB149_3 Depth=1
	s_or_b32 exec_lo, exec_lo, s3
	v_add_co_u32 v3, vcc_lo, 0xffffff82, v63
	v_add_co_ci_u32_e32 v4, vcc_lo, -1, v64, vcc_lo
	s_delay_alu instid0(VALU_DEP_1) | instskip(SKIP_1) | instid1(SALU_CYCLE_1)
	v_cmp_gt_i64_e32 vcc_lo, s[4:5], v[3:4]
	s_and_b32 s17, s2, vcc_lo
	s_and_saveexec_b32 s3, s17
	s_cbranch_execz .LBB149_12
; %bb.11:                               ;   in Loop: Header=BB149_3 Depth=1
	v_add_co_u32 v3, vcc_lo, v54, v25
	v_add_co_ci_u32_e32 v4, vcc_lo, v55, v26, vcc_lo
	v_add_co_u32 v5, vcc_lo, v56, v25
	v_add_co_ci_u32_e32 v6, vcc_lo, v57, v26, vcc_lo
	global_load_b32 v18, v[3:4], off
	global_load_b32 v10, v[5:6], off
.LBB149_12:                             ;   in Loop: Header=BB149_3 Depth=1
	s_or_b32 exec_lo, exec_lo, s3
	v_add_co_u32 v3, vcc_lo, 0xffffff83, v63
	v_add_co_ci_u32_e32 v4, vcc_lo, -1, v64, vcc_lo
	s_delay_alu instid0(VALU_DEP_1) | instskip(SKIP_1) | instid1(SALU_CYCLE_1)
	v_cmp_gt_i64_e32 vcc_lo, s[4:5], v[3:4]
	s_and_b32 s17, s2, vcc_lo
	s_and_saveexec_b32 s3, s17
	s_cbranch_execz .LBB149_14
; %bb.13:                               ;   in Loop: Header=BB149_3 Depth=1
	v_add_co_u32 v3, vcc_lo, v50, v25
	v_add_co_ci_u32_e32 v4, vcc_lo, v51, v26, vcc_lo
	v_add_co_u32 v5, vcc_lo, v52, v25
	v_add_co_ci_u32_e32 v6, vcc_lo, v53, v26, vcc_lo
	global_load_b32 v19, v[3:4], off
	global_load_b32 v11, v[5:6], off
.LBB149_14:                             ;   in Loop: Header=BB149_3 Depth=1
	;; [unrolled: 16-line block ×7, first 2 shown]
	s_or_b32 exec_lo, exec_lo, s3
	s_waitcnt vmcnt(0)
	ds_bpermute_b32 v1, v2, v65
	ds_bpermute_b32 v3, v2, v65 offset:4
	ds_bpermute_b32 v4, v2, v65 offset:8
	v_mul_f32_e32 v5, v9, v17
	ds_bpermute_b32 v6, v2, v65 offset:12
	v_mul_f32_e32 v7, v10, v18
	ds_bpermute_b32 v8, v2, v65 offset:16
	ds_bpermute_b32 v9, v2, v65 offset:20
	s_waitcnt lgkmcnt(5)
	v_fma_f32 v1, v5, v1, v62
	v_mul_f32_e32 v5, v11, v19
	s_waitcnt lgkmcnt(4)
	s_delay_alu instid0(VALU_DEP_2) | instskip(SKIP_2) | instid1(VALU_DEP_2)
	v_fmac_f32_e32 v1, v7, v3
	v_mul_f32_e32 v3, v12, v20
	s_waitcnt lgkmcnt(3)
	v_fmac_f32_e32 v1, v5, v4
	ds_bpermute_b32 v4, v2, v65 offset:24
	v_mul_f32_e32 v5, v13, v21
	s_waitcnt lgkmcnt(3)
	v_fmac_f32_e32 v1, v3, v6
	v_mul_f32_e32 v6, v14, v22
	ds_bpermute_b32 v3, v2, v65 offset:28
	s_waitcnt lgkmcnt(3)
	v_fmac_f32_e32 v1, v5, v8
	v_mul_f32_e32 v5, v15, v23
	s_waitcnt lgkmcnt(2)
	s_delay_alu instid0(VALU_DEP_2) | instskip(SKIP_1) | instid1(VALU_DEP_1)
	v_fmac_f32_e32 v1, v6, v9
	s_waitcnt lgkmcnt(1)
	v_fmac_f32_e32 v1, v5, v4
	s_branch .LBB149_40
.LBB149_25:                             ;   in Loop: Header=BB149_3 Depth=1
                                        ; implicit-def: $vgpr1
                                        ; implicit-def: $vgpr9_vgpr10_vgpr11_vgpr12_vgpr13_vgpr14_vgpr15_vgpr16
                                        ; implicit-def: $vgpr17_vgpr18_vgpr19_vgpr20_vgpr21_vgpr22_vgpr23_vgpr24
                                        ; implicit-def: $vgpr3
	s_cbranch_execz .LBB149_40
; %bb.26:                               ;   in Loop: Header=BB149_3 Depth=1
	s_load_b32 s3, s[26:27], 0x0
	v_mov_b32_e32 v65, 0
	s_waitcnt lgkmcnt(0)
	s_cmp_lt_u32 s14, s3
	s_cselect_b32 s3, 12, 18
	s_delay_alu instid0(SALU_CYCLE_1)
	s_add_u32 s18, s26, s3
	s_addc_u32 s19, s27, 0
	s_mov_b32 s3, exec_lo
	global_load_u16 v1, v2, s[18:19]
	s_waitcnt vmcnt(0)
	v_mad_u32_u24 v1, v27, v1, v29
	s_delay_alu instid0(VALU_DEP_1) | instskip(NEXT) | instid1(VALU_DEP_1)
	v_and_b32_e32 v1, 31, v1
	v_cmpx_gt_u32_e32 8, v1
	s_cbranch_execz .LBB149_30
; %bb.27:                               ;   in Loop: Header=BB149_3 Depth=1
	v_add_co_u32 v1, vcc_lo, v63, v1
	v_add_co_ci_u32_e32 v4, vcc_lo, 0, v64, vcc_lo
	v_mov_b32_e32 v65, 0
	s_delay_alu instid0(VALU_DEP_3) | instskip(NEXT) | instid1(VALU_DEP_3)
	v_add_co_u32 v3, vcc_lo, 0xffffff81, v1
	v_add_co_ci_u32_e32 v4, vcc_lo, -1, v4, vcc_lo
	s_mov_b32 s17, exec_lo
	s_delay_alu instid0(VALU_DEP_1)
	v_cmpx_gt_i64_e64 s[4:5], v[3:4]
	s_cbranch_execz .LBB149_29
; %bb.28:                               ;   in Loop: Header=BB149_3 Depth=1
	v_lshlrev_b64 v[3:4], 2, v[3:4]
	s_delay_alu instid0(VALU_DEP_1) | instskip(NEXT) | instid1(VALU_DEP_2)
	v_add_co_u32 v3, vcc_lo, s12, v3
	v_add_co_ci_u32_e32 v4, vcc_lo, s13, v4, vcc_lo
	global_load_b32 v65, v[3:4], off
.LBB149_29:                             ;   in Loop: Header=BB149_3 Depth=1
	s_or_b32 exec_lo, exec_lo, s17
.LBB149_30:                             ;   in Loop: Header=BB149_3 Depth=1
	s_delay_alu instid0(SALU_CYCLE_1)
	s_or_b32 exec_lo, exec_lo, s3
	s_mov_b32 s22, s16
	s_mov_b32 s23, s16
	;; [unrolled: 1-line block ×7, first 2 shown]
	v_dual_mov_b32 v9, s16 :: v_dual_mov_b32 v10, s17
	v_dual_mov_b32 v15, s22 :: v_dual_mov_b32 v16, s23
	;; [unrolled: 1-line block ×4, first 2 shown]
	s_delay_alu instid0(VALU_DEP_3) | instskip(NEXT) | instid1(VALU_DEP_3)
	v_dual_mov_b32 v24, v16 :: v_dual_mov_b32 v23, v15
	v_dual_mov_b32 v20, v12 :: v_dual_mov_b32 v19, v11
	s_delay_alu instid0(VALU_DEP_3)
	v_dual_mov_b32 v22, v14 :: v_dual_mov_b32 v21, v13
	v_dual_mov_b32 v18, v10 :: v_dual_mov_b32 v17, v9
	s_and_saveexec_b32 s3, s2
	s_cbranch_execnz .LBB149_42
; %bb.31:                               ;   in Loop: Header=BB149_3 Depth=1
	s_or_b32 exec_lo, exec_lo, s3
	s_and_saveexec_b32 s3, s2
	s_cbranch_execnz .LBB149_43
.LBB149_32:                             ;   in Loop: Header=BB149_3 Depth=1
	s_or_b32 exec_lo, exec_lo, s3
	s_and_saveexec_b32 s3, s2
	s_cbranch_execnz .LBB149_44
.LBB149_33:                             ;   in Loop: Header=BB149_3 Depth=1
	s_or_b32 exec_lo, exec_lo, s3
	s_and_saveexec_b32 s3, s2
	s_cbranch_execnz .LBB149_45
.LBB149_34:                             ;   in Loop: Header=BB149_3 Depth=1
	s_or_b32 exec_lo, exec_lo, s3
	s_and_saveexec_b32 s3, s2
	s_cbranch_execnz .LBB149_46
.LBB149_35:                             ;   in Loop: Header=BB149_3 Depth=1
	s_or_b32 exec_lo, exec_lo, s3
	s_and_saveexec_b32 s3, s2
	s_cbranch_execnz .LBB149_47
.LBB149_36:                             ;   in Loop: Header=BB149_3 Depth=1
	s_or_b32 exec_lo, exec_lo, s3
	s_and_saveexec_b32 s3, s2
	s_cbranch_execnz .LBB149_48
.LBB149_37:                             ;   in Loop: Header=BB149_3 Depth=1
	s_or_b32 exec_lo, exec_lo, s3
	s_and_saveexec_b32 s3, s2
	s_cbranch_execz .LBB149_39
.LBB149_38:                             ;   in Loop: Header=BB149_3 Depth=1
	v_add_co_u32 v3, vcc_lo, v30, v25
	v_add_co_ci_u32_e32 v4, vcc_lo, v31, v26, vcc_lo
	v_add_co_u32 v5, vcc_lo, v32, v25
	v_add_co_ci_u32_e32 v6, vcc_lo, v33, v26, vcc_lo
	global_load_b32 v24, v[3:4], off
	global_load_b32 v16, v[5:6], off
.LBB149_39:                             ;   in Loop: Header=BB149_3 Depth=1
	s_or_b32 exec_lo, exec_lo, s3
	s_waitcnt vmcnt(0)
	ds_bpermute_b32 v1, v2, v65
	ds_bpermute_b32 v3, v2, v65 offset:4
	ds_bpermute_b32 v4, v2, v65 offset:8
	;; [unrolled: 1-line block ×3, first 2 shown]
	v_mul_f32_e32 v7, v10, v18
	v_mul_f32_e32 v5, v9, v17
	ds_bpermute_b32 v8, v2, v65 offset:16
	s_waitcnt lgkmcnt(4)
	v_dual_fmac_f32 v62, v5, v1 :: v_dual_mul_f32 v1, v11, v19
	ds_bpermute_b32 v5, v2, v65 offset:20
	s_waitcnt lgkmcnt(4)
	v_dual_fmac_f32 v62, v7, v3 :: v_dual_mul_f32 v3, v12, v20
	s_waitcnt lgkmcnt(3)
	s_delay_alu instid0(VALU_DEP_1)
	v_fmac_f32_e32 v62, v1, v4
	ds_bpermute_b32 v1, v2, v65 offset:24
	v_mul_f32_e32 v4, v13, v21
	s_waitcnt lgkmcnt(3)
	v_fmac_f32_e32 v62, v3, v6
	v_mul_f32_e32 v6, v14, v22
	ds_bpermute_b32 v3, v2, v65 offset:28
	s_waitcnt lgkmcnt(3)
	v_fmac_f32_e32 v62, v4, v8
	v_mul_f32_e32 v4, v15, v23
	s_waitcnt lgkmcnt(2)
	s_delay_alu instid0(VALU_DEP_2) | instskip(SKIP_1) | instid1(VALU_DEP_1)
	v_fmac_f32_e32 v62, v6, v5
	s_waitcnt lgkmcnt(1)
	v_fmac_f32_e32 v62, v4, v1
	s_delay_alu instid0(VALU_DEP_1)
	v_mov_b32_e32 v1, v62
.LBB149_40:                             ;   in Loop: Header=BB149_3 Depth=1
	v_add_co_u32 v30, vcc_lo, v30, s28
	v_add_co_ci_u32_e32 v31, vcc_lo, s29, v31, vcc_lo
	v_add_co_u32 v32, vcc_lo, v32, s28
	v_add_co_ci_u32_e32 v33, vcc_lo, s29, v33, vcc_lo
	;; [unrolled: 2-line block ×13, first 2 shown]
	v_add_co_u32 v56, vcc_lo, v56, s28
	s_add_u32 s34, s34, s36
	v_add_co_ci_u32_e32 v57, vcc_lo, s29, v57, vcc_lo
	v_mul_f32_e32 v4, v24, v16
	s_addc_u32 s35, s35, 0
	v_add_co_u32 v58, vcc_lo, v58, s28
	v_cmp_lt_i64_e64 s3, s[34:35], s[4:5]
	v_add_co_ci_u32_e32 v59, vcc_lo, s29, v59, vcc_lo
	v_add_co_u32 v60, vcc_lo, v60, s28
	s_waitcnt lgkmcnt(0)
	v_fmac_f32_e32 v1, v4, v3
	v_add_co_ci_u32_e32 v61, vcc_lo, s29, v61, vcc_lo
	s_add_u32 s30, s30, s36
	s_addc_u32 s31, s31, 0
	s_and_b32 vcc_lo, exec_lo, s3
	s_cbranch_vccz .LBB149_50
; %bb.41:                               ;   in Loop: Header=BB149_3 Depth=1
	v_mov_b32_e32 v62, v1
	s_branch .LBB149_3
.LBB149_42:                             ;   in Loop: Header=BB149_3 Depth=1
	v_add_co_u32 v3, vcc_lo, v58, v25
	v_add_co_ci_u32_e32 v4, vcc_lo, v59, v26, vcc_lo
	v_mov_b32_e32 v8, v2
	v_mov_b32_e32 v5, v2
	;; [unrolled: 1-line block ×3, first 2 shown]
	global_load_b32 v1, v[3:4], off
	v_add_co_u32 v3, vcc_lo, v60, v25
	v_add_co_ci_u32_e32 v4, vcc_lo, v61, v26, vcc_lo
	v_mov_b32_e32 v7, v2
	v_mov_b32_e32 v15, v2
	global_load_b32 v9, v[3:4], off
	v_mov_b32_e32 v3, v2
	v_mov_b32_e32 v4, v2
	s_waitcnt vmcnt(1)
	v_dual_mov_b32 v11, v2 :: v_dual_mov_b32 v24, v8
	v_dual_mov_b32 v10, v2 :: v_dual_mov_b32 v23, v7
	;; [unrolled: 1-line block ×5, first 2 shown]
	v_mov_b32_e32 v16, v2
	v_mov_b32_e32 v22, v6
	v_dual_mov_b32 v18, v2 :: v_dual_mov_b32 v17, v1
	s_or_b32 exec_lo, exec_lo, s3
	s_and_saveexec_b32 s3, s2
	s_cbranch_execz .LBB149_32
.LBB149_43:                             ;   in Loop: Header=BB149_3 Depth=1
	v_add_co_u32 v3, vcc_lo, v54, v25
	v_add_co_ci_u32_e32 v4, vcc_lo, v55, v26, vcc_lo
	v_add_co_u32 v5, vcc_lo, v56, v25
	v_add_co_ci_u32_e32 v6, vcc_lo, v57, v26, vcc_lo
	global_load_b32 v18, v[3:4], off
	global_load_b32 v10, v[5:6], off
	s_or_b32 exec_lo, exec_lo, s3
	s_and_saveexec_b32 s3, s2
	s_cbranch_execz .LBB149_33
.LBB149_44:                             ;   in Loop: Header=BB149_3 Depth=1
	v_add_co_u32 v3, vcc_lo, v50, v25
	v_add_co_ci_u32_e32 v4, vcc_lo, v51, v26, vcc_lo
	v_add_co_u32 v5, vcc_lo, v52, v25
	v_add_co_ci_u32_e32 v6, vcc_lo, v53, v26, vcc_lo
	global_load_b32 v19, v[3:4], off
	global_load_b32 v11, v[5:6], off
	s_or_b32 exec_lo, exec_lo, s3
	s_and_saveexec_b32 s3, s2
	s_cbranch_execz .LBB149_34
.LBB149_45:                             ;   in Loop: Header=BB149_3 Depth=1
	v_add_co_u32 v3, vcc_lo, v46, v25
	v_add_co_ci_u32_e32 v4, vcc_lo, v47, v26, vcc_lo
	v_add_co_u32 v5, vcc_lo, v48, v25
	v_add_co_ci_u32_e32 v6, vcc_lo, v49, v26, vcc_lo
	global_load_b32 v20, v[3:4], off
	global_load_b32 v12, v[5:6], off
	s_or_b32 exec_lo, exec_lo, s3
	s_and_saveexec_b32 s3, s2
	s_cbranch_execz .LBB149_35
.LBB149_46:                             ;   in Loop: Header=BB149_3 Depth=1
	v_add_co_u32 v3, vcc_lo, v42, v25
	v_add_co_ci_u32_e32 v4, vcc_lo, v43, v26, vcc_lo
	v_add_co_u32 v5, vcc_lo, v44, v25
	v_add_co_ci_u32_e32 v6, vcc_lo, v45, v26, vcc_lo
	global_load_b32 v21, v[3:4], off
	global_load_b32 v13, v[5:6], off
	s_or_b32 exec_lo, exec_lo, s3
	s_and_saveexec_b32 s3, s2
	s_cbranch_execz .LBB149_36
.LBB149_47:                             ;   in Loop: Header=BB149_3 Depth=1
	v_add_co_u32 v3, vcc_lo, v38, v25
	v_add_co_ci_u32_e32 v4, vcc_lo, v39, v26, vcc_lo
	v_add_co_u32 v5, vcc_lo, v40, v25
	v_add_co_ci_u32_e32 v6, vcc_lo, v41, v26, vcc_lo
	global_load_b32 v22, v[3:4], off
	global_load_b32 v14, v[5:6], off
	s_or_b32 exec_lo, exec_lo, s3
	s_and_saveexec_b32 s3, s2
	s_cbranch_execz .LBB149_37
.LBB149_48:                             ;   in Loop: Header=BB149_3 Depth=1
	v_add_co_u32 v3, vcc_lo, v34, v25
	v_add_co_ci_u32_e32 v4, vcc_lo, v35, v26, vcc_lo
	v_add_co_u32 v5, vcc_lo, v36, v25
	v_add_co_ci_u32_e32 v6, vcc_lo, v37, v26, vcc_lo
	global_load_b32 v23, v[3:4], off
	global_load_b32 v15, v[5:6], off
	s_or_b32 exec_lo, exec_lo, s3
	s_and_saveexec_b32 s3, s2
	s_cbranch_execnz .LBB149_38
	s_branch .LBB149_39
.LBB149_49:
                                        ; implicit-def: $vgpr1
	s_branch .LBB149_51
.LBB149_50:
	s_cbranch_execnz .LBB149_83
.LBB149_51:
	v_mov_b32_e32 v1, 0
	s_and_not1_b32 vcc_lo, exec_lo, s15
	s_cbranch_vccnz .LBB149_83
; %bb.52:
	s_load_b32 s2, s[0:1], 0x44
	v_dual_mov_b32 v2, 0 :: v_dual_and_b32 v55, 0x3ff, v0
	v_bfe_u32 v56, v0, 10, 10
	s_add_u32 s26, s0, 64
	s_addc_u32 s27, s1, 0
	s_delay_alu instid0(VALU_DEP_2) | instskip(NEXT) | instid1(VALU_DEP_2)
	v_dual_mov_b32 v90, 0 :: v_dual_add_nc_u32 v1, s33, v55
	v_lshlrev_b32_e32 v3, 5, v56
	v_lshlrev_b32_e32 v57, 3, v56
	s_delay_alu instid0(VALU_DEP_3)
	v_lshlrev_b64 v[25:26], 2, v[1:2]
	s_waitcnt lgkmcnt(0)
	s_lshl_b32 s15, s2, 7
	s_add_u32 s28, s24, 0x7f
	s_addc_u32 s29, 0, 0
	s_lshl_b64 s[2:3], s[24:25], 2
	s_mul_i32 s16, s7, s15
	v_add_co_u32 v1, s2, v3, s2
	s_delay_alu instid0(VALU_DEP_1) | instskip(SKIP_1) | instid1(VALU_DEP_3)
	v_add_co_ci_u32_e64 v3, null, 0, s3, s2
	v_add_co_u32 v74, s3, v57, s24
	v_add_co_u32 v7, vcc_lo, v1, 4
	s_delay_alu instid0(VALU_DEP_3) | instskip(SKIP_3) | instid1(VALU_DEP_4)
	v_add_co_ci_u32_e32 v4, vcc_lo, 0, v3, vcc_lo
	v_add_co_u32 v8, vcc_lo, v1, 8
	v_add_co_ci_u32_e32 v5, vcc_lo, 0, v3, vcc_lo
	v_add_co_u32 v11, vcc_lo, v1, 12
	v_mul_lo_u32 v9, s6, v4
	v_add_co_ci_u32_e32 v4, vcc_lo, 0, v3, vcc_lo
	v_add_co_u32 v14, vcc_lo, v1, 16
	v_mul_lo_u32 v12, s6, v5
	;; [unrolled: 3-line block ×4, first 2 shown]
	v_add_co_ci_u32_e32 v5, vcc_lo, 0, v3, vcc_lo
	v_add_co_ci_u32_e64 v75, null, 0, 0, s3
	v_add_co_u32 v1, vcc_lo, v1, 28
	v_mul_lo_u32 v21, s6, v4
	s_delay_alu instid0(VALU_DEP_4) | instskip(SKIP_4) | instid1(VALU_DEP_4)
	v_mul_lo_u32 v23, s6, v5
	v_add_co_ci_u32_e32 v5, vcc_lo, 0, v3, vcc_lo
	v_mul_lo_u32 v6, s7, v74
	v_mul_lo_u32 v41, s6, v75
	v_mad_u64_u32 v[3:4], null, s6, v74, 0
	v_mul_lo_u32 v60, s6, v5
	v_mad_u64_u32 v[27:28], null, s6, v7, s[8:9]
	;; [unrolled: 2-line block ×3, first 2 shown]
	v_add3_u32 v4, v4, v41, v6
	v_mad_u64_u32 v[41:42], null, s6, v7, s[10:11]
	v_mul_lo_u32 v13, s7, v8
	v_mad_u64_u32 v[43:44], null, s6, v8, s[10:11]
	s_delay_alu instid0(VALU_DEP_4)
	v_lshlrev_b64 v[5:6], 2, v[3:4]
	v_add3_u32 v28, v10, v28, v9
	v_mad_u64_u32 v[31:32], null, s6, v11, s[8:9]
	v_add3_u32 v42, v10, v42, v9
	v_add3_u32 v30, v13, v30, v12
	v_add_co_u32 v58, vcc_lo, s8, v5
	v_add_co_ci_u32_e32 v59, vcc_lo, s9, v6, vcc_lo
	v_add_co_u32 v9, vcc_lo, v74, 7
	v_add_co_ci_u32_e32 v7, vcc_lo, 0, v75, vcc_lo
	v_add3_u32 v44, v13, v44, v12
	v_add_co_u32 v12, vcc_lo, v74, 6
	v_mul_lo_u32 v16, s7, v11
	v_mad_u64_u32 v[39:40], null, s6, v1, s[8:9]
	v_mul_lo_u32 v61, s7, v1
	v_mad_u64_u32 v[45:46], null, s6, v11, s[10:11]
	v_mad_u64_u32 v[53:54], null, s6, v1, s[10:11]
	v_mul_lo_u32 v1, s7, v9
	v_mul_lo_u32 v11, s6, v7
	v_mad_u64_u32 v[7:8], null, s6, v9, 0
	v_add_co_ci_u32_e32 v10, vcc_lo, 0, v75, vcc_lo
	v_mad_u64_u32 v[33:34], null, s6, v14, s[8:9]
	v_mul_lo_u32 v19, s7, v14
	v_mad_u64_u32 v[47:48], null, s6, v14, s[10:11]
	v_mul_lo_u32 v13, s7, v12
	v_mul_lo_u32 v14, s6, v10
	v_mad_u64_u32 v[9:10], null, s6, v12, 0
	v_add3_u32 v8, v8, v11, v1
	v_add3_u32 v40, v61, v40, v60
	;; [unrolled: 1-line block ×3, first 2 shown]
	v_add_co_u32 v60, vcc_lo, s10, v5
	v_add_co_ci_u32_e32 v61, vcc_lo, s11, v6, vcc_lo
	v_lshlrev_b64 v[5:6], 2, v[7:8]
	v_add3_u32 v10, v10, v14, v13
	v_add_co_u32 v1, vcc_lo, v74, 5
	v_add_co_ci_u32_e32 v11, vcc_lo, 0, v75, vcc_lo
	s_delay_alu instid0(VALU_DEP_4) | instskip(NEXT) | instid1(VALU_DEP_4)
	v_add_co_u32 v62, vcc_lo, s8, v5
	v_lshlrev_b64 v[7:8], 2, v[9:10]
	v_add_co_ci_u32_e32 v63, vcc_lo, s9, v6, vcc_lo
	v_mul_lo_u32 v12, s7, v1
	v_mul_lo_u32 v11, s6, v11
	v_mad_u64_u32 v[9:10], null, s6, v1, 0
	v_add_co_u32 v64, vcc_lo, s10, v5
	v_add_co_ci_u32_e32 v65, vcc_lo, s11, v6, vcc_lo
	v_add_co_u32 v66, vcc_lo, s8, v7
	v_add_co_ci_u32_e32 v67, vcc_lo, s9, v8, vcc_lo
	s_mul_hi_u32 s2, s6, s15
	v_add_co_u32 v1, vcc_lo, v74, 4
	v_add3_u32 v10, v10, v11, v12
	s_add_i32 s3, s2, s16
	v_add_co_u32 v68, s2, s10, v7
	v_add_co_ci_u32_e32 v7, vcc_lo, 0, v75, vcc_lo
	v_add_co_u32 v12, vcc_lo, v74, 3
	v_lshlrev_b64 v[5:6], 2, v[9:10]
	v_add_co_ci_u32_e32 v9, vcc_lo, 0, v75, vcc_lo
	v_add_co_ci_u32_e64 v69, s2, s11, v8, s2
	v_mul_lo_u32 v11, s7, v1
	v_mul_lo_u32 v13, s6, v7
	v_mad_u64_u32 v[7:8], null, s6, v1, 0
	v_mul_lo_u32 v1, s7, v12
	v_mul_lo_u32 v14, s6, v9
	v_mad_u64_u32 v[9:10], null, s6, v12, 0
	v_add_co_u32 v70, vcc_lo, s8, v5
	v_add_co_ci_u32_e32 v71, vcc_lo, s9, v6, vcc_lo
	v_add3_u32 v8, v8, v13, v11
	v_add_co_u32 v72, vcc_lo, s10, v5
	v_add_co_ci_u32_e32 v73, vcc_lo, s11, v6, vcc_lo
	v_add3_u32 v10, v10, v14, v1
	v_add_co_u32 v1, vcc_lo, v74, 2
	v_lshlrev_b64 v[5:6], 2, v[7:8]
	v_add_co_ci_u32_e32 v11, vcc_lo, 0, v75, vcc_lo
	s_delay_alu instid0(VALU_DEP_4) | instskip(NEXT) | instid1(VALU_DEP_4)
	v_lshlrev_b64 v[7:8], 2, v[9:10]
	v_mul_lo_u32 v12, s7, v1
	v_mad_u64_u32 v[9:10], null, s6, v1, 0
	v_add_co_u32 v74, vcc_lo, s8, v5
	v_mul_lo_u32 v11, s6, v11
	v_add_co_ci_u32_e32 v75, vcc_lo, s9, v6, vcc_lo
	v_add_co_u32 v76, vcc_lo, s10, v5
	v_add_co_ci_u32_e32 v77, vcc_lo, s11, v6, vcc_lo
	v_add_co_u32 v78, vcc_lo, s8, v7
	v_add_co_ci_u32_e32 v79, vcc_lo, s9, v8, vcc_lo
	v_add3_u32 v10, v10, v11, v12
	v_add_co_u32 v80, vcc_lo, s10, v7
	v_add_co_ci_u32_e32 v81, vcc_lo, s11, v8, vcc_lo
	v_add_co_u32 v3, vcc_lo, v3, s6
	s_delay_alu instid0(VALU_DEP_4) | instskip(SKIP_3) | instid1(VALU_DEP_4)
	v_lshlrev_b64 v[5:6], 2, v[9:10]
	v_add_co_ci_u32_e32 v4, vcc_lo, s7, v4, vcc_lo
	v_mad_u64_u32 v[35:36], null, s6, v18, s[8:9]
	v_mul_lo_u32 v22, s7, v18
	v_add_co_u32 v82, vcc_lo, s8, v5
	s_delay_alu instid0(VALU_DEP_4)
	v_lshlrev_b64 v[3:4], 2, v[3:4]
	v_add_co_ci_u32_e32 v83, vcc_lo, s9, v6, vcc_lo
	v_mad_u64_u32 v[37:38], null, s6, v20, s[8:9]
	v_mul_lo_u32 v24, s7, v20
	v_mad_u64_u32 v[49:50], null, s6, v18, s[10:11]
	v_mad_u64_u32 v[51:52], null, s6, v20, s[10:11]
	v_add_co_u32 v84, vcc_lo, s10, v5
	v_add_co_ci_u32_e32 v85, vcc_lo, s11, v6, vcc_lo
	v_add_co_u32 v86, vcc_lo, s8, v3
	v_add_co_ci_u32_e32 v87, vcc_lo, s9, v4, vcc_lo
	v_add_co_u32 v88, vcc_lo, s10, v3
	v_add3_u32 v32, v16, v32, v15
	v_add3_u32 v34, v19, v34, v17
	;; [unrolled: 1-line block ×8, first 2 shown]
	v_add_co_ci_u32_e32 v89, vcc_lo, s11, v4, vcc_lo
	s_mul_i32 s2, s6, s15
	s_mov_b32 s16, 0
	s_lshl_b64 s[2:3], s[2:3], 2
.LBB149_53:                             ; =>This Inner Loop Header: Depth=1
	v_cmp_ge_i64_e64 s8, s[28:29], s[4:5]
	v_add_co_u32 v91, s9, v57, s28
	s_delay_alu instid0(VALU_DEP_1) | instskip(NEXT) | instid1(VALU_DEP_3)
	v_add_co_ci_u32_e64 v92, null, 0, s29, s9
	s_and_b32 vcc_lo, exec_lo, s8
	s_cbranch_vccz .LBB149_75
; %bb.54:                               ;   in Loop: Header=BB149_53 Depth=1
	s_load_b32 s8, s[26:27], 0xc
	v_mov_b32_e32 v93, 0
	s_waitcnt lgkmcnt(0)
	s_and_b32 s8, s8, 0xffff
	s_delay_alu instid0(SALU_CYCLE_1) | instskip(SKIP_1) | instid1(VALU_DEP_1)
	v_mad_u32_u24 v1, v56, s8, v55
	s_mov_b32 s8, exec_lo
	v_and_b32_e32 v1, 31, v1
	s_delay_alu instid0(VALU_DEP_1)
	v_cmpx_gt_u32_e32 8, v1
	s_cbranch_execz .LBB149_58
; %bb.55:                               ;   in Loop: Header=BB149_53 Depth=1
	v_add_co_u32 v1, vcc_lo, v91, v1
	v_add_co_ci_u32_e32 v4, vcc_lo, 0, v92, vcc_lo
	v_mov_b32_e32 v93, 0
	s_delay_alu instid0(VALU_DEP_3) | instskip(NEXT) | instid1(VALU_DEP_3)
	v_add_co_u32 v3, vcc_lo, 0xffffff81, v1
	v_add_co_ci_u32_e32 v4, vcc_lo, -1, v4, vcc_lo
	s_mov_b32 s9, exec_lo
	s_delay_alu instid0(VALU_DEP_1)
	v_cmpx_gt_i64_e64 s[4:5], v[3:4]
	s_cbranch_execz .LBB149_57
; %bb.56:                               ;   in Loop: Header=BB149_53 Depth=1
	v_lshlrev_b64 v[3:4], 2, v[3:4]
	s_delay_alu instid0(VALU_DEP_1) | instskip(NEXT) | instid1(VALU_DEP_2)
	v_add_co_u32 v3, vcc_lo, s12, v3
	v_add_co_ci_u32_e32 v4, vcc_lo, s13, v4, vcc_lo
	global_load_b32 v93, v[3:4], off
.LBB149_57:                             ;   in Loop: Header=BB149_53 Depth=1
	s_or_b32 exec_lo, exec_lo, s9
.LBB149_58:                             ;   in Loop: Header=BB149_53 Depth=1
	s_delay_alu instid0(SALU_CYCLE_1)
	s_or_b32 exec_lo, exec_lo, s8
	s_mov_b32 s22, s16
	s_mov_b32 s23, s16
	;; [unrolled: 1-line block ×7, first 2 shown]
	v_dual_mov_b32 v9, s16 :: v_dual_mov_b32 v10, s17
	v_dual_mov_b32 v15, s22 :: v_dual_mov_b32 v16, s23
	;; [unrolled: 1-line block ×4, first 2 shown]
	v_add_co_u32 v3, vcc_lo, 0xffffff81, v91
	s_delay_alu instid0(VALU_DEP_4) | instskip(SKIP_1) | instid1(VALU_DEP_4)
	v_dual_mov_b32 v24, v16 :: v_dual_mov_b32 v23, v15
	v_add_co_ci_u32_e32 v4, vcc_lo, -1, v92, vcc_lo
	v_dual_mov_b32 v22, v14 :: v_dual_mov_b32 v21, v13
	v_dual_mov_b32 v20, v12 :: v_dual_mov_b32 v19, v11
	;; [unrolled: 1-line block ×3, first 2 shown]
	s_mov_b32 s8, exec_lo
	v_cmpx_gt_i64_e64 s[4:5], v[3:4]
	s_cbranch_execz .LBB149_60
; %bb.59:                               ;   in Loop: Header=BB149_53 Depth=1
	v_add_co_u32 v3, vcc_lo, v58, v25
	v_add_co_ci_u32_e32 v4, vcc_lo, v59, v26, vcc_lo
	v_mov_b32_e32 v8, v2
	v_mov_b32_e32 v5, v2
	;; [unrolled: 1-line block ×3, first 2 shown]
	global_load_b32 v1, v[3:4], off
	v_add_co_u32 v3, vcc_lo, v60, v25
	v_add_co_ci_u32_e32 v4, vcc_lo, v61, v26, vcc_lo
	v_mov_b32_e32 v7, v2
	v_mov_b32_e32 v15, v2
	global_load_b32 v9, v[3:4], off
	v_mov_b32_e32 v3, v2
	v_mov_b32_e32 v4, v2
	s_waitcnt vmcnt(1)
	v_dual_mov_b32 v11, v2 :: v_dual_mov_b32 v24, v8
	v_dual_mov_b32 v10, v2 :: v_dual_mov_b32 v23, v7
	v_dual_mov_b32 v12, v2 :: v_dual_mov_b32 v21, v5
	v_dual_mov_b32 v13, v2 :: v_dual_mov_b32 v20, v4
	v_dual_mov_b32 v14, v2 :: v_dual_mov_b32 v19, v3
	v_mov_b32_e32 v16, v2
	v_mov_b32_e32 v22, v6
	v_dual_mov_b32 v18, v2 :: v_dual_mov_b32 v17, v1
.LBB149_60:                             ;   in Loop: Header=BB149_53 Depth=1
	s_or_b32 exec_lo, exec_lo, s8
	v_add_co_u32 v3, vcc_lo, 0xffffff82, v91
	v_add_co_ci_u32_e32 v4, vcc_lo, -1, v92, vcc_lo
	s_mov_b32 s8, exec_lo
	s_delay_alu instid0(VALU_DEP_1)
	v_cmpx_gt_i64_e64 s[4:5], v[3:4]
	s_cbranch_execz .LBB149_62
; %bb.61:                               ;   in Loop: Header=BB149_53 Depth=1
	v_add_co_u32 v3, vcc_lo, v86, v25
	v_add_co_ci_u32_e32 v4, vcc_lo, v87, v26, vcc_lo
	v_add_co_u32 v5, vcc_lo, v88, v25
	v_add_co_ci_u32_e32 v6, vcc_lo, v89, v26, vcc_lo
	global_load_b32 v18, v[3:4], off
	global_load_b32 v10, v[5:6], off
.LBB149_62:                             ;   in Loop: Header=BB149_53 Depth=1
	s_or_b32 exec_lo, exec_lo, s8
	v_add_co_u32 v3, vcc_lo, 0xffffff83, v91
	v_add_co_ci_u32_e32 v4, vcc_lo, -1, v92, vcc_lo
	s_mov_b32 s8, exec_lo
	s_delay_alu instid0(VALU_DEP_1)
	v_cmpx_gt_i64_e64 s[4:5], v[3:4]
	s_cbranch_execz .LBB149_64
; %bb.63:                               ;   in Loop: Header=BB149_53 Depth=1
	v_add_co_u32 v3, vcc_lo, v82, v25
	v_add_co_ci_u32_e32 v4, vcc_lo, v83, v26, vcc_lo
	v_add_co_u32 v5, vcc_lo, v84, v25
	v_add_co_ci_u32_e32 v6, vcc_lo, v85, v26, vcc_lo
	global_load_b32 v19, v[3:4], off
	global_load_b32 v11, v[5:6], off
.LBB149_64:                             ;   in Loop: Header=BB149_53 Depth=1
	;; [unrolled: 15-line block ×7, first 2 shown]
	s_or_b32 exec_lo, exec_lo, s8
	s_waitcnt vmcnt(0)
	ds_bpermute_b32 v1, v2, v93
	ds_bpermute_b32 v3, v2, v93 offset:4
	ds_bpermute_b32 v4, v2, v93 offset:8
	v_mul_f32_e32 v5, v9, v17
	ds_bpermute_b32 v6, v2, v93 offset:12
	v_mul_f32_e32 v7, v10, v18
	ds_bpermute_b32 v8, v2, v93 offset:16
	ds_bpermute_b32 v9, v2, v93 offset:20
	s_waitcnt lgkmcnt(5)
	v_fma_f32 v1, v5, v1, v90
	v_mul_f32_e32 v5, v11, v19
	s_waitcnt lgkmcnt(4)
	s_delay_alu instid0(VALU_DEP_2)
	v_fmac_f32_e32 v1, v7, v3
	v_mul_f32_e32 v3, v12, v20
	ds_bpermute_b32 v7, v2, v93 offset:24
	s_waitcnt lgkmcnt(4)
	v_fmac_f32_e32 v1, v5, v4
	v_dual_mul_f32 v4, v13, v21 :: v_dual_mul_f32 v5, v14, v22
	s_waitcnt lgkmcnt(3)
	s_delay_alu instid0(VALU_DEP_2) | instskip(SKIP_4) | instid1(VALU_DEP_1)
	v_fmac_f32_e32 v1, v3, v6
	ds_bpermute_b32 v3, v2, v93 offset:28
	s_waitcnt lgkmcnt(3)
	v_dual_fmac_f32 v1, v4, v8 :: v_dual_mul_f32 v4, v15, v23
	s_waitcnt lgkmcnt(2)
	v_fmac_f32_e32 v1, v5, v9
	s_waitcnt lgkmcnt(1)
	s_delay_alu instid0(VALU_DEP_1) | instskip(SKIP_2) | instid1(VALU_DEP_1)
	v_fmac_f32_e32 v1, v4, v7
	v_mul_f32_e32 v4, v16, v24
	s_waitcnt lgkmcnt(0)
	v_fmac_f32_e32 v1, v4, v3
	s_branch .LBB149_81
.LBB149_75:                             ;   in Loop: Header=BB149_53 Depth=1
                                        ; implicit-def: $vgpr1
	s_cbranch_execz .LBB149_81
; %bb.76:                               ;   in Loop: Header=BB149_53 Depth=1
	s_load_b32 s8, s[26:27], 0x0
	s_waitcnt lgkmcnt(0)
	s_cmp_lt_u32 s14, s8
	s_cselect_b32 s8, 12, 18
	s_delay_alu instid0(SALU_CYCLE_1)
	s_add_u32 s8, s26, s8
	s_addc_u32 s9, s27, 0
	global_load_u16 v1, v2, s[8:9]
	s_mov_b32 s8, exec_lo
	s_waitcnt vmcnt(0)
	v_mad_u32_u24 v1, v56, v1, v55
	s_delay_alu instid0(VALU_DEP_1) | instskip(SKIP_1) | instid1(VALU_DEP_2)
	v_and_b32_e32 v3, 31, v1
	v_mov_b32_e32 v1, 0
	v_cmpx_gt_u32_e32 8, v3
	s_cbranch_execz .LBB149_80
; %bb.77:                               ;   in Loop: Header=BB149_53 Depth=1
	v_add_co_u32 v1, vcc_lo, v91, v3
	v_add_co_ci_u32_e32 v4, vcc_lo, 0, v92, vcc_lo
	s_mov_b32 s9, exec_lo
	s_delay_alu instid0(VALU_DEP_2) | instskip(NEXT) | instid1(VALU_DEP_2)
	v_add_co_u32 v3, vcc_lo, 0xffffff81, v1
	v_add_co_ci_u32_e32 v4, vcc_lo, -1, v4, vcc_lo
	v_mov_b32_e32 v1, 0
	s_delay_alu instid0(VALU_DEP_2)
	v_cmpx_gt_i64_e64 s[4:5], v[3:4]
	s_cbranch_execz .LBB149_79
; %bb.78:                               ;   in Loop: Header=BB149_53 Depth=1
	v_lshlrev_b64 v[3:4], 2, v[3:4]
	s_delay_alu instid0(VALU_DEP_1) | instskip(NEXT) | instid1(VALU_DEP_2)
	v_add_co_u32 v3, vcc_lo, s12, v3
	v_add_co_ci_u32_e32 v4, vcc_lo, s13, v4, vcc_lo
	global_load_b32 v1, v[3:4], off
.LBB149_79:                             ;   in Loop: Header=BB149_53 Depth=1
	s_or_b32 exec_lo, exec_lo, s9
.LBB149_80:                             ;   in Loop: Header=BB149_53 Depth=1
	s_delay_alu instid0(SALU_CYCLE_1)
	s_or_b32 exec_lo, exec_lo, s8
	v_add_co_u32 v3, vcc_lo, v58, v25
	v_add_co_ci_u32_e32 v4, vcc_lo, v59, v26, vcc_lo
	v_add_co_u32 v5, vcc_lo, v60, v25
	v_add_co_ci_u32_e32 v6, vcc_lo, v61, v26, vcc_lo
	;; [unrolled: 2-line block ×4, first 2 shown]
	global_load_b32 v13, v[3:4], off
	global_load_b32 v14, v[5:6], off
	;; [unrolled: 1-line block ×4, first 2 shown]
	v_add_co_u32 v3, vcc_lo, v29, v25
	v_add_co_ci_u32_e32 v4, vcc_lo, v30, v26, vcc_lo
	v_add_co_u32 v5, vcc_lo, v43, v25
	v_add_co_ci_u32_e32 v6, vcc_lo, v44, v26, vcc_lo
	;; [unrolled: 2-line block ×5, first 2 shown]
	global_load_b32 v17, v[3:4], off
	global_load_b32 v18, v[5:6], off
	;; [unrolled: 1-line block ×5, first 2 shown]
	v_add_co_u32 v3, vcc_lo, v47, v25
	v_add_co_ci_u32_e32 v4, vcc_lo, v48, v26, vcc_lo
	v_add_co_u32 v5, vcc_lo, v35, v25
	v_add_co_ci_u32_e32 v6, vcc_lo, v36, v26, vcc_lo
	;; [unrolled: 2-line block ×5, first 2 shown]
	global_load_b32 v22, v[3:4], off
	global_load_b32 v23, v[5:6], off
	;; [unrolled: 1-line block ×5, first 2 shown]
	v_add_co_u32 v3, vcc_lo, v39, v25
	v_add_co_ci_u32_e32 v4, vcc_lo, v40, v26, vcc_lo
	v_add_co_u32 v5, vcc_lo, v53, v25
	v_add_co_ci_u32_e32 v6, vcc_lo, v54, v26, vcc_lo
	global_load_b32 v3, v[3:4], off
	global_load_b32 v4, v[5:6], off
	s_waitcnt vmcnt(16)
	ds_bpermute_b32 v5, v2, v1
	ds_bpermute_b32 v6, v2, v1 offset:4
	ds_bpermute_b32 v10, v2, v1 offset:8
	;; [unrolled: 1-line block ×3, first 2 shown]
	s_waitcnt vmcnt(14)
	v_mul_f32_e32 v12, v13, v14
	ds_bpermute_b32 v13, v2, v1 offset:16
	s_waitcnt vmcnt(12)
	v_mul_f32_e32 v14, v15, v16
	s_waitcnt vmcnt(4) lgkmcnt(4)
	v_dual_mul_f32 v7, v23, v7 :: v_dual_fmac_f32 v90, v12, v5
	ds_bpermute_b32 v5, v2, v1 offset:20
	v_mul_f32_e32 v12, v17, v18
	s_waitcnt vmcnt(0)
	v_dual_mul_f32 v8, v8, v9 :: v_dual_mul_f32 v3, v3, v4
	s_waitcnt lgkmcnt(4)
	v_fmac_f32_e32 v90, v14, v6
	ds_bpermute_b32 v6, v2, v1 offset:24
	v_mul_f32_e32 v14, v19, v20
	ds_bpermute_b32 v1, v2, v1 offset:28
	s_waitcnt lgkmcnt(5)
	v_fmac_f32_e32 v90, v12, v10
	v_mul_f32_e32 v10, v21, v22
	s_waitcnt lgkmcnt(4)
	s_delay_alu instid0(VALU_DEP_2) | instskip(SKIP_1) | instid1(VALU_DEP_1)
	v_fmac_f32_e32 v90, v14, v11
	s_waitcnt lgkmcnt(3)
	v_fmac_f32_e32 v90, v10, v13
	s_waitcnt lgkmcnt(2)
	s_delay_alu instid0(VALU_DEP_1) | instskip(SKIP_1) | instid1(VALU_DEP_1)
	v_fmac_f32_e32 v90, v7, v5
	s_waitcnt lgkmcnt(1)
	v_fmac_f32_e32 v90, v8, v6
	s_waitcnt lgkmcnt(0)
	s_delay_alu instid0(VALU_DEP_1) | instskip(NEXT) | instid1(VALU_DEP_1)
	v_fmac_f32_e32 v90, v3, v1
	v_mov_b32_e32 v1, v90
.LBB149_81:                             ;   in Loop: Header=BB149_53 Depth=1
	v_add_co_u32 v27, vcc_lo, v27, s2
	v_add_co_ci_u32_e32 v28, vcc_lo, s3, v28, vcc_lo
	v_add_co_u32 v29, vcc_lo, v29, s2
	v_add_co_ci_u32_e32 v30, vcc_lo, s3, v30, vcc_lo
	;; [unrolled: 2-line block ×27, first 2 shown]
	v_add_co_u32 v84, vcc_lo, v84, s2
	s_add_u32 s24, s24, s15
	v_add_co_ci_u32_e32 v85, vcc_lo, s3, v85, vcc_lo
	s_addc_u32 s25, s25, 0
	v_add_co_u32 v86, vcc_lo, v86, s2
	v_cmp_ge_i64_e64 s8, s[24:25], s[4:5]
	v_add_co_ci_u32_e32 v87, vcc_lo, s3, v87, vcc_lo
	v_add_co_u32 v88, vcc_lo, v88, s2
	v_add_co_ci_u32_e32 v89, vcc_lo, s3, v89, vcc_lo
	s_add_u32 s28, s28, s15
	s_addc_u32 s29, s29, 0
	s_and_b32 vcc_lo, exec_lo, s8
	s_cbranch_vccnz .LBB149_83
; %bb.82:                               ;   in Loop: Header=BB149_53 Depth=1
	v_mov_b32_e32 v90, v1
	s_branch .LBB149_53
.LBB149_83:
	v_and_b32_e32 v4, 0x3ff, v0
	v_bfe_u32 v0, v0, 10, 10
	s_mov_b32 s15, 0
	s_mov_b32 s2, exec_lo
	s_delay_alu instid0(VALU_DEP_1) | instskip(NEXT) | instid1(VALU_DEP_1)
	v_mad_u32_u24 v2, 0x41, v0, v4
	v_sub_nc_u32_e32 v0, v2, v0
	v_lshl_add_u32 v3, v2, 2, 0
	v_mov_b32_e32 v2, 0
	ds_store_b32 v3, v1
	ds_store_b32 v3, v2 offset:4160
	s_waitcnt lgkmcnt(0)
	s_barrier
	buffer_gl0_inv
	v_cmpx_gt_u32_e32 0x800, v0
	s_cbranch_execz .LBB149_90
; %bb.84:
	v_mbcnt_lo_u32_b32 v5, -1, 0
	v_lshrrev_b32_e32 v3, 5, v0
	s_load_b64 s[8:9], s[0:1], 0x30
	v_and_b32_e32 v1, 31, v4
	v_cmp_ne_u32_e32 vcc_lo, 0, v4
	v_xor_b32_e32 v0, 8, v5
	v_xor_b32_e32 v4, 4, v5
	v_xor_b32_e32 v6, 2, v5
	v_xor_b32_e32 v7, 1, v5
	s_lshl_b64 s[4:5], s[14:15], 6
	v_cmp_gt_i32_e64 s1, 32, v0
	v_cmp_gt_u32_e64 s0, 16, v1
	v_mul_u32_u24_e32 v1, 0x104, v1
                                        ; implicit-def: $vgpr9
	s_delay_alu instid0(VALU_DEP_3) | instskip(SKIP_1) | instid1(VALU_DEP_1)
	v_cndmask_b32_e64 v0, v5, v0, s1
	v_cmp_gt_i32_e64 s1, 32, v4
	v_cndmask_b32_e64 v8, v5, v4, s1
	v_cmp_gt_i32_e64 s1, 32, v6
	s_waitcnt lgkmcnt(0)
	s_cmp_eq_u64 s[8:9], 0
	v_lshlrev_b32_e32 v4, 2, v0
	v_lshlrev_b32_e32 v0, 2, v3
	s_cselect_b32 s3, -1, 0
	v_cndmask_b32_e64 v6, v5, v6, s1
	v_cmp_gt_i32_e64 s1, 32, v7
	s_lshl_b64 s[10:11], s[14:15], 8
	s_delay_alu instid0(VALU_DEP_2) | instskip(NEXT) | instid1(VALU_DEP_2)
	v_lshlrev_b32_e32 v6, 2, v6
	v_cndmask_b32_e64 v7, v5, v7, s1
	s_add_u32 s1, s8, s10
	v_lshlrev_b32_e32 v5, 2, v8
	v_add3_u32 v8, v1, v0, 0
	s_addc_u32 s2, s9, s11
	v_add_co_u32 v0, s1, s1, v0
	v_lshlrev_b32_e32 v7, 2, v7
	v_add_co_ci_u32_e64 v1, null, s2, 0, s1
	s_branch .LBB149_86
.LBB149_85:                             ;   in Loop: Header=BB149_86 Depth=1
	s_or_b32 exec_lo, exec_lo, s1
	v_add_co_u32 v3, s1, v3, 32
	s_delay_alu instid0(VALU_DEP_1) | instskip(SKIP_1) | instid1(VALU_DEP_3)
	v_add_co_ci_u32_e64 v2, s1, 0, v2, s1
	v_add_co_u32 v0, s2, 0x80, v0
	v_subrev_nc_u32_e32 v10, 32, v3
	v_add_nc_u32_e32 v8, 0x80, v8
	v_add_co_ci_u32_e64 v1, s2, 0, v1, s2
	s_delay_alu instid0(VALU_DEP_3) | instskip(NEXT) | instid1(VALU_DEP_1)
	v_cmp_lt_u32_e64 s1, 31, v10
	s_or_b32 s15, s1, s15
	s_delay_alu instid0(SALU_CYCLE_1)
	s_and_not1_b32 exec_lo, exec_lo, s15
	s_cbranch_execz .LBB149_90
.LBB149_86:                             ; =>This Inner Loop Header: Depth=1
	s_and_saveexec_b32 s1, s0
	s_cbranch_execz .LBB149_88
; %bb.87:                               ;   in Loop: Header=BB149_86 Depth=1
	ds_load_b32 v9, v8
.LBB149_88:                             ;   in Loop: Header=BB149_86 Depth=1
	s_or_b32 exec_lo, exec_lo, s1
	s_waitcnt lgkmcnt(0)
	ds_bpermute_b32 v10, v4, v9
	s_waitcnt lgkmcnt(0)
	v_add_f32_e32 v9, v9, v10
	ds_bpermute_b32 v10, v5, v9
	s_waitcnt lgkmcnt(0)
	v_add_f32_e32 v9, v9, v10
	;; [unrolled: 3-line block ×3, first 2 shown]
	v_add_co_u32 v9, s1, s4, v3
	s_delay_alu instid0(VALU_DEP_1) | instskip(SKIP_2) | instid1(VALU_DEP_1)
	v_add_co_ci_u32_e64 v10, s1, s5, v2, s1
	ds_bpermute_b32 v12, v7, v11
	v_cmp_le_i64_e64 s1, s[6:7], v[9:10]
	s_or_b32 s1, vcc_lo, s1
	s_delay_alu instid0(SALU_CYCLE_1) | instskip(NEXT) | instid1(SALU_CYCLE_1)
	s_or_b32 s1, s3, s1
	s_xor_b32 s2, s1, -1
	s_waitcnt lgkmcnt(0)
	v_add_f32_e32 v9, v11, v12
	s_and_saveexec_b32 s1, s2
	s_cbranch_execz .LBB149_85
; %bb.89:                               ;   in Loop: Header=BB149_86 Depth=1
	global_store_b32 v[0:1], v9, off
	s_branch .LBB149_85
.LBB149_90:
	s_nop 0
	s_sendmsg sendmsg(MSG_DEALLOC_VGPRS)
	s_endpgm
	.section	.rodata,"a",@progbits
	.p2align	6, 0x0
	.amdhsa_kernel _ZN2at6native12_GLOBAL__N_135GammaBetaBackwardCUDAKernelTemplateIffLj64ELj16ELj128ELb0ELb0ELb1EEEvllPKT_S5_PKT0_S8_PS3_S9_
		.amdhsa_group_segment_fixed_size 0
		.amdhsa_private_segment_fixed_size 0
		.amdhsa_kernarg_size 320
		.amdhsa_user_sgpr_count 14
		.amdhsa_user_sgpr_dispatch_ptr 0
		.amdhsa_user_sgpr_queue_ptr 0
		.amdhsa_user_sgpr_kernarg_segment_ptr 1
		.amdhsa_user_sgpr_dispatch_id 0
		.amdhsa_user_sgpr_private_segment_size 0
		.amdhsa_wavefront_size32 1
		.amdhsa_uses_dynamic_stack 0
		.amdhsa_enable_private_segment 0
		.amdhsa_system_sgpr_workgroup_id_x 1
		.amdhsa_system_sgpr_workgroup_id_y 1
		.amdhsa_system_sgpr_workgroup_id_z 0
		.amdhsa_system_sgpr_workgroup_info 0
		.amdhsa_system_vgpr_workitem_id 1
		.amdhsa_next_free_vgpr 94
		.amdhsa_next_free_sgpr 37
		.amdhsa_reserve_vcc 1
		.amdhsa_float_round_mode_32 0
		.amdhsa_float_round_mode_16_64 0
		.amdhsa_float_denorm_mode_32 3
		.amdhsa_float_denorm_mode_16_64 3
		.amdhsa_dx10_clamp 1
		.amdhsa_ieee_mode 1
		.amdhsa_fp16_overflow 0
		.amdhsa_workgroup_processor_mode 1
		.amdhsa_memory_ordered 1
		.amdhsa_forward_progress 0
		.amdhsa_shared_vgpr_count 0
		.amdhsa_exception_fp_ieee_invalid_op 0
		.amdhsa_exception_fp_denorm_src 0
		.amdhsa_exception_fp_ieee_div_zero 0
		.amdhsa_exception_fp_ieee_overflow 0
		.amdhsa_exception_fp_ieee_underflow 0
		.amdhsa_exception_fp_ieee_inexact 0
		.amdhsa_exception_int_div_zero 0
	.end_amdhsa_kernel
	.section	.text._ZN2at6native12_GLOBAL__N_135GammaBetaBackwardCUDAKernelTemplateIffLj64ELj16ELj128ELb0ELb0ELb1EEEvllPKT_S5_PKT0_S8_PS3_S9_,"axG",@progbits,_ZN2at6native12_GLOBAL__N_135GammaBetaBackwardCUDAKernelTemplateIffLj64ELj16ELj128ELb0ELb0ELb1EEEvllPKT_S5_PKT0_S8_PS3_S9_,comdat
.Lfunc_end149:
	.size	_ZN2at6native12_GLOBAL__N_135GammaBetaBackwardCUDAKernelTemplateIffLj64ELj16ELj128ELb0ELb0ELb1EEEvllPKT_S5_PKT0_S8_PS3_S9_, .Lfunc_end149-_ZN2at6native12_GLOBAL__N_135GammaBetaBackwardCUDAKernelTemplateIffLj64ELj16ELj128ELb0ELb0ELb1EEEvllPKT_S5_PKT0_S8_PS3_S9_
                                        ; -- End function
	.section	.AMDGPU.csdata,"",@progbits
; Kernel info:
; codeLenInByte = 7364
; NumSgprs: 39
; NumVgprs: 94
; ScratchSize: 0
; MemoryBound: 0
; FloatMode: 240
; IeeeMode: 1
; LDSByteSize: 0 bytes/workgroup (compile time only)
; SGPRBlocks: 4
; VGPRBlocks: 11
; NumSGPRsForWavesPerEU: 39
; NumVGPRsForWavesPerEU: 94
; Occupancy: 16
; WaveLimiterHint : 0
; COMPUTE_PGM_RSRC2:SCRATCH_EN: 0
; COMPUTE_PGM_RSRC2:USER_SGPR: 14
; COMPUTE_PGM_RSRC2:TRAP_HANDLER: 0
; COMPUTE_PGM_RSRC2:TGID_X_EN: 1
; COMPUTE_PGM_RSRC2:TGID_Y_EN: 1
; COMPUTE_PGM_RSRC2:TGID_Z_EN: 0
; COMPUTE_PGM_RSRC2:TIDIG_COMP_CNT: 1
	.section	.text._ZN2at6native12_GLOBAL__N_135GammaBetaBackwardCUDAKernelTemplateIffLj64ELj16ELj256ELb0ELb1ELb1EEEvllPKT_S5_PKT0_S8_PS3_S9_,"axG",@progbits,_ZN2at6native12_GLOBAL__N_135GammaBetaBackwardCUDAKernelTemplateIffLj64ELj16ELj256ELb0ELb1ELb1EEEvllPKT_S5_PKT0_S8_PS3_S9_,comdat
	.globl	_ZN2at6native12_GLOBAL__N_135GammaBetaBackwardCUDAKernelTemplateIffLj64ELj16ELj256ELb0ELb1ELb1EEEvllPKT_S5_PKT0_S8_PS3_S9_ ; -- Begin function _ZN2at6native12_GLOBAL__N_135GammaBetaBackwardCUDAKernelTemplateIffLj64ELj16ELj256ELb0ELb1ELb1EEEvllPKT_S5_PKT0_S8_PS3_S9_
	.p2align	8
	.type	_ZN2at6native12_GLOBAL__N_135GammaBetaBackwardCUDAKernelTemplateIffLj64ELj16ELj256ELb0ELb1ELb1EEEvllPKT_S5_PKT0_S8_PS3_S9_,@function
_ZN2at6native12_GLOBAL__N_135GammaBetaBackwardCUDAKernelTemplateIffLj64ELj16ELj256ELb0ELb1ELb1EEEvllPKT_S5_PKT0_S8_PS3_S9_: ; @_ZN2at6native12_GLOBAL__N_135GammaBetaBackwardCUDAKernelTemplateIffLj64ELj16ELj256ELb0ELb1ELb1EEEvllPKT_S5_PKT0_S8_PS3_S9_
; %bb.0:
	s_load_b128 s[4:7], s[0:1], 0x0
	s_mov_b32 s13, 0
	s_lshl_b32 s12, s15, 8
	v_bfe_u32 v7, v0, 10, 10
	s_waitcnt lgkmcnt(0)
	v_cmp_lt_i64_e64 s2, s[12:13], s[4:5]
	s_delay_alu instid0(VALU_DEP_1)
	s_and_b32 vcc_lo, exec_lo, s2
	s_cbranch_vccnz .LBB150_2
; %bb.1:
	v_bfe_u32 v1, v0, 10, 10
	s_mov_b32 s8, 0
	s_mov_b32 s9, s13
	s_branch .LBB150_3
.LBB150_2:
	s_mov_b32 s9, -1
                                        ; implicit-def: $sgpr8
                                        ; implicit-def: $vgpr1
.LBB150_3:
	s_load_b64 s[2:3], s[0:1], 0x30
	v_and_b32_e32 v6, 0x3ff, v0
	v_mov_b32_e32 v0, s8
	s_and_not1_b32 vcc_lo, exec_lo, s9
	s_cbranch_vccnz .LBB150_11
; %bb.4:
	s_clause 0x3
	s_load_b32 s15, s[0:1], 0x4c
	s_load_b32 s16, s[0:1], 0x44
	s_load_b128 s[8:11], s[0:1], 0x10
	s_load_b64 s[18:19], s[0:1], 0x28
	v_dual_mov_b32 v1, 0 :: v_dual_lshlrev_b32 v2, 4, v7
	v_lshl_add_u32 v0, s14, 6, v6
	v_dual_mov_b32 v8, 16 :: v_dual_mov_b32 v9, 4
	v_dual_mov_b32 v10, 8 :: v_dual_mov_b32 v11, 12
	s_delay_alu instid0(VALU_DEP_3)
	v_lshlrev_b64 v[27:28], 2, v[0:1]
	v_dual_mov_b32 v12, 20 :: v_dual_mov_b32 v13, 24
	v_dual_mov_b32 v14, 28 :: v_dual_mov_b32 v15, 32
	;; [unrolled: 1-line block ×3, first 2 shown]
	v_mov_b32_e32 v0, 0
	s_mov_b32 s17, 0
	s_waitcnt lgkmcnt(0)
	s_and_b32 s0, s15, 0xffff
	s_lshl_b32 s16, s16, 8
	v_mad_u32_u24 v3, v7, s0, v6
	v_add_co_u32 v2, s0, v2, s12
	s_delay_alu instid0(VALU_DEP_1) | instskip(NEXT) | instid1(VALU_DEP_3)
	v_add_co_ci_u32_e64 v19, null, 0, 0, s0
	v_dual_mov_b32 v18, 44 :: v_dual_and_b32 v3, 31, v3
	s_delay_alu instid0(VALU_DEP_3) | instskip(NEXT) | instid1(VALU_DEP_3)
	v_mul_lo_u32 v21, s7, v2
	v_mul_lo_u32 v22, s6, v19
	v_mad_u64_u32 v[4:5], null, s6, v2, 0
	s_delay_alu instid0(VALU_DEP_4) | instskip(SKIP_3) | instid1(VALU_DEP_4)
	v_add_co_u32 v2, vcc_lo, v2, v3
	v_cmp_gt_u32_e64 s0, 16, v3
	v_add_co_ci_u32_e32 v3, vcc_lo, 0, v19, vcc_lo
	s_mul_i32 s1, s7, s16
	v_add3_u32 v5, v5, v22, v21
	s_mul_hi_u32 s15, s6, s16
	s_delay_alu instid0(VALU_DEP_2) | instskip(SKIP_1) | instid1(VALU_DEP_3)
	v_lshlrev_b64 v[23:24], 2, v[2:3]
	v_dual_mov_b32 v19, 48 :: v_dual_mov_b32 v20, 52
	v_lshlrev_b64 v[25:26], 2, v[4:5]
	v_dual_mov_b32 v21, 56 :: v_dual_mov_b32 v22, 60
	s_delay_alu instid0(VALU_DEP_4) | instskip(SKIP_1) | instid1(VALU_DEP_4)
	v_add_co_u32 v4, vcc_lo, s18, v23
	v_add_co_ci_u32_e32 v5, vcc_lo, s19, v24, vcc_lo
	v_add_co_u32 v23, vcc_lo, v25, v27
	v_add_co_ci_u32_e32 v24, vcc_lo, v26, v28, vcc_lo
	s_add_i32 s21, s15, s1
	s_mul_i32 s20, s6, s16
	s_lshl_b64 s[18:19], s[16:17], 2
	s_lshl_b64 s[20:21], s[20:21], 2
	;; [unrolled: 1-line block ×3, first 2 shown]
	s_branch .LBB150_7
.LBB150_5:                              ;   in Loop: Header=BB150_7 Depth=1
	s_or_b32 exec_lo, exec_lo, s15
.LBB150_6:                              ;   in Loop: Header=BB150_7 Depth=1
	s_delay_alu instid0(SALU_CYCLE_1)
	s_or_b32 exec_lo, exec_lo, s1
	v_add_co_u32 v26, vcc_lo, s8, v23
	v_add_co_ci_u32_e32 v27, vcc_lo, s9, v24, vcc_lo
	v_add_co_u32 v28, vcc_lo, s10, v23
	v_add_co_ci_u32_e32 v29, vcc_lo, s11, v24, vcc_lo
	global_load_b32 v36, v[26:27], off
	v_add_co_u32 v26, vcc_lo, v26, s6
	v_add_co_ci_u32_e32 v27, vcc_lo, s7, v27, vcc_lo
	v_add_co_u32 v30, vcc_lo, v28, s6
	v_add_co_ci_u32_e32 v31, vcc_lo, s7, v29, vcc_lo
	s_delay_alu instid0(VALU_DEP_4) | instskip(NEXT) | instid1(VALU_DEP_4)
	v_add_co_u32 v32, vcc_lo, v26, s6
	v_add_co_ci_u32_e32 v33, vcc_lo, s7, v27, vcc_lo
	s_delay_alu instid0(VALU_DEP_4) | instskip(NEXT) | instid1(VALU_DEP_4)
	v_add_co_u32 v34, vcc_lo, v30, s6
	v_add_co_ci_u32_e32 v35, vcc_lo, s7, v31, vcc_lo
	global_load_b32 v37, v[28:29], off
	global_load_b32 v38, v[26:27], off
	global_load_b32 v39, v[30:31], off
	global_load_b32 v40, v[32:33], off
	global_load_b32 v41, v[34:35], off
	v_add_co_u32 v26, vcc_lo, v32, s6
	v_add_co_ci_u32_e32 v27, vcc_lo, s7, v33, vcc_lo
	v_add_co_u32 v28, vcc_lo, v34, s6
	v_add_co_ci_u32_e32 v29, vcc_lo, s7, v35, vcc_lo
	s_delay_alu instid0(VALU_DEP_4) | instskip(NEXT) | instid1(VALU_DEP_4)
	v_add_co_u32 v30, vcc_lo, v26, s6
	v_add_co_ci_u32_e32 v31, vcc_lo, s7, v27, vcc_lo
	s_delay_alu instid0(VALU_DEP_4) | instskip(NEXT) | instid1(VALU_DEP_4)
	v_add_co_u32 v32, vcc_lo, v28, s6
	v_add_co_ci_u32_e32 v33, vcc_lo, s7, v29, vcc_lo
	s_delay_alu instid0(VALU_DEP_4) | instskip(NEXT) | instid1(VALU_DEP_4)
	v_add_co_u32 v34, vcc_lo, v30, s6
	v_add_co_ci_u32_e32 v35, vcc_lo, s7, v31, vcc_lo
	global_load_b32 v42, v[26:27], off
	global_load_b32 v43, v[28:29], off
	global_load_b32 v44, v[30:31], off
	global_load_b32 v45, v[32:33], off
	global_load_b32 v46, v[34:35], off
	v_add_co_u32 v26, vcc_lo, v32, s6
	v_add_co_ci_u32_e32 v27, vcc_lo, s7, v33, vcc_lo
	v_add_co_u32 v28, vcc_lo, v34, s6
	v_add_co_ci_u32_e32 v29, vcc_lo, s7, v35, vcc_lo
	s_delay_alu instid0(VALU_DEP_4) | instskip(NEXT) | instid1(VALU_DEP_4)
	;; [unrolled: 18-line block ×5, first 2 shown]
	v_add_co_u32 v30, vcc_lo, v26, s6
	v_add_co_ci_u32_e32 v31, vcc_lo, s7, v27, vcc_lo
	s_delay_alu instid0(VALU_DEP_4) | instskip(NEXT) | instid1(VALU_DEP_4)
	v_add_co_u32 v32, vcc_lo, v28, s6
	v_add_co_ci_u32_e32 v33, vcc_lo, s7, v29, vcc_lo
	global_load_b32 v34, v[26:27], off
	global_load_b32 v35, v[28:29], off
	;; [unrolled: 1-line block ×4, first 2 shown]
	v_add_co_u32 v26, vcc_lo, v30, s6
	v_add_co_ci_u32_e32 v27, vcc_lo, s7, v31, vcc_lo
	v_add_co_u32 v28, vcc_lo, v32, s6
	v_add_co_ci_u32_e32 v29, vcc_lo, s7, v33, vcc_lo
	global_load_b32 v26, v[26:27], off
	global_load_b32 v27, v[28:29], off
	s_waitcnt vmcnt(32)
	ds_bpermute_b32 v28, v1, v25
	ds_bpermute_b32 v29, v9, v25
	;; [unrolled: 1-line block ×4, first 2 shown]
	v_add_co_u32 v4, vcc_lo, v4, s18
	s_add_u32 s12, s12, s16
	v_add_co_ci_u32_e32 v5, vcc_lo, s19, v5, vcc_lo
	s_addc_u32 s13, s13, 0
	v_add_co_u32 v2, vcc_lo, v2, s16
	v_add_co_ci_u32_e32 v3, vcc_lo, 0, v3, vcc_lo
	v_cmp_lt_i64_e64 s1, s[12:13], s[4:5]
	v_add_co_u32 v23, vcc_lo, v23, s20
	v_add_co_ci_u32_e32 v24, vcc_lo, s21, v24, vcc_lo
	s_delay_alu instid0(VALU_DEP_3) | instskip(SKIP_3) | instid1(VALU_DEP_1)
	s_and_b32 vcc_lo, exec_lo, s1
	s_waitcnt vmcnt(30)
	v_mul_f32_e32 v31, v36, v37
	s_waitcnt lgkmcnt(3)
	v_fmac_f32_e32 v0, v31, v28
	s_waitcnt vmcnt(28)
	v_mul_f32_e32 v28, v38, v39
	ds_bpermute_b32 v31, v8, v25
	s_waitcnt lgkmcnt(3)
	v_fmac_f32_e32 v0, v28, v29
	s_waitcnt vmcnt(26)
	v_mul_f32_e32 v28, v40, v41
	ds_bpermute_b32 v29, v12, v25
	s_waitcnt lgkmcnt(3)
	v_fmac_f32_e32 v0, v28, v30
	ds_bpermute_b32 v30, v13, v25
	s_waitcnt vmcnt(24)
	v_mul_f32_e32 v28, v42, v43
	s_waitcnt lgkmcnt(3)
	s_delay_alu instid0(VALU_DEP_1)
	v_fmac_f32_e32 v0, v28, v32
	s_waitcnt vmcnt(22)
	v_mul_f32_e32 v28, v44, v45
	ds_bpermute_b32 v32, v14, v25
	s_waitcnt lgkmcnt(3)
	v_fmac_f32_e32 v0, v28, v31
	ds_bpermute_b32 v31, v15, v25
	s_waitcnt vmcnt(20)
	v_mul_f32_e32 v28, v46, v47
	s_waitcnt lgkmcnt(3)
	s_delay_alu instid0(VALU_DEP_1)
	v_fmac_f32_e32 v0, v28, v29
	s_waitcnt vmcnt(18)
	v_mul_f32_e32 v28, v48, v49
	ds_bpermute_b32 v29, v16, v25
	s_waitcnt lgkmcnt(3)
	v_fmac_f32_e32 v0, v28, v30
	s_waitcnt vmcnt(16)
	v_mul_f32_e32 v28, v50, v51
	ds_bpermute_b32 v30, v17, v25
	s_waitcnt lgkmcnt(3)
	v_fmac_f32_e32 v0, v28, v32
	ds_bpermute_b32 v32, v18, v25
	s_waitcnt vmcnt(14)
	v_mul_f32_e32 v28, v52, v53
	s_waitcnt lgkmcnt(3)
	s_delay_alu instid0(VALU_DEP_1)
	v_fmac_f32_e32 v0, v28, v31
	s_waitcnt vmcnt(12)
	v_mul_f32_e32 v28, v54, v55
	ds_bpermute_b32 v31, v19, v25
	s_waitcnt lgkmcnt(3)
	v_fmac_f32_e32 v0, v28, v29
	ds_bpermute_b32 v29, v20, v25
	s_waitcnt vmcnt(10)
	v_mul_f32_e32 v28, v56, v57
	s_waitcnt lgkmcnt(3)
	s_delay_alu instid0(VALU_DEP_1)
	v_fmac_f32_e32 v0, v28, v30
	s_waitcnt vmcnt(8)
	v_mul_f32_e32 v28, v58, v59
	ds_bpermute_b32 v30, v21, v25
	ds_bpermute_b32 v25, v22, v25
	s_waitcnt lgkmcnt(4)
	v_fmac_f32_e32 v0, v28, v32
	s_waitcnt vmcnt(6)
	v_mul_f32_e32 v28, v60, v61
	s_waitcnt lgkmcnt(3)
	s_delay_alu instid0(VALU_DEP_1) | instskip(SKIP_3) | instid1(VALU_DEP_1)
	v_fmac_f32_e32 v0, v28, v31
	s_waitcnt vmcnt(4)
	v_mul_f32_e32 v28, v34, v35
	s_waitcnt lgkmcnt(2)
	v_fmac_f32_e32 v0, v28, v29
	s_waitcnt vmcnt(2)
	v_mul_f32_e32 v28, v62, v63
	s_waitcnt lgkmcnt(1)
	s_delay_alu instid0(VALU_DEP_1) | instskip(SKIP_3) | instid1(VALU_DEP_1)
	v_fmac_f32_e32 v0, v28, v30
	s_waitcnt vmcnt(0)
	v_mul_f32_e32 v26, v26, v27
	s_waitcnt lgkmcnt(0)
	v_fmac_f32_e32 v0, v26, v25
	s_cbranch_vccz .LBB150_10
.LBB150_7:                              ; =>This Inner Loop Header: Depth=1
	v_mov_b32_e32 v25, 0
	s_and_saveexec_b32 s1, s0
	s_cbranch_execz .LBB150_6
; %bb.8:                                ;   in Loop: Header=BB150_7 Depth=1
	v_mov_b32_e32 v25, 0
	s_mov_b32 s15, exec_lo
	v_cmpx_gt_i64_e64 s[4:5], v[2:3]
	s_cbranch_execz .LBB150_5
; %bb.9:                                ;   in Loop: Header=BB150_7 Depth=1
	global_load_b32 v25, v[4:5], off
	s_branch .LBB150_5
.LBB150_10:
	v_mov_b32_e32 v1, v7
.LBB150_11:
	s_delay_alu instid0(VALU_DEP_1) | instskip(SKIP_3) | instid1(VALU_DEP_2)
	v_mad_u32_u24 v2, 0x41, v1, v6
	v_mov_b32_e32 v3, 0
	s_mov_b32 s15, 0
	s_mov_b32 s0, exec_lo
	v_sub_nc_u32_e32 v1, v2, v1
	v_lshl_add_u32 v2, v2, 2, 0
	ds_store_b32 v2, v0
	ds_store_b32 v2, v3 offset:4160
	s_waitcnt lgkmcnt(0)
	s_barrier
	buffer_gl0_inv
	v_cmpx_gt_u32_e32 0x800, v1
	s_cbranch_execz .LBB150_18
; %bb.12:
	v_mbcnt_lo_u32_b32 v2, -1, 0
	v_cmp_eq_u32_e64 s0, 0, v6
	s_cmp_lg_u64 s[2:3], 0
	v_and_b32_e32 v0, 31, v6
	s_cselect_b32 s1, -1, 0
	v_xor_b32_e32 v3, 8, v2
	s_and_b32 s1, s0, s1
	v_xor_b32_e32 v4, 4, v2
	v_xor_b32_e32 v5, 2, v2
	;; [unrolled: 1-line block ×3, first 2 shown]
	v_cmp_gt_i32_e64 s0, 32, v3
	v_lshrrev_b32_e32 v1, 5, v1
	v_cmp_gt_u32_e32 vcc_lo, 16, v0
	v_mul_u32_u24_e32 v0, 0x104, v0
	s_lshl_b64 s[4:5], s[14:15], 8
	v_cndmask_b32_e64 v3, v2, v3, s0
	v_cmp_gt_i32_e64 s0, 32, v4
	v_lshlrev_b32_e32 v8, 2, v1
	v_subrev_nc_u32_e32 v7, 32, v1
	s_delay_alu instid0(VALU_DEP_3) | instskip(SKIP_1) | instid1(VALU_DEP_1)
	v_cndmask_b32_e64 v4, v2, v4, s0
	v_cmp_gt_i32_e64 s0, 32, v5
	v_cndmask_b32_e64 v5, v2, v5, s0
	v_cmp_gt_i32_e64 s0, 32, v6
	s_delay_alu instid0(VALU_DEP_1)
	v_cndmask_b32_e64 v6, v2, v6, s0
	s_add_u32 s0, s2, s4
	v_lshlrev_b32_e32 v2, 2, v3
	v_lshlrev_b32_e32 v3, 2, v4
	;; [unrolled: 1-line block ×4, first 2 shown]
	v_add3_u32 v6, v0, v8, 0
	s_addc_u32 s2, s3, s5
	v_add_co_u32 v0, s0, s0, v8
	s_delay_alu instid0(VALU_DEP_1)
	v_add_co_ci_u32_e64 v1, null, s2, 0, s0
                                        ; implicit-def: $vgpr8
	s_set_inst_prefetch_distance 0x1
	s_branch .LBB150_14
	.p2align	6
.LBB150_13:                             ;   in Loop: Header=BB150_14 Depth=1
	s_or_b32 exec_lo, exec_lo, s0
	v_add_co_u32 v7, s0, v7, 32
	s_delay_alu instid0(VALU_DEP_1) | instskip(SKIP_4) | instid1(SALU_CYCLE_1)
	s_xor_b32 s2, s0, -1
	v_add_co_u32 v0, s0, 0x80, v0
	v_add_nc_u32_e32 v6, 0x80, v6
	v_add_co_ci_u32_e64 v1, s0, 0, v1, s0
	s_and_b32 s0, exec_lo, s2
	s_or_b32 s15, s0, s15
	s_delay_alu instid0(SALU_CYCLE_1)
	s_and_not1_b32 exec_lo, exec_lo, s15
	s_cbranch_execz .LBB150_18
.LBB150_14:                             ; =>This Inner Loop Header: Depth=1
	s_and_saveexec_b32 s0, vcc_lo
	s_cbranch_execz .LBB150_16
; %bb.15:                               ;   in Loop: Header=BB150_14 Depth=1
	ds_load_b32 v8, v6
.LBB150_16:                             ;   in Loop: Header=BB150_14 Depth=1
	s_or_b32 exec_lo, exec_lo, s0
	s_waitcnt lgkmcnt(0)
	ds_bpermute_b32 v9, v2, v8
	s_waitcnt lgkmcnt(0)
	v_add_f32_e32 v8, v8, v9
	ds_bpermute_b32 v9, v3, v8
	s_waitcnt lgkmcnt(0)
	v_add_f32_e32 v8, v8, v9
	;; [unrolled: 3-line block ×4, first 2 shown]
	s_and_saveexec_b32 s0, s1
	s_cbranch_execz .LBB150_13
; %bb.17:                               ;   in Loop: Header=BB150_14 Depth=1
	global_store_b32 v[0:1], v8, off
	s_branch .LBB150_13
.LBB150_18:
	s_set_inst_prefetch_distance 0x2
	s_nop 0
	s_sendmsg sendmsg(MSG_DEALLOC_VGPRS)
	s_endpgm
	.section	.rodata,"a",@progbits
	.p2align	6, 0x0
	.amdhsa_kernel _ZN2at6native12_GLOBAL__N_135GammaBetaBackwardCUDAKernelTemplateIffLj64ELj16ELj256ELb0ELb1ELb1EEEvllPKT_S5_PKT0_S8_PS3_S9_
		.amdhsa_group_segment_fixed_size 0
		.amdhsa_private_segment_fixed_size 0
		.amdhsa_kernarg_size 320
		.amdhsa_user_sgpr_count 14
		.amdhsa_user_sgpr_dispatch_ptr 0
		.amdhsa_user_sgpr_queue_ptr 0
		.amdhsa_user_sgpr_kernarg_segment_ptr 1
		.amdhsa_user_sgpr_dispatch_id 0
		.amdhsa_user_sgpr_private_segment_size 0
		.amdhsa_wavefront_size32 1
		.amdhsa_uses_dynamic_stack 0
		.amdhsa_enable_private_segment 0
		.amdhsa_system_sgpr_workgroup_id_x 1
		.amdhsa_system_sgpr_workgroup_id_y 1
		.amdhsa_system_sgpr_workgroup_id_z 0
		.amdhsa_system_sgpr_workgroup_info 0
		.amdhsa_system_vgpr_workitem_id 1
		.amdhsa_next_free_vgpr 64
		.amdhsa_next_free_sgpr 22
		.amdhsa_reserve_vcc 1
		.amdhsa_float_round_mode_32 0
		.amdhsa_float_round_mode_16_64 0
		.amdhsa_float_denorm_mode_32 3
		.amdhsa_float_denorm_mode_16_64 3
		.amdhsa_dx10_clamp 1
		.amdhsa_ieee_mode 1
		.amdhsa_fp16_overflow 0
		.amdhsa_workgroup_processor_mode 1
		.amdhsa_memory_ordered 1
		.amdhsa_forward_progress 0
		.amdhsa_shared_vgpr_count 0
		.amdhsa_exception_fp_ieee_invalid_op 0
		.amdhsa_exception_fp_denorm_src 0
		.amdhsa_exception_fp_ieee_div_zero 0
		.amdhsa_exception_fp_ieee_overflow 0
		.amdhsa_exception_fp_ieee_underflow 0
		.amdhsa_exception_fp_ieee_inexact 0
		.amdhsa_exception_int_div_zero 0
	.end_amdhsa_kernel
	.section	.text._ZN2at6native12_GLOBAL__N_135GammaBetaBackwardCUDAKernelTemplateIffLj64ELj16ELj256ELb0ELb1ELb1EEEvllPKT_S5_PKT0_S8_PS3_S9_,"axG",@progbits,_ZN2at6native12_GLOBAL__N_135GammaBetaBackwardCUDAKernelTemplateIffLj64ELj16ELj256ELb0ELb1ELb1EEEvllPKT_S5_PKT0_S8_PS3_S9_,comdat
.Lfunc_end150:
	.size	_ZN2at6native12_GLOBAL__N_135GammaBetaBackwardCUDAKernelTemplateIffLj64ELj16ELj256ELb0ELb1ELb1EEEvllPKT_S5_PKT0_S8_PS3_S9_, .Lfunc_end150-_ZN2at6native12_GLOBAL__N_135GammaBetaBackwardCUDAKernelTemplateIffLj64ELj16ELj256ELb0ELb1ELb1EEEvllPKT_S5_PKT0_S8_PS3_S9_
                                        ; -- End function
	.section	.AMDGPU.csdata,"",@progbits
; Kernel info:
; codeLenInByte = 2144
; NumSgprs: 24
; NumVgprs: 64
; ScratchSize: 0
; MemoryBound: 0
; FloatMode: 240
; IeeeMode: 1
; LDSByteSize: 0 bytes/workgroup (compile time only)
; SGPRBlocks: 2
; VGPRBlocks: 7
; NumSGPRsForWavesPerEU: 24
; NumVGPRsForWavesPerEU: 64
; Occupancy: 16
; WaveLimiterHint : 0
; COMPUTE_PGM_RSRC2:SCRATCH_EN: 0
; COMPUTE_PGM_RSRC2:USER_SGPR: 14
; COMPUTE_PGM_RSRC2:TRAP_HANDLER: 0
; COMPUTE_PGM_RSRC2:TGID_X_EN: 1
; COMPUTE_PGM_RSRC2:TGID_Y_EN: 1
; COMPUTE_PGM_RSRC2:TGID_Z_EN: 0
; COMPUTE_PGM_RSRC2:TIDIG_COMP_CNT: 1
	.section	.text._ZN2at6native12_GLOBAL__N_135GammaBetaBackwardCUDAKernelTemplateIffLj64ELj16ELj256ELb0ELb0ELb1EEEvllPKT_S5_PKT0_S8_PS3_S9_,"axG",@progbits,_ZN2at6native12_GLOBAL__N_135GammaBetaBackwardCUDAKernelTemplateIffLj64ELj16ELj256ELb0ELb0ELb1EEEvllPKT_S5_PKT0_S8_PS3_S9_,comdat
	.globl	_ZN2at6native12_GLOBAL__N_135GammaBetaBackwardCUDAKernelTemplateIffLj64ELj16ELj256ELb0ELb0ELb1EEEvllPKT_S5_PKT0_S8_PS3_S9_ ; -- Begin function _ZN2at6native12_GLOBAL__N_135GammaBetaBackwardCUDAKernelTemplateIffLj64ELj16ELj256ELb0ELb0ELb1EEEvllPKT_S5_PKT0_S8_PS3_S9_
	.p2align	8
	.type	_ZN2at6native12_GLOBAL__N_135GammaBetaBackwardCUDAKernelTemplateIffLj64ELj16ELj256ELb0ELb0ELb1EEEvllPKT_S5_PKT0_S8_PS3_S9_,@function
_ZN2at6native12_GLOBAL__N_135GammaBetaBackwardCUDAKernelTemplateIffLj64ELj16ELj256ELb0ELb0ELb1EEEvllPKT_S5_PKT0_S8_PS3_S9_: ; @_ZN2at6native12_GLOBAL__N_135GammaBetaBackwardCUDAKernelTemplateIffLj64ELj16ELj256ELb0ELb0ELb1EEEvllPKT_S5_PKT0_S8_PS3_S9_
; %bb.0:
	s_clause 0x1
	s_load_b256 s[4:11], s[0:1], 0x0
	s_load_b64 s[12:13], s[0:1], 0x28
	s_lshl_b32 s33, s14, 6
	s_mov_b32 s35, 0
	s_or_b32 s34, s33, 63
	s_waitcnt lgkmcnt(0)
	v_cmp_ge_i64_e64 s2, s[34:35], s[6:7]
	s_lshl_b32 s34, s15, 8
	s_delay_alu instid0(SALU_CYCLE_1) | instskip(NEXT) | instid1(VALU_DEP_2)
	v_cmp_lt_i64_e64 s15, s[34:35], s[4:5]
	s_and_b32 vcc_lo, exec_lo, s2
	s_delay_alu instid0(VALU_DEP_1) | instskip(NEXT) | instid1(VALU_DEP_1)
	v_cndmask_b32_e64 v1, 0, 1, s15
	v_cmp_ne_u32_e64 s2, 1, v1
	s_cbranch_vccz .LBB151_81
; %bb.1:
	v_mov_b32_e32 v1, 0
	s_delay_alu instid0(VALU_DEP_2)
	s_and_b32 vcc_lo, exec_lo, s2
	s_cbranch_vccnz .LBB151_82
; %bb.2:
	v_bfe_u32 v51, v0, 10, 10
	v_and_b32_e32 v53, 0x3ff, v0
	s_load_b32 s3, s[0:1], 0x44
	s_add_u32 s36, s0, 64
	s_addc_u32 s37, s1, 0
	v_lshlrev_b32_e32 v52, 4, v51
	s_mov_b32 s16, 0
	s_mov_b64 s[42:43], s[34:35]
	v_mov_b32_e32 v118, 0
	s_delay_alu instid0(VALU_DEP_2) | instskip(NEXT) | instid1(VALU_DEP_1)
	v_add_co_u32 v9, s2, v52, s34
	v_add_co_ci_u32_e64 v10, null, 0, 0, s2
	s_delay_alu instid0(VALU_DEP_2) | instskip(NEXT) | instid1(VALU_DEP_2)
	v_add_co_u32 v1, vcc_lo, v9, 15
	v_add_co_ci_u32_e32 v2, vcc_lo, 0, v10, vcc_lo
	v_add_co_u32 v7, vcc_lo, v9, 14
	s_delay_alu instid0(VALU_DEP_3) | instskip(NEXT) | instid1(VALU_DEP_3)
	v_mul_lo_u32 v5, s7, v1
	v_mul_lo_u32 v6, s6, v2
	v_mov_b32_e32 v2, 0
	v_mad_u64_u32 v[3:4], null, s6, v1, 0
	v_add_nc_u32_e32 v1, s33, v53
	s_waitcnt lgkmcnt(0)
	s_lshl_b32 s44, s3, 8
	s_delay_alu instid0(SALU_CYCLE_1) | instskip(SKIP_2) | instid1(VALU_DEP_3)
	s_mul_i32 s3, s7, s44
	s_mul_hi_u32 s17, s6, s44
	v_cmp_gt_i64_e64 s2, s[6:7], v[1:2]
	v_add3_u32 v4, v4, v6, v5
	v_add_co_ci_u32_e32 v5, vcc_lo, 0, v10, vcc_lo
	v_lshlrev_b64 v[49:50], 2, v[1:2]
	v_mul_lo_u32 v1, s7, v7
	s_delay_alu instid0(VALU_DEP_4) | instskip(NEXT) | instid1(VALU_DEP_4)
	v_lshlrev_b64 v[3:4], 2, v[3:4]
	v_mul_lo_u32 v11, s6, v5
	v_mad_u64_u32 v[5:6], null, s6, v7, 0
	s_add_i32 s19, s17, s3
	s_mul_i32 s18, s6, s44
	s_delay_alu instid0(VALU_DEP_3) | instskip(SKIP_4) | instid1(VALU_DEP_3)
	v_add_co_u32 v54, vcc_lo, s8, v3
	v_add_co_ci_u32_e32 v55, vcc_lo, s9, v4, vcc_lo
	v_add_co_u32 v12, vcc_lo, v9, 13
	v_add_co_ci_u32_e32 v8, vcc_lo, 0, v10, vcc_lo
	v_add3_u32 v6, v6, v11, v1
	v_mul_lo_u32 v13, s7, v12
	v_add_co_u32 v56, vcc_lo, s10, v3
	s_delay_alu instid0(VALU_DEP_4)
	v_mul_lo_u32 v14, s6, v8
	v_mad_u64_u32 v[7:8], null, s6, v12, 0
	v_add_co_ci_u32_e32 v57, vcc_lo, s11, v4, vcc_lo
	v_lshlrev_b64 v[3:4], 2, v[5:6]
	v_add_co_u32 v1, vcc_lo, v9, 12
	v_add_co_ci_u32_e32 v11, vcc_lo, 0, v10, vcc_lo
	v_add3_u32 v8, v8, v14, v13
	s_delay_alu instid0(VALU_DEP_4) | instskip(SKIP_1) | instid1(VALU_DEP_3)
	v_add_co_u32 v58, vcc_lo, s8, v3
	v_add_co_ci_u32_e32 v59, vcc_lo, s9, v4, vcc_lo
	v_lshlrev_b64 v[5:6], 2, v[7:8]
	v_add_co_u32 v60, vcc_lo, s10, v3
	v_mul_lo_u32 v12, s7, v1
	v_mul_lo_u32 v11, s6, v11
	v_mad_u64_u32 v[7:8], null, s6, v1, 0
	v_add_co_ci_u32_e32 v61, vcc_lo, s11, v4, vcc_lo
	v_add_co_u32 v62, vcc_lo, s8, v5
	v_add_co_ci_u32_e32 v63, vcc_lo, s9, v6, vcc_lo
	v_add_co_u32 v1, vcc_lo, v9, 11
	v_add_co_u32 v64, s3, s10, v5
	v_add_co_ci_u32_e32 v5, vcc_lo, 0, v10, vcc_lo
	v_add3_u32 v8, v8, v11, v12
	v_add_co_u32 v12, vcc_lo, v9, 10
	v_add_co_ci_u32_e64 v65, s3, s11, v6, s3
	v_mul_lo_u32 v11, s7, v1
	v_mul_lo_u32 v13, s6, v5
	v_mad_u64_u32 v[5:6], null, s6, v1, 0
	v_lshlrev_b64 v[3:4], 2, v[7:8]
	v_add_co_ci_u32_e32 v7, vcc_lo, 0, v10, vcc_lo
	v_mul_lo_u32 v1, s7, v12
	s_lshl_b64 s[38:39], s[18:19], 2
	s_add_u32 s40, s34, 0xff
	s_delay_alu instid0(VALU_DEP_2)
	v_mul_lo_u32 v14, s6, v7
	v_mad_u64_u32 v[7:8], null, s6, v12, 0
	v_add_co_u32 v66, vcc_lo, s8, v3
	v_add3_u32 v6, v6, v13, v11
	v_add_co_ci_u32_e32 v67, vcc_lo, s9, v4, vcc_lo
	v_add_co_u32 v68, vcc_lo, s10, v3
	v_add_co_ci_u32_e32 v69, vcc_lo, s11, v4, vcc_lo
	s_delay_alu instid0(VALU_DEP_4) | instskip(SKIP_3) | instid1(VALU_DEP_4)
	v_lshlrev_b64 v[3:4], 2, v[5:6]
	v_add3_u32 v8, v8, v14, v1
	v_add_co_u32 v1, vcc_lo, v9, 9
	v_add_co_ci_u32_e32 v11, vcc_lo, 0, v10, vcc_lo
	v_add_co_u32 v70, vcc_lo, s8, v3
	s_delay_alu instid0(VALU_DEP_4)
	v_lshlrev_b64 v[5:6], 2, v[7:8]
	v_add_co_ci_u32_e32 v71, vcc_lo, s9, v4, vcc_lo
	v_add_co_u32 v72, vcc_lo, s10, v3
	v_mul_lo_u32 v12, s7, v1
	v_mul_lo_u32 v11, s6, v11
	v_mad_u64_u32 v[7:8], null, s6, v1, 0
	v_add_co_ci_u32_e32 v73, vcc_lo, s11, v4, vcc_lo
	v_add_co_u32 v74, vcc_lo, s8, v5
	v_add_co_ci_u32_e32 v75, vcc_lo, s9, v6, vcc_lo
	v_add_co_u32 v1, vcc_lo, v9, 8
	v_add_co_u32 v76, s3, s10, v5
	v_add_co_ci_u32_e32 v5, vcc_lo, 0, v10, vcc_lo
	v_add3_u32 v8, v8, v11, v12
	v_add_co_u32 v12, vcc_lo, v9, 7
	v_add_co_ci_u32_e64 v77, s3, s11, v6, s3
	v_mul_lo_u32 v11, s7, v1
	v_mul_lo_u32 v13, s6, v5
	v_mad_u64_u32 v[5:6], null, s6, v1, 0
	v_lshlrev_b64 v[3:4], 2, v[7:8]
	v_add_co_ci_u32_e32 v7, vcc_lo, 0, v10, vcc_lo
	v_mul_lo_u32 v1, s7, v12
	s_addc_u32 s41, 0, 0
	s_delay_alu instid0(VALU_DEP_2)
	v_mul_lo_u32 v14, s6, v7
	v_mad_u64_u32 v[7:8], null, s6, v12, 0
	v_add_co_u32 v78, vcc_lo, s8, v3
	v_add3_u32 v6, v6, v13, v11
	v_add_co_ci_u32_e32 v79, vcc_lo, s9, v4, vcc_lo
	v_add_co_u32 v80, vcc_lo, s10, v3
	v_add_co_ci_u32_e32 v81, vcc_lo, s11, v4, vcc_lo
	s_delay_alu instid0(VALU_DEP_4) | instskip(SKIP_3) | instid1(VALU_DEP_4)
	v_lshlrev_b64 v[3:4], 2, v[5:6]
	v_add3_u32 v8, v8, v14, v1
	v_add_co_u32 v1, vcc_lo, v9, 6
	v_add_co_ci_u32_e32 v11, vcc_lo, 0, v10, vcc_lo
	v_add_co_u32 v82, vcc_lo, s8, v3
	s_delay_alu instid0(VALU_DEP_4)
	v_lshlrev_b64 v[5:6], 2, v[7:8]
	v_add_co_ci_u32_e32 v83, vcc_lo, s9, v4, vcc_lo
	v_add_co_u32 v84, vcc_lo, s10, v3
	v_mul_lo_u32 v12, s7, v1
	v_mul_lo_u32 v11, s6, v11
	v_mad_u64_u32 v[7:8], null, s6, v1, 0
	v_add_co_ci_u32_e32 v85, vcc_lo, s11, v4, vcc_lo
	v_add_co_u32 v86, vcc_lo, s8, v5
	v_add_co_ci_u32_e32 v87, vcc_lo, s9, v6, vcc_lo
	v_add_co_u32 v1, vcc_lo, v9, 5
	v_add_co_u32 v88, s3, s10, v5
	v_add_co_ci_u32_e32 v5, vcc_lo, 0, v10, vcc_lo
	v_add3_u32 v8, v8, v11, v12
	v_add_co_u32 v12, vcc_lo, v9, 4
	v_add_co_ci_u32_e64 v89, s3, s11, v6, s3
	v_mul_lo_u32 v11, s7, v1
	v_mul_lo_u32 v13, s6, v5
	v_mad_u64_u32 v[5:6], null, s6, v1, 0
	v_lshlrev_b64 v[3:4], 2, v[7:8]
	v_add_co_ci_u32_e32 v7, vcc_lo, 0, v10, vcc_lo
	v_mul_lo_u32 v1, s7, v12
	s_delay_alu instid0(VALU_DEP_2)
	v_mul_lo_u32 v14, s6, v7
	v_mad_u64_u32 v[7:8], null, s6, v12, 0
	v_add_co_u32 v90, vcc_lo, s8, v3
	v_add3_u32 v6, v6, v13, v11
	v_add_co_ci_u32_e32 v91, vcc_lo, s9, v4, vcc_lo
	v_add_co_u32 v92, vcc_lo, s10, v3
	v_add_co_ci_u32_e32 v93, vcc_lo, s11, v4, vcc_lo
	s_delay_alu instid0(VALU_DEP_4) | instskip(SKIP_3) | instid1(VALU_DEP_4)
	v_lshlrev_b64 v[3:4], 2, v[5:6]
	v_add3_u32 v8, v8, v14, v1
	v_add_co_u32 v1, vcc_lo, v9, 3
	v_add_co_ci_u32_e32 v11, vcc_lo, 0, v10, vcc_lo
	v_add_co_u32 v94, vcc_lo, s8, v3
	s_delay_alu instid0(VALU_DEP_4)
	v_lshlrev_b64 v[5:6], 2, v[7:8]
	v_add_co_ci_u32_e32 v95, vcc_lo, s9, v4, vcc_lo
	v_mul_lo_u32 v12, s7, v1
	v_mul_lo_u32 v11, s6, v11
	v_mad_u64_u32 v[7:8], null, s6, v1, 0
	v_add_co_u32 v96, vcc_lo, s10, v3
	v_add_co_ci_u32_e32 v97, vcc_lo, s11, v4, vcc_lo
	v_add_co_u32 v98, vcc_lo, s8, v5
	v_add_co_ci_u32_e32 v99, vcc_lo, s9, v6, vcc_lo
	v_add_co_u32 v1, vcc_lo, v9, 2
	v_add3_u32 v8, v8, v11, v12
	v_add_co_ci_u32_e32 v11, vcc_lo, 0, v10, vcc_lo
	v_add_co_u32 v100, vcc_lo, s10, v5
	v_add_co_ci_u32_e32 v101, vcc_lo, s11, v6, vcc_lo
	v_mul_lo_u32 v12, s7, v1
	s_delay_alu instid0(VALU_DEP_4)
	v_mul_lo_u32 v11, s6, v11
	v_mad_u64_u32 v[5:6], null, s6, v1, 0
	v_lshlrev_b64 v[3:4], 2, v[7:8]
	v_mul_lo_u32 v1, s7, v9
	v_mul_lo_u32 v10, s6, v10
	v_mad_u64_u32 v[7:8], null, s6, v9, 0
	s_delay_alu instid0(VALU_DEP_4)
	v_add_co_u32 v102, vcc_lo, s8, v3
	v_add3_u32 v6, v6, v11, v12
	v_add_co_ci_u32_e32 v103, vcc_lo, s9, v4, vcc_lo
	v_add_co_u32 v104, vcc_lo, s10, v3
	v_add3_u32 v8, v8, v10, v1
	v_add_co_ci_u32_e32 v105, vcc_lo, s11, v4, vcc_lo
	v_lshlrev_b64 v[3:4], 2, v[5:6]
	v_add_co_u32 v5, vcc_lo, v7, s6
	s_delay_alu instid0(VALU_DEP_4) | instskip(NEXT) | instid1(VALU_DEP_3)
	v_add_co_ci_u32_e32 v6, vcc_lo, s7, v8, vcc_lo
	v_add_co_u32 v106, vcc_lo, s8, v3
	s_delay_alu instid0(VALU_DEP_2) | instskip(SKIP_3) | instid1(VALU_DEP_4)
	v_lshlrev_b64 v[5:6], 2, v[5:6]
	v_add_co_ci_u32_e32 v107, vcc_lo, s9, v4, vcc_lo
	v_add_co_u32 v108, vcc_lo, s10, v3
	v_add_co_ci_u32_e32 v109, vcc_lo, s11, v4, vcc_lo
	v_add_co_u32 v110, vcc_lo, s8, v5
	v_lshlrev_b64 v[3:4], 2, v[7:8]
	v_add_co_ci_u32_e32 v111, vcc_lo, s9, v6, vcc_lo
	v_add_co_u32 v112, vcc_lo, s10, v5
	v_add_co_ci_u32_e32 v113, vcc_lo, s11, v6, vcc_lo
	s_delay_alu instid0(VALU_DEP_4)
	v_add_co_u32 v114, vcc_lo, s8, v3
	v_add_co_ci_u32_e32 v115, vcc_lo, s9, v4, vcc_lo
	v_add_co_u32 v116, vcc_lo, s10, v3
	v_add_co_ci_u32_e32 v117, vcc_lo, s11, v4, vcc_lo
.LBB151_3:                              ; =>This Inner Loop Header: Depth=1
	v_cmp_ge_i64_e64 s3, s[40:41], s[4:5]
	v_add_co_u32 v119, s17, v52, s40
	s_delay_alu instid0(VALU_DEP_1) | instskip(NEXT) | instid1(VALU_DEP_3)
	v_add_co_ci_u32_e64 v120, null, 0, s41, s17
	s_and_b32 vcc_lo, exec_lo, s3
	s_cbranch_vccz .LBB151_41
; %bb.4:                                ;   in Loop: Header=BB151_3 Depth=1
	s_load_b32 s3, s[36:37], 0xc
	v_mov_b32_e32 v121, 0
	s_waitcnt lgkmcnt(0)
	s_and_b32 s3, s3, 0xffff
	s_delay_alu instid0(SALU_CYCLE_1) | instskip(SKIP_1) | instid1(VALU_DEP_1)
	v_mad_u32_u24 v1, v51, s3, v53
	s_mov_b32 s3, exec_lo
	v_and_b32_e32 v1, 31, v1
	s_delay_alu instid0(VALU_DEP_1)
	v_cmpx_gt_u32_e32 16, v1
	s_cbranch_execz .LBB151_8
; %bb.5:                                ;   in Loop: Header=BB151_3 Depth=1
	v_add_co_u32 v1, vcc_lo, v119, v1
	v_add_co_ci_u32_e32 v4, vcc_lo, 0, v120, vcc_lo
	v_mov_b32_e32 v121, 0
	s_delay_alu instid0(VALU_DEP_3) | instskip(NEXT) | instid1(VALU_DEP_3)
	v_add_co_u32 v3, vcc_lo, 0xffffff01, v1
	v_add_co_ci_u32_e32 v4, vcc_lo, -1, v4, vcc_lo
	s_mov_b32 s17, exec_lo
	s_delay_alu instid0(VALU_DEP_1)
	v_cmpx_gt_i64_e64 s[4:5], v[3:4]
	s_cbranch_execz .LBB151_7
; %bb.6:                                ;   in Loop: Header=BB151_3 Depth=1
	v_lshlrev_b64 v[3:4], 2, v[3:4]
	s_delay_alu instid0(VALU_DEP_1) | instskip(NEXT) | instid1(VALU_DEP_2)
	v_add_co_u32 v3, vcc_lo, s12, v3
	v_add_co_ci_u32_e32 v4, vcc_lo, s13, v4, vcc_lo
	global_load_b32 v121, v[3:4], off
.LBB151_7:                              ;   in Loop: Header=BB151_3 Depth=1
	s_or_b32 exec_lo, exec_lo, s17
.LBB151_8:                              ;   in Loop: Header=BB151_3 Depth=1
	s_delay_alu instid0(SALU_CYCLE_1)
	s_or_b32 exec_lo, exec_lo, s3
	v_add_co_u32 v3, vcc_lo, 0xffffff01, v119
	s_mov_b32 s31, s16
	v_add_co_ci_u32_e32 v4, vcc_lo, -1, v120, vcc_lo
	s_mov_b32 s17, s16
	s_mov_b32 s18, s16
	;; [unrolled: 1-line block ×14, first 2 shown]
	s_delay_alu instid0(SALU_CYCLE_1)
	v_dual_mov_b32 v32, s31 :: v_dual_mov_b32 v31, s30
	v_dual_mov_b32 v30, s29 :: v_dual_mov_b32 v29, s28
	;; [unrolled: 1-line block ×8, first 2 shown]
	v_cmp_gt_i64_e32 vcc_lo, s[4:5], v[3:4]
	v_dual_mov_b32 v48, v32 :: v_dual_mov_b32 v47, v31
	v_dual_mov_b32 v46, v30 :: v_dual_mov_b32 v45, v29
	;; [unrolled: 1-line block ×8, first 2 shown]
	s_and_b32 s17, s2, vcc_lo
	s_delay_alu instid0(SALU_CYCLE_1)
	s_and_saveexec_b32 s3, s17
	s_cbranch_execz .LBB151_10
; %bb.9:                                ;   in Loop: Header=BB151_3 Depth=1
	v_add_co_u32 v3, vcc_lo, v114, v49
	v_add_co_ci_u32_e32 v4, vcc_lo, v115, v50, vcc_lo
	v_mov_b32_e32 v16, v2
	v_mov_b32_e32 v5, v2
	;; [unrolled: 1-line block ×3, first 2 shown]
	global_load_b32 v1, v[3:4], off
	v_add_co_u32 v3, vcc_lo, v116, v49
	v_add_co_ci_u32_e32 v4, vcc_lo, v117, v50, vcc_lo
	v_mov_b32_e32 v7, v2
	v_mov_b32_e32 v8, v2
	;; [unrolled: 1-line block ×3, first 2 shown]
	global_load_b32 v17, v[3:4], off
	v_mov_b32_e32 v3, v2
	v_mov_b32_e32 v4, v2
	v_mov_b32_e32 v10, v2
	v_mov_b32_e32 v11, v2
	v_mov_b32_e32 v12, v2
	v_mov_b32_e32 v13, v2
	v_mov_b32_e32 v14, v2
	v_mov_b32_e32 v15, v2
	s_waitcnt vmcnt(1)
	v_dual_mov_b32 v19, v2 :: v_dual_mov_b32 v48, v16
	v_mov_b32_e32 v18, v2
	v_dual_mov_b32 v20, v2 :: v_dual_mov_b32 v45, v13
	v_dual_mov_b32 v21, v2 :: v_dual_mov_b32 v44, v12
	;; [unrolled: 1-line block ×7, first 2 shown]
	v_mov_b32_e32 v27, v2
	v_dual_mov_b32 v28, v2 :: v_dual_mov_b32 v37, v5
	v_mov_b32_e32 v29, v2
	v_dual_mov_b32 v30, v2 :: v_dual_mov_b32 v35, v3
	;; [unrolled: 2-line block ×3, first 2 shown]
	v_mov_b32_e32 v42, v10
	v_mov_b32_e32 v38, v6
	;; [unrolled: 1-line block ×3, first 2 shown]
	v_dual_mov_b32 v32, v2 :: v_dual_mov_b32 v33, v1
.LBB151_10:                             ;   in Loop: Header=BB151_3 Depth=1
	s_or_b32 exec_lo, exec_lo, s3
	v_add_co_u32 v3, vcc_lo, 0xffffff02, v119
	v_add_co_ci_u32_e32 v4, vcc_lo, -1, v120, vcc_lo
	s_delay_alu instid0(VALU_DEP_1) | instskip(SKIP_1) | instid1(SALU_CYCLE_1)
	v_cmp_gt_i64_e32 vcc_lo, s[4:5], v[3:4]
	s_and_b32 s17, s2, vcc_lo
	s_and_saveexec_b32 s3, s17
	s_cbranch_execz .LBB151_12
; %bb.11:                               ;   in Loop: Header=BB151_3 Depth=1
	v_add_co_u32 v3, vcc_lo, v110, v49
	v_add_co_ci_u32_e32 v4, vcc_lo, v111, v50, vcc_lo
	v_add_co_u32 v5, vcc_lo, v112, v49
	v_add_co_ci_u32_e32 v6, vcc_lo, v113, v50, vcc_lo
	global_load_b32 v34, v[3:4], off
	global_load_b32 v18, v[5:6], off
.LBB151_12:                             ;   in Loop: Header=BB151_3 Depth=1
	s_or_b32 exec_lo, exec_lo, s3
	v_add_co_u32 v3, vcc_lo, 0xffffff03, v119
	v_add_co_ci_u32_e32 v4, vcc_lo, -1, v120, vcc_lo
	s_delay_alu instid0(VALU_DEP_1) | instskip(SKIP_1) | instid1(SALU_CYCLE_1)
	v_cmp_gt_i64_e32 vcc_lo, s[4:5], v[3:4]
	s_and_b32 s17, s2, vcc_lo
	s_and_saveexec_b32 s3, s17
	s_cbranch_execz .LBB151_14
; %bb.13:                               ;   in Loop: Header=BB151_3 Depth=1
	v_add_co_u32 v3, vcc_lo, v106, v49
	v_add_co_ci_u32_e32 v4, vcc_lo, v107, v50, vcc_lo
	v_add_co_u32 v5, vcc_lo, v108, v49
	v_add_co_ci_u32_e32 v6, vcc_lo, v109, v50, vcc_lo
	global_load_b32 v35, v[3:4], off
	global_load_b32 v19, v[5:6], off
.LBB151_14:                             ;   in Loop: Header=BB151_3 Depth=1
	;; [unrolled: 16-line block ×15, first 2 shown]
	s_or_b32 exec_lo, exec_lo, s3
	s_waitcnt vmcnt(0)
	ds_bpermute_b32 v1, v2, v121
	ds_bpermute_b32 v3, v2, v121 offset:4
	ds_bpermute_b32 v4, v2, v121 offset:8
	v_mul_f32_e32 v5, v17, v33
	ds_bpermute_b32 v6, v2, v121 offset:12
	v_mul_f32_e32 v7, v18, v34
	ds_bpermute_b32 v8, v2, v121 offset:16
	ds_bpermute_b32 v9, v2, v121 offset:20
	s_waitcnt lgkmcnt(5)
	v_fma_f32 v1, v5, v1, v118
	v_mul_f32_e32 v5, v19, v35
	s_waitcnt lgkmcnt(4)
	s_delay_alu instid0(VALU_DEP_2)
	v_fmac_f32_e32 v1, v7, v3
	v_mul_f32_e32 v3, v20, v36
	ds_bpermute_b32 v7, v2, v121 offset:24
	s_waitcnt lgkmcnt(4)
	v_fmac_f32_e32 v1, v5, v4
	v_mul_f32_e32 v4, v21, v37
	ds_bpermute_b32 v5, v2, v121 offset:28
	s_waitcnt lgkmcnt(4)
	;; [unrolled: 4-line block ×3, first 2 shown]
	v_dual_fmac_f32 v1, v4, v8 :: v_dual_mul_f32 v4, v23, v39
	ds_bpermute_b32 v8, v2, v121 offset:36
	s_waitcnt lgkmcnt(4)
	v_fmac_f32_e32 v1, v3, v9
	v_mul_f32_e32 v3, v24, v40
	ds_bpermute_b32 v9, v2, v121 offset:40
	s_waitcnt lgkmcnt(4)
	v_dual_fmac_f32 v1, v4, v7 :: v_dual_mul_f32 v4, v25, v41
	ds_bpermute_b32 v7, v2, v121 offset:44
	s_waitcnt lgkmcnt(4)
	v_fmac_f32_e32 v1, v3, v5
	v_mul_f32_e32 v3, v26, v42
	ds_bpermute_b32 v5, v2, v121 offset:48
	s_waitcnt lgkmcnt(4)
	v_dual_fmac_f32 v1, v4, v6 :: v_dual_mul_f32 v4, v27, v43
	ds_bpermute_b32 v6, v2, v121 offset:52
	s_waitcnt lgkmcnt(4)
	v_fmac_f32_e32 v1, v3, v8
	v_dual_mul_f32 v3, v28, v44 :: v_dual_mul_f32 v8, v29, v45
	s_waitcnt lgkmcnt(3)
	s_delay_alu instid0(VALU_DEP_2)
	v_fmac_f32_e32 v1, v4, v9
	ds_bpermute_b32 v4, v2, v121 offset:56
	s_waitcnt lgkmcnt(3)
	v_fmac_f32_e32 v1, v3, v7
	ds_bpermute_b32 v3, v2, v121 offset:60
	v_mul_f32_e32 v7, v30, v46
	s_waitcnt lgkmcnt(3)
	v_fmac_f32_e32 v1, v8, v5
	v_mul_f32_e32 v5, v31, v47
	s_waitcnt lgkmcnt(2)
	s_delay_alu instid0(VALU_DEP_2) | instskip(SKIP_1) | instid1(VALU_DEP_1)
	v_fmac_f32_e32 v1, v7, v6
	s_waitcnt lgkmcnt(1)
	v_fmac_f32_e32 v1, v5, v4
	s_branch .LBB151_64
.LBB151_41:                             ;   in Loop: Header=BB151_3 Depth=1
                                        ; implicit-def: $vgpr1
                                        ; implicit-def: $vgpr17_vgpr18_vgpr19_vgpr20_vgpr21_vgpr22_vgpr23_vgpr24_vgpr25_vgpr26_vgpr27_vgpr28_vgpr29_vgpr30_vgpr31_vgpr32
                                        ; implicit-def: $vgpr33_vgpr34_vgpr35_vgpr36_vgpr37_vgpr38_vgpr39_vgpr40_vgpr41_vgpr42_vgpr43_vgpr44_vgpr45_vgpr46_vgpr47_vgpr48
                                        ; implicit-def: $vgpr3
	s_cbranch_execz .LBB151_64
; %bb.42:                               ;   in Loop: Header=BB151_3 Depth=1
	s_load_b32 s3, s[36:37], 0x0
	v_mov_b32_e32 v121, 0
	s_waitcnt lgkmcnt(0)
	s_cmp_lt_u32 s14, s3
	s_cselect_b32 s3, 12, 18
	s_delay_alu instid0(SALU_CYCLE_1)
	s_add_u32 s18, s36, s3
	s_addc_u32 s19, s37, 0
	s_mov_b32 s3, exec_lo
	global_load_u16 v1, v2, s[18:19]
	s_waitcnt vmcnt(0)
	v_mad_u32_u24 v1, v51, v1, v53
	s_delay_alu instid0(VALU_DEP_1) | instskip(NEXT) | instid1(VALU_DEP_1)
	v_and_b32_e32 v1, 31, v1
	v_cmpx_gt_u32_e32 16, v1
	s_cbranch_execz .LBB151_46
; %bb.43:                               ;   in Loop: Header=BB151_3 Depth=1
	v_add_co_u32 v1, vcc_lo, v119, v1
	v_add_co_ci_u32_e32 v4, vcc_lo, 0, v120, vcc_lo
	v_mov_b32_e32 v121, 0
	s_delay_alu instid0(VALU_DEP_3) | instskip(NEXT) | instid1(VALU_DEP_3)
	v_add_co_u32 v3, vcc_lo, 0xffffff01, v1
	v_add_co_ci_u32_e32 v4, vcc_lo, -1, v4, vcc_lo
	s_mov_b32 s17, exec_lo
	s_delay_alu instid0(VALU_DEP_1)
	v_cmpx_gt_i64_e64 s[4:5], v[3:4]
	s_cbranch_execz .LBB151_45
; %bb.44:                               ;   in Loop: Header=BB151_3 Depth=1
	v_lshlrev_b64 v[3:4], 2, v[3:4]
	s_delay_alu instid0(VALU_DEP_1) | instskip(NEXT) | instid1(VALU_DEP_2)
	v_add_co_u32 v3, vcc_lo, s12, v3
	v_add_co_ci_u32_e32 v4, vcc_lo, s13, v4, vcc_lo
	global_load_b32 v121, v[3:4], off
.LBB151_45:                             ;   in Loop: Header=BB151_3 Depth=1
	s_or_b32 exec_lo, exec_lo, s17
.LBB151_46:                             ;   in Loop: Header=BB151_3 Depth=1
	s_delay_alu instid0(SALU_CYCLE_1)
	s_or_b32 exec_lo, exec_lo, s3
	s_mov_b32 s31, s16
	s_mov_b32 s17, s16
	;; [unrolled: 1-line block ×15, first 2 shown]
	s_delay_alu instid0(SALU_CYCLE_1)
	v_dual_mov_b32 v32, s31 :: v_dual_mov_b32 v31, s30
	v_dual_mov_b32 v30, s29 :: v_dual_mov_b32 v29, s28
	;; [unrolled: 1-line block ×16, first 2 shown]
	s_and_saveexec_b32 s3, s2
	s_cbranch_execnz .LBB151_66
; %bb.47:                               ;   in Loop: Header=BB151_3 Depth=1
	s_or_b32 exec_lo, exec_lo, s3
	s_and_saveexec_b32 s3, s2
	s_cbranch_execnz .LBB151_67
.LBB151_48:                             ;   in Loop: Header=BB151_3 Depth=1
	s_or_b32 exec_lo, exec_lo, s3
	s_and_saveexec_b32 s3, s2
	s_cbranch_execnz .LBB151_68
.LBB151_49:                             ;   in Loop: Header=BB151_3 Depth=1
	s_or_b32 exec_lo, exec_lo, s3
	s_and_saveexec_b32 s3, s2
	s_cbranch_execnz .LBB151_69
.LBB151_50:                             ;   in Loop: Header=BB151_3 Depth=1
	s_or_b32 exec_lo, exec_lo, s3
	s_and_saveexec_b32 s3, s2
	s_cbranch_execnz .LBB151_70
.LBB151_51:                             ;   in Loop: Header=BB151_3 Depth=1
	s_or_b32 exec_lo, exec_lo, s3
	s_and_saveexec_b32 s3, s2
	s_cbranch_execnz .LBB151_71
.LBB151_52:                             ;   in Loop: Header=BB151_3 Depth=1
	s_or_b32 exec_lo, exec_lo, s3
	s_and_saveexec_b32 s3, s2
	s_cbranch_execnz .LBB151_72
.LBB151_53:                             ;   in Loop: Header=BB151_3 Depth=1
	s_or_b32 exec_lo, exec_lo, s3
	s_and_saveexec_b32 s3, s2
	s_cbranch_execnz .LBB151_73
.LBB151_54:                             ;   in Loop: Header=BB151_3 Depth=1
	s_or_b32 exec_lo, exec_lo, s3
	s_and_saveexec_b32 s3, s2
	s_cbranch_execnz .LBB151_74
.LBB151_55:                             ;   in Loop: Header=BB151_3 Depth=1
	s_or_b32 exec_lo, exec_lo, s3
	s_and_saveexec_b32 s3, s2
	s_cbranch_execnz .LBB151_75
.LBB151_56:                             ;   in Loop: Header=BB151_3 Depth=1
	s_or_b32 exec_lo, exec_lo, s3
	s_and_saveexec_b32 s3, s2
	s_cbranch_execnz .LBB151_76
.LBB151_57:                             ;   in Loop: Header=BB151_3 Depth=1
	s_or_b32 exec_lo, exec_lo, s3
	s_and_saveexec_b32 s3, s2
	s_cbranch_execnz .LBB151_77
.LBB151_58:                             ;   in Loop: Header=BB151_3 Depth=1
	s_or_b32 exec_lo, exec_lo, s3
	s_and_saveexec_b32 s3, s2
	s_cbranch_execnz .LBB151_78
.LBB151_59:                             ;   in Loop: Header=BB151_3 Depth=1
	s_or_b32 exec_lo, exec_lo, s3
	s_and_saveexec_b32 s3, s2
	s_cbranch_execnz .LBB151_79
.LBB151_60:                             ;   in Loop: Header=BB151_3 Depth=1
	s_or_b32 exec_lo, exec_lo, s3
	s_and_saveexec_b32 s3, s2
	s_cbranch_execnz .LBB151_80
.LBB151_61:                             ;   in Loop: Header=BB151_3 Depth=1
	s_or_b32 exec_lo, exec_lo, s3
	s_and_saveexec_b32 s3, s2
	s_cbranch_execz .LBB151_63
.LBB151_62:                             ;   in Loop: Header=BB151_3 Depth=1
	v_add_co_u32 v3, vcc_lo, v54, v49
	v_add_co_ci_u32_e32 v4, vcc_lo, v55, v50, vcc_lo
	v_add_co_u32 v5, vcc_lo, v56, v49
	v_add_co_ci_u32_e32 v6, vcc_lo, v57, v50, vcc_lo
	global_load_b32 v48, v[3:4], off
	global_load_b32 v32, v[5:6], off
.LBB151_63:                             ;   in Loop: Header=BB151_3 Depth=1
	s_or_b32 exec_lo, exec_lo, s3
	s_waitcnt vmcnt(0)
	ds_bpermute_b32 v1, v2, v121
	ds_bpermute_b32 v3, v2, v121 offset:4
	ds_bpermute_b32 v4, v2, v121 offset:8
	;; [unrolled: 1-line block ×3, first 2 shown]
	v_mul_f32_e32 v7, v18, v34
	v_mul_f32_e32 v5, v17, v33
	ds_bpermute_b32 v8, v2, v121 offset:16
	s_waitcnt lgkmcnt(4)
	v_dual_fmac_f32 v118, v5, v1 :: v_dual_mul_f32 v1, v19, v35
	ds_bpermute_b32 v5, v2, v121 offset:20
	s_waitcnt lgkmcnt(4)
	v_fmac_f32_e32 v118, v7, v3
	ds_bpermute_b32 v7, v2, v121 offset:24
	v_mul_f32_e32 v3, v20, v36
	s_waitcnt lgkmcnt(4)
	v_fmac_f32_e32 v118, v1, v4
	v_mul_f32_e32 v1, v21, v37
	ds_bpermute_b32 v4, v2, v121 offset:28
	s_waitcnt lgkmcnt(4)
	v_fmac_f32_e32 v118, v3, v6
	v_mul_f32_e32 v3, v22, v38
	ds_bpermute_b32 v6, v2, v121 offset:32
	s_waitcnt lgkmcnt(4)
	v_dual_fmac_f32 v118, v1, v8 :: v_dual_mul_f32 v1, v23, v39
	ds_bpermute_b32 v8, v2, v121 offset:36
	s_waitcnt lgkmcnt(4)
	v_dual_fmac_f32 v118, v3, v5 :: v_dual_mul_f32 v3, v24, v40
	ds_bpermute_b32 v5, v2, v121 offset:40
	s_waitcnt lgkmcnt(4)
	v_fmac_f32_e32 v118, v1, v7
	v_mul_f32_e32 v1, v25, v41
	ds_bpermute_b32 v7, v2, v121 offset:44
	s_waitcnt lgkmcnt(4)
	v_fmac_f32_e32 v118, v3, v4
	ds_bpermute_b32 v4, v2, v121 offset:48
	s_waitcnt lgkmcnt(4)
	v_dual_fmac_f32 v118, v1, v6 :: v_dual_mul_f32 v1, v27, v43
	v_mul_f32_e32 v3, v26, v42
	ds_bpermute_b32 v6, v2, v121 offset:52
	s_waitcnt lgkmcnt(4)
	v_fmac_f32_e32 v118, v3, v8
	s_waitcnt lgkmcnt(3)
	s_delay_alu instid0(VALU_DEP_1)
	v_dual_mul_f32 v3, v28, v44 :: v_dual_fmac_f32 v118, v1, v5
	ds_bpermute_b32 v1, v2, v121 offset:56
	s_waitcnt lgkmcnt(3)
	v_dual_mul_f32 v5, v29, v45 :: v_dual_fmac_f32 v118, v3, v7
	v_mul_f32_e32 v7, v30, v46
	ds_bpermute_b32 v3, v2, v121 offset:60
	s_waitcnt lgkmcnt(3)
	v_fmac_f32_e32 v118, v5, v4
	v_mul_f32_e32 v4, v31, v47
	s_waitcnt lgkmcnt(2)
	s_delay_alu instid0(VALU_DEP_2) | instskip(SKIP_1) | instid1(VALU_DEP_1)
	v_fmac_f32_e32 v118, v7, v6
	s_waitcnt lgkmcnt(1)
	v_fmac_f32_e32 v118, v4, v1
	s_delay_alu instid0(VALU_DEP_1)
	v_mov_b32_e32 v1, v118
.LBB151_64:                             ;   in Loop: Header=BB151_3 Depth=1
	v_add_co_u32 v54, vcc_lo, v54, s38
	v_add_co_ci_u32_e32 v55, vcc_lo, s39, v55, vcc_lo
	v_add_co_u32 v56, vcc_lo, v56, s38
	v_add_co_ci_u32_e32 v57, vcc_lo, s39, v57, vcc_lo
	;; [unrolled: 2-line block ×29, first 2 shown]
	v_add_co_u32 v112, vcc_lo, v112, s38
	s_add_u32 s42, s42, s44
	v_add_co_ci_u32_e32 v113, vcc_lo, s39, v113, vcc_lo
	v_mul_f32_e32 v4, v48, v32
	s_addc_u32 s43, s43, 0
	v_add_co_u32 v114, vcc_lo, v114, s38
	v_cmp_lt_i64_e64 s3, s[42:43], s[4:5]
	v_add_co_ci_u32_e32 v115, vcc_lo, s39, v115, vcc_lo
	v_add_co_u32 v116, vcc_lo, v116, s38
	s_waitcnt lgkmcnt(0)
	v_fmac_f32_e32 v1, v4, v3
	v_add_co_ci_u32_e32 v117, vcc_lo, s39, v117, vcc_lo
	s_add_u32 s40, s40, s44
	s_addc_u32 s41, s41, 0
	s_and_b32 vcc_lo, exec_lo, s3
	s_cbranch_vccz .LBB151_82
; %bb.65:                               ;   in Loop: Header=BB151_3 Depth=1
	v_mov_b32_e32 v118, v1
	s_branch .LBB151_3
.LBB151_66:                             ;   in Loop: Header=BB151_3 Depth=1
	v_add_co_u32 v3, vcc_lo, v114, v49
	v_add_co_ci_u32_e32 v4, vcc_lo, v115, v50, vcc_lo
	v_mov_b32_e32 v16, v2
	v_mov_b32_e32 v5, v2
	;; [unrolled: 1-line block ×3, first 2 shown]
	global_load_b32 v1, v[3:4], off
	v_add_co_u32 v3, vcc_lo, v116, v49
	v_add_co_ci_u32_e32 v4, vcc_lo, v117, v50, vcc_lo
	v_mov_b32_e32 v7, v2
	v_mov_b32_e32 v8, v2
	;; [unrolled: 1-line block ×3, first 2 shown]
	global_load_b32 v17, v[3:4], off
	v_mov_b32_e32 v3, v2
	v_mov_b32_e32 v4, v2
	;; [unrolled: 1-line block ×8, first 2 shown]
	s_waitcnt vmcnt(1)
	v_dual_mov_b32 v19, v2 :: v_dual_mov_b32 v48, v16
	v_mov_b32_e32 v18, v2
	v_dual_mov_b32 v20, v2 :: v_dual_mov_b32 v45, v13
	v_dual_mov_b32 v21, v2 :: v_dual_mov_b32 v44, v12
	;; [unrolled: 1-line block ×7, first 2 shown]
	v_mov_b32_e32 v27, v2
	v_dual_mov_b32 v28, v2 :: v_dual_mov_b32 v37, v5
	v_mov_b32_e32 v29, v2
	v_dual_mov_b32 v30, v2 :: v_dual_mov_b32 v35, v3
	v_mov_b32_e32 v31, v2
	v_dual_mov_b32 v47, v15 :: v_dual_mov_b32 v46, v14
	v_mov_b32_e32 v42, v10
	v_mov_b32_e32 v38, v6
	;; [unrolled: 1-line block ×3, first 2 shown]
	v_dual_mov_b32 v32, v2 :: v_dual_mov_b32 v33, v1
	s_or_b32 exec_lo, exec_lo, s3
	s_and_saveexec_b32 s3, s2
	s_cbranch_execz .LBB151_48
.LBB151_67:                             ;   in Loop: Header=BB151_3 Depth=1
	v_add_co_u32 v3, vcc_lo, v110, v49
	v_add_co_ci_u32_e32 v4, vcc_lo, v111, v50, vcc_lo
	v_add_co_u32 v5, vcc_lo, v112, v49
	v_add_co_ci_u32_e32 v6, vcc_lo, v113, v50, vcc_lo
	global_load_b32 v34, v[3:4], off
	global_load_b32 v18, v[5:6], off
	s_or_b32 exec_lo, exec_lo, s3
	s_and_saveexec_b32 s3, s2
	s_cbranch_execz .LBB151_49
.LBB151_68:                             ;   in Loop: Header=BB151_3 Depth=1
	v_add_co_u32 v3, vcc_lo, v106, v49
	v_add_co_ci_u32_e32 v4, vcc_lo, v107, v50, vcc_lo
	v_add_co_u32 v5, vcc_lo, v108, v49
	v_add_co_ci_u32_e32 v6, vcc_lo, v109, v50, vcc_lo
	global_load_b32 v35, v[3:4], off
	global_load_b32 v19, v[5:6], off
	s_or_b32 exec_lo, exec_lo, s3
	s_and_saveexec_b32 s3, s2
	s_cbranch_execz .LBB151_50
.LBB151_69:                             ;   in Loop: Header=BB151_3 Depth=1
	v_add_co_u32 v3, vcc_lo, v102, v49
	v_add_co_ci_u32_e32 v4, vcc_lo, v103, v50, vcc_lo
	v_add_co_u32 v5, vcc_lo, v104, v49
	v_add_co_ci_u32_e32 v6, vcc_lo, v105, v50, vcc_lo
	global_load_b32 v36, v[3:4], off
	global_load_b32 v20, v[5:6], off
	s_or_b32 exec_lo, exec_lo, s3
	s_and_saveexec_b32 s3, s2
	s_cbranch_execz .LBB151_51
.LBB151_70:                             ;   in Loop: Header=BB151_3 Depth=1
	v_add_co_u32 v3, vcc_lo, v98, v49
	v_add_co_ci_u32_e32 v4, vcc_lo, v99, v50, vcc_lo
	v_add_co_u32 v5, vcc_lo, v100, v49
	v_add_co_ci_u32_e32 v6, vcc_lo, v101, v50, vcc_lo
	global_load_b32 v37, v[3:4], off
	global_load_b32 v21, v[5:6], off
	s_or_b32 exec_lo, exec_lo, s3
	s_and_saveexec_b32 s3, s2
	s_cbranch_execz .LBB151_52
.LBB151_71:                             ;   in Loop: Header=BB151_3 Depth=1
	v_add_co_u32 v3, vcc_lo, v94, v49
	v_add_co_ci_u32_e32 v4, vcc_lo, v95, v50, vcc_lo
	v_add_co_u32 v5, vcc_lo, v96, v49
	v_add_co_ci_u32_e32 v6, vcc_lo, v97, v50, vcc_lo
	global_load_b32 v38, v[3:4], off
	global_load_b32 v22, v[5:6], off
	s_or_b32 exec_lo, exec_lo, s3
	s_and_saveexec_b32 s3, s2
	s_cbranch_execz .LBB151_53
.LBB151_72:                             ;   in Loop: Header=BB151_3 Depth=1
	v_add_co_u32 v3, vcc_lo, v90, v49
	v_add_co_ci_u32_e32 v4, vcc_lo, v91, v50, vcc_lo
	v_add_co_u32 v5, vcc_lo, v92, v49
	v_add_co_ci_u32_e32 v6, vcc_lo, v93, v50, vcc_lo
	global_load_b32 v39, v[3:4], off
	global_load_b32 v23, v[5:6], off
	s_or_b32 exec_lo, exec_lo, s3
	s_and_saveexec_b32 s3, s2
	s_cbranch_execz .LBB151_54
.LBB151_73:                             ;   in Loop: Header=BB151_3 Depth=1
	v_add_co_u32 v3, vcc_lo, v86, v49
	v_add_co_ci_u32_e32 v4, vcc_lo, v87, v50, vcc_lo
	v_add_co_u32 v5, vcc_lo, v88, v49
	v_add_co_ci_u32_e32 v6, vcc_lo, v89, v50, vcc_lo
	global_load_b32 v40, v[3:4], off
	global_load_b32 v24, v[5:6], off
	s_or_b32 exec_lo, exec_lo, s3
	s_and_saveexec_b32 s3, s2
	s_cbranch_execz .LBB151_55
.LBB151_74:                             ;   in Loop: Header=BB151_3 Depth=1
	v_add_co_u32 v3, vcc_lo, v82, v49
	v_add_co_ci_u32_e32 v4, vcc_lo, v83, v50, vcc_lo
	v_add_co_u32 v5, vcc_lo, v84, v49
	v_add_co_ci_u32_e32 v6, vcc_lo, v85, v50, vcc_lo
	global_load_b32 v41, v[3:4], off
	global_load_b32 v25, v[5:6], off
	s_or_b32 exec_lo, exec_lo, s3
	s_and_saveexec_b32 s3, s2
	s_cbranch_execz .LBB151_56
.LBB151_75:                             ;   in Loop: Header=BB151_3 Depth=1
	v_add_co_u32 v3, vcc_lo, v78, v49
	v_add_co_ci_u32_e32 v4, vcc_lo, v79, v50, vcc_lo
	v_add_co_u32 v5, vcc_lo, v80, v49
	v_add_co_ci_u32_e32 v6, vcc_lo, v81, v50, vcc_lo
	global_load_b32 v42, v[3:4], off
	global_load_b32 v26, v[5:6], off
	s_or_b32 exec_lo, exec_lo, s3
	s_and_saveexec_b32 s3, s2
	s_cbranch_execz .LBB151_57
.LBB151_76:                             ;   in Loop: Header=BB151_3 Depth=1
	v_add_co_u32 v3, vcc_lo, v74, v49
	v_add_co_ci_u32_e32 v4, vcc_lo, v75, v50, vcc_lo
	v_add_co_u32 v5, vcc_lo, v76, v49
	v_add_co_ci_u32_e32 v6, vcc_lo, v77, v50, vcc_lo
	global_load_b32 v43, v[3:4], off
	global_load_b32 v27, v[5:6], off
	s_or_b32 exec_lo, exec_lo, s3
	s_and_saveexec_b32 s3, s2
	s_cbranch_execz .LBB151_58
.LBB151_77:                             ;   in Loop: Header=BB151_3 Depth=1
	v_add_co_u32 v3, vcc_lo, v70, v49
	v_add_co_ci_u32_e32 v4, vcc_lo, v71, v50, vcc_lo
	v_add_co_u32 v5, vcc_lo, v72, v49
	v_add_co_ci_u32_e32 v6, vcc_lo, v73, v50, vcc_lo
	global_load_b32 v44, v[3:4], off
	global_load_b32 v28, v[5:6], off
	s_or_b32 exec_lo, exec_lo, s3
	s_and_saveexec_b32 s3, s2
	s_cbranch_execz .LBB151_59
.LBB151_78:                             ;   in Loop: Header=BB151_3 Depth=1
	v_add_co_u32 v3, vcc_lo, v66, v49
	v_add_co_ci_u32_e32 v4, vcc_lo, v67, v50, vcc_lo
	v_add_co_u32 v5, vcc_lo, v68, v49
	v_add_co_ci_u32_e32 v6, vcc_lo, v69, v50, vcc_lo
	global_load_b32 v45, v[3:4], off
	global_load_b32 v29, v[5:6], off
	s_or_b32 exec_lo, exec_lo, s3
	s_and_saveexec_b32 s3, s2
	s_cbranch_execz .LBB151_60
.LBB151_79:                             ;   in Loop: Header=BB151_3 Depth=1
	v_add_co_u32 v3, vcc_lo, v62, v49
	v_add_co_ci_u32_e32 v4, vcc_lo, v63, v50, vcc_lo
	v_add_co_u32 v5, vcc_lo, v64, v49
	v_add_co_ci_u32_e32 v6, vcc_lo, v65, v50, vcc_lo
	global_load_b32 v46, v[3:4], off
	global_load_b32 v30, v[5:6], off
	s_or_b32 exec_lo, exec_lo, s3
	s_and_saveexec_b32 s3, s2
	s_cbranch_execz .LBB151_61
.LBB151_80:                             ;   in Loop: Header=BB151_3 Depth=1
	v_add_co_u32 v3, vcc_lo, v58, v49
	v_add_co_ci_u32_e32 v4, vcc_lo, v59, v50, vcc_lo
	v_add_co_u32 v5, vcc_lo, v60, v49
	v_add_co_ci_u32_e32 v6, vcc_lo, v61, v50, vcc_lo
	global_load_b32 v47, v[3:4], off
	global_load_b32 v31, v[5:6], off
	s_or_b32 exec_lo, exec_lo, s3
	s_and_saveexec_b32 s3, s2
	s_cbranch_execnz .LBB151_62
	s_branch .LBB151_63
.LBB151_81:
                                        ; implicit-def: $vgpr1
	s_branch .LBB151_83
.LBB151_82:
	s_cbranch_execnz .LBB151_131
.LBB151_83:
	v_mov_b32_e32 v1, 0
	s_and_not1_b32 vcc_lo, exec_lo, s15
	s_cbranch_vccnz .LBB151_131
; %bb.84:
	s_load_b32 s15, s[0:1], 0x44
	v_bfe_u32 v111, v0, 10, 10
	s_add_u32 s2, s0, 64
	s_addc_u32 s3, s1, 0
	v_dual_mov_b32 v178, 0 :: v_dual_and_b32 v173, 0x3ff, v0
	s_delay_alu instid0(VALU_DEP_2)
	v_lshlrev_b32_e32 v1, 6, v111
	v_lshlrev_b32_e32 v112, 4, v111
	s_waitcnt lgkmcnt(0)
	s_lshl_b32 s15, s15, 8
	s_add_u32 s36, s34, 0xff
	s_addc_u32 s37, 0, 0
	s_lshl_b64 s[16:17], s[34:35], 2
	s_delay_alu instid0(SALU_CYCLE_1) | instskip(NEXT) | instid1(VALU_DEP_1)
	v_add_co_u32 v1, s16, v1, s16
	v_add_co_ci_u32_e64 v2, null, 0, s17, s16
	v_add_co_u32 v46, s16, v112, s34
	s_delay_alu instid0(VALU_DEP_3) | instskip(NEXT) | instid1(VALU_DEP_3)
	v_add_co_u32 v3, vcc_lo, v1, 4
	v_add_co_ci_u32_e32 v4, vcc_lo, 0, v2, vcc_lo
	v_add_co_u32 v5, vcc_lo, v1, 8
	v_add_co_ci_u32_e32 v6, vcc_lo, 0, v2, vcc_lo
	;; [unrolled: 2-line block ×13, first 2 shown]
	v_add_co_u32 v42, vcc_lo, v1, 56
	v_mad_u64_u32 v[53:54], null, s6, v7, s[8:9]
	v_mul_lo_u32 v8, s6, v8
	v_mul_lo_u32 v11, s7, v7
	v_mad_u64_u32 v[83:84], null, s6, v7, s[10:11]
	v_add_co_ci_u32_e32 v43, vcc_lo, 0, v2, vcc_lo
	v_mad_u64_u32 v[51:52], null, s6, v5, s[8:9]
	v_mul_lo_u32 v6, s6, v6
	v_mul_lo_u32 v10, s7, v5
	v_add_co_u32 v45, vcc_lo, v1, 60
	v_add_co_ci_u32_e64 v47, null, 0, 0, s16
	v_mad_u64_u32 v[81:82], null, s6, v5, s[10:11]
	v_add_co_ci_u32_e32 v1, vcc_lo, 0, v2, vcc_lo
	v_add_co_u32 v5, vcc_lo, v46, 15
	v_mad_u64_u32 v[49:50], null, s6, v3, s[8:9]
	v_mul_lo_u32 v4, s6, v4
	v_mul_lo_u32 v9, s7, v3
	v_mad_u64_u32 v[79:80], null, s6, v3, s[10:11]
	v_add_co_ci_u32_e32 v3, vcc_lo, 0, v47, vcc_lo
	v_add3_u32 v54, v11, v54, v8
	v_add3_u32 v84, v11, v84, v8
	v_add_co_u32 v8, vcc_lo, v46, 14
	v_add3_u32 v52, v10, v52, v6
	v_add3_u32 v82, v10, v82, v6
	v_add_co_ci_u32_e32 v6, vcc_lo, 0, v47, vcc_lo
	v_add3_u32 v50, v9, v50, v4
	v_add3_u32 v80, v9, v80, v4
	v_mul_lo_u32 v7, s7, v5
	v_mul_lo_u32 v9, s6, v3
	v_mad_u64_u32 v[3:4], null, s6, v5, 0
	v_mul_lo_u32 v10, s7, v8
	v_mul_lo_u32 v11, s6, v6
	v_mad_u64_u32 v[5:6], null, s6, v8, 0
	v_mul_lo_u32 v48, s6, v1
	v_mul_lo_u32 v89, s7, v46
	;; [unrolled: 1-line block ×3, first 2 shown]
	v_mad_u64_u32 v[1:2], null, s6, v46, 0
	v_mad_u64_u32 v[55:56], null, s6, v12, s[8:9]
	v_mul_lo_u32 v13, s6, v13
	v_mul_lo_u32 v16, s7, v12
	v_mad_u64_u32 v[85:86], null, s6, v12, s[10:11]
	v_mad_u64_u32 v[57:58], null, s6, v14, s[8:9]
	v_mul_lo_u32 v15, s6, v15
	v_mul_lo_u32 v18, s7, v14
	v_mad_u64_u32 v[87:88], null, s6, v14, s[10:11]
	v_add_co_u32 v12, vcc_lo, v46, 13
	v_add_co_ci_u32_e32 v8, vcc_lo, 0, v47, vcc_lo
	v_add3_u32 v6, v6, v11, v10
	v_add_co_u32 v11, vcc_lo, v46, 12
	v_mad_u64_u32 v[59:60], null, s6, v17, s[8:9]
	v_mul_lo_u32 v19, s6, v19
	v_mul_lo_u32 v22, s7, v17
	v_add3_u32 v2, v2, v90, v89
	v_mad_u64_u32 v[89:90], null, s6, v17, s[10:11]
	v_mad_u64_u32 v[61:62], null, s6, v20, s[8:9]
	v_mul_lo_u32 v21, s6, v21
	v_mul_lo_u32 v24, s7, v20
	v_mad_u64_u32 v[91:92], null, s6, v20, s[10:11]
	v_add3_u32 v4, v4, v9, v7
	v_add_co_ci_u32_e32 v9, vcc_lo, 0, v47, vcc_lo
	v_add3_u32 v56, v16, v56, v13
	v_add3_u32 v86, v16, v86, v13
	v_add_co_u32 v13, vcc_lo, v46, 11
	v_add3_u32 v58, v18, v58, v15
	v_add3_u32 v88, v18, v88, v15
	v_mul_lo_u32 v17, s7, v12
	v_mul_lo_u32 v18, s6, v8
	v_mad_u64_u32 v[7:8], null, s6, v12, 0
	v_add_co_ci_u32_e32 v12, vcc_lo, 0, v47, vcc_lo
	v_mad_u64_u32 v[63:64], null, s6, v23, s[8:9]
	v_mul_lo_u32 v25, s6, v25
	v_mul_lo_u32 v28, s7, v23
	v_mad_u64_u32 v[93:94], null, s6, v23, s[10:11]
	v_add_co_u32 v15, vcc_lo, v46, 10
	v_add3_u32 v60, v22, v60, v19
	v_add3_u32 v90, v22, v90, v19
	v_mul_lo_u32 v19, s7, v11
	v_mul_lo_u32 v20, s6, v9
	v_mad_u64_u32 v[9:10], null, s6, v11, 0
	v_add3_u32 v62, v24, v62, v21
	v_add3_u32 v92, v24, v92, v21
	v_mul_lo_u32 v21, s7, v13
	v_mul_lo_u32 v22, s6, v12
	v_mad_u64_u32 v[11:12], null, s6, v13, 0
	v_add_co_ci_u32_e32 v13, vcc_lo, 0, v47, vcc_lo
	v_add_co_u32 v24, vcc_lo, v46, 9
	v_add3_u32 v64, v28, v64, v25
	v_add3_u32 v94, v28, v94, v25
	v_mul_lo_u32 v23, s7, v15
	v_mul_lo_u32 v25, s6, v13
	v_mad_u64_u32 v[13:14], null, s6, v15, 0
	v_add_co_ci_u32_e32 v16, vcc_lo, 0, v47, vcc_lo
	v_add3_u32 v10, v10, v20, v19
	v_add_co_u32 v19, vcc_lo, v46, 8
	v_add3_u32 v8, v8, v18, v17
	v_add_co_ci_u32_e32 v17, vcc_lo, 0, v47, vcc_lo
	v_add3_u32 v12, v12, v22, v21
	v_add_co_u32 v21, vcc_lo, v46, 7
	v_mad_u64_u32 v[67:68], null, s6, v30, s[8:9]
	v_mul_lo_u32 v31, s6, v31
	v_mul_lo_u32 v34, s7, v30
	v_mad_u64_u32 v[69:70], null, s6, v32, s[8:9]
	v_mul_lo_u32 v33, s6, v33
	v_mul_lo_u32 v36, s7, v32
	v_mad_u64_u32 v[71:72], null, s6, v35, s[8:9]
	v_mul_lo_u32 v37, s6, v37
	v_mul_lo_u32 v40, s7, v35
	v_mad_u64_u32 v[97:98], null, s6, v30, s[10:11]
	v_mad_u64_u32 v[99:100], null, s6, v32, s[10:11]
	;; [unrolled: 1-line block ×3, first 2 shown]
	v_add_co_ci_u32_e32 v20, vcc_lo, 0, v47, vcc_lo
	v_mad_u64_u32 v[65:66], null, s6, v26, s[8:9]
	v_mul_lo_u32 v27, s6, v27
	v_mul_lo_u32 v29, s7, v26
	v_mad_u64_u32 v[95:96], null, s6, v26, s[10:11]
	v_add3_u32 v14, v14, v25, v23
	v_add_co_u32 v23, vcc_lo, v46, 6
	v_add_co_ci_u32_e32 v22, vcc_lo, 0, v47, vcc_lo
	v_add_co_u32 v25, vcc_lo, v46, 5
	v_mad_u64_u32 v[73:74], null, s6, v38, s[8:9]
	v_mul_lo_u32 v39, s6, v39
	v_mul_lo_u32 v41, s7, v38
	v_add3_u32 v68, v34, v68, v31
	v_add3_u32 v70, v36, v70, v33
	;; [unrolled: 1-line block ×3, first 2 shown]
	v_mad_u64_u32 v[103:104], null, s6, v38, s[10:11]
	v_add3_u32 v98, v34, v98, v31
	v_add3_u32 v100, v36, v100, v33
	;; [unrolled: 1-line block ×3, first 2 shown]
	v_mul_lo_u32 v33, s7, v19
	v_mul_lo_u32 v34, s6, v17
	v_mad_u64_u32 v[17:18], null, s6, v19, 0
	v_mul_lo_u32 v35, s7, v21
	v_mul_lo_u32 v36, s6, v20
	v_mad_u64_u32 v[19:20], null, s6, v21, 0
	;; [unrolled: 3-line block ×3, first 2 shown]
	v_add_co_ci_u32_e32 v23, vcc_lo, 0, v47, vcc_lo
	v_add3_u32 v66, v29, v66, v27
	v_mad_u64_u32 v[75:76], null, s6, v42, s[8:9]
	v_mul_lo_u32 v43, s6, v43
	v_mul_lo_u32 v44, s7, v42
	v_add3_u32 v96, v29, v96, v27
	v_mad_u64_u32 v[105:106], null, s6, v42, s[10:11]
	v_mul_lo_u32 v31, s7, v24
	v_mul_lo_u32 v32, s6, v16
	v_mad_u64_u32 v[15:16], null, s6, v24, 0
	v_add_co_u32 v27, vcc_lo, v46, 4
	v_add_co_ci_u32_e32 v26, vcc_lo, 0, v47, vcc_lo
	v_add_co_u32 v29, vcc_lo, v46, 3
	v_add3_u32 v74, v41, v74, v39
	v_add3_u32 v104, v41, v104, v39
	v_mul_lo_u32 v39, s7, v25
	v_mul_lo_u32 v40, s6, v23
	v_mad_u64_u32 v[23:24], null, s6, v25, 0
	v_mul_lo_u32 v41, s7, v27
	v_mul_lo_u32 v42, s6, v26
	v_mad_u64_u32 v[25:26], null, s6, v27, 0
	v_add_co_ci_u32_e32 v27, vcc_lo, 0, v47, vcc_lo
	v_add3_u32 v76, v44, v76, v43
	v_add3_u32 v106, v44, v106, v43
	v_add_co_u32 v43, vcc_lo, v46, 2
	v_add3_u32 v16, v16, v32, v31
	v_lshlrev_b64 v[31:32], 2, v[1:2]
	v_add_co_ci_u32_e32 v30, vcc_lo, 0, v47, vcc_lo
	v_add_co_u32 v1, vcc_lo, v1, s6
	v_add_co_ci_u32_e32 v2, vcc_lo, s7, v2, vcc_lo
	s_delay_alu instid0(VALU_DEP_4) | instskip(SKIP_4) | instid1(VALU_DEP_4)
	v_add_co_u32 v113, vcc_lo, s8, v31
	v_lshlrev_b64 v[3:4], 2, v[3:4]
	v_add_co_ci_u32_e32 v114, vcc_lo, s9, v32, vcc_lo
	v_add_co_u32 v115, vcc_lo, s10, v31
	v_add_co_ci_u32_e32 v116, vcc_lo, s11, v32, vcc_lo
	v_add_co_u32 v117, vcc_lo, s8, v3
	v_lshlrev_b64 v[5:6], 2, v[5:6]
	v_add_co_ci_u32_e32 v118, vcc_lo, s9, v4, vcc_lo
	v_add_co_u32 v119, vcc_lo, s10, v3
	v_add_co_ci_u32_e32 v120, vcc_lo, s11, v4, vcc_lo
	s_delay_alu instid0(VALU_DEP_4) | instskip(SKIP_4) | instid1(VALU_DEP_4)
	v_add_co_u32 v121, vcc_lo, s8, v5
	v_lshlrev_b64 v[3:4], 2, v[7:8]
	v_add_co_ci_u32_e32 v122, vcc_lo, s9, v6, vcc_lo
	v_add_co_u32 v123, vcc_lo, s10, v5
	v_add_co_ci_u32_e32 v124, vcc_lo, s11, v6, vcc_lo
	v_add_co_u32 v125, vcc_lo, s8, v3
	;; [unrolled: 11-line block ×3, first 2 shown]
	v_lshlrev_b64 v[5:6], 2, v[13:14]
	v_add_co_ci_u32_e32 v134, vcc_lo, s9, v4, vcc_lo
	v_add_co_u32 v135, vcc_lo, s10, v3
	v_add_co_ci_u32_e32 v136, vcc_lo, s11, v4, vcc_lo
	s_delay_alu instid0(VALU_DEP_4)
	v_add_co_u32 v137, vcc_lo, s8, v5
	v_lshlrev_b64 v[3:4], 2, v[15:16]
	v_add3_u32 v18, v18, v34, v33
	v_add_co_ci_u32_e32 v138, vcc_lo, s9, v6, vcc_lo
	v_add_co_u32 v139, vcc_lo, s10, v5
	v_add_co_ci_u32_e32 v140, vcc_lo, s11, v6, vcc_lo
	v_add_co_u32 v141, vcc_lo, s8, v3
	v_lshlrev_b64 v[5:6], 2, v[17:18]
	v_add3_u32 v20, v20, v36, v35
	v_add_co_ci_u32_e32 v142, vcc_lo, s9, v4, vcc_lo
	v_add_co_u32 v143, vcc_lo, s10, v3
	v_add_co_ci_u32_e32 v144, vcc_lo, s11, v4, vcc_lo
	v_add_co_u32 v145, vcc_lo, s8, v5
	v_lshlrev_b64 v[3:4], 2, v[19:20]
	v_add3_u32 v22, v22, v38, v37
	v_add_co_ci_u32_e32 v146, vcc_lo, s9, v6, vcc_lo
	v_add_co_u32 v147, vcc_lo, s10, v5
	v_add_co_ci_u32_e32 v148, vcc_lo, s11, v6, vcc_lo
	v_add_co_u32 v149, vcc_lo, s8, v3
	v_lshlrev_b64 v[5:6], 2, v[21:22]
	v_add3_u32 v24, v24, v40, v39
	v_add_co_ci_u32_e32 v150, vcc_lo, s9, v4, vcc_lo
	v_add_co_u32 v151, vcc_lo, s10, v3
	v_mad_u64_u32 v[77:78], null, s6, v45, s[8:9]
	v_mul_lo_u32 v109, s7, v45
	v_mad_u64_u32 v[107:108], null, s6, v45, s[10:11]
	v_mul_lo_u32 v44, s6, v27
	v_mul_lo_u32 v45, s7, v29
	v_mad_u64_u32 v[27:28], null, s6, v29, 0
	v_add_co_ci_u32_e32 v152, vcc_lo, s11, v4, vcc_lo
	v_add_co_u32 v153, vcc_lo, s8, v5
	v_lshlrev_b64 v[3:4], 2, v[23:24]
	v_add3_u32 v26, v26, v42, v41
	v_add_co_ci_u32_e32 v154, vcc_lo, s9, v6, vcc_lo
	v_add_co_u32 v155, vcc_lo, s10, v5
	v_mul_lo_u32 v46, s6, v30
	v_mul_lo_u32 v47, s7, v43
	v_mad_u64_u32 v[29:30], null, s6, v43, 0
	v_add_co_ci_u32_e32 v156, vcc_lo, s11, v6, vcc_lo
	v_add_co_u32 v157, vcc_lo, s8, v3
	v_lshlrev_b64 v[5:6], 2, v[25:26]
	v_add3_u32 v28, v28, v44, v45
	v_add_co_ci_u32_e32 v158, vcc_lo, s9, v4, vcc_lo
	v_add_co_u32 v159, vcc_lo, s10, v3
	v_add_co_ci_u32_e32 v160, vcc_lo, s11, v4, vcc_lo
	v_add_co_u32 v161, vcc_lo, s8, v5
	v_lshlrev_b64 v[3:4], 2, v[27:28]
	v_add3_u32 v30, v30, v46, v47
	v_add_co_ci_u32_e32 v162, vcc_lo, s9, v6, vcc_lo
	v_add_co_u32 v163, vcc_lo, s10, v5
	v_add_co_ci_u32_e32 v164, vcc_lo, s11, v6, vcc_lo
	v_add_co_u32 v165, vcc_lo, s8, v3
	v_lshlrev_b64 v[5:6], 2, v[29:30]
	v_add_co_ci_u32_e32 v166, vcc_lo, s9, v4, vcc_lo
	v_add_co_u32 v167, vcc_lo, s10, v3
	v_add_co_ci_u32_e32 v168, vcc_lo, s11, v4, vcc_lo
	s_delay_alu instid0(VALU_DEP_4)
	v_add_co_u32 v169, vcc_lo, s8, v5
	v_lshlrev_b64 v[3:4], 2, v[1:2]
	v_mov_b32_e32 v2, 0
	v_add_co_ci_u32_e32 v170, vcc_lo, s9, v6, vcc_lo
	v_add_co_u32 v171, vcc_lo, s10, v5
	v_add_co_ci_u32_e32 v172, vcc_lo, s11, v6, vcc_lo
	v_add_nc_u32_e32 v1, s33, v173
	v_add_co_u32 v174, vcc_lo, s8, v3
	v_add_co_ci_u32_e32 v175, vcc_lo, s9, v4, vcc_lo
	v_add_co_u32 v176, vcc_lo, s10, v3
	v_add3_u32 v78, v109, v78, v48
	v_add3_u32 v108, v109, v108, v48
	s_mul_i32 s8, s7, s15
	s_mul_hi_u32 s9, s6, s15
	v_lshlrev_b64 v[109:110], 2, v[1:2]
	v_add_co_ci_u32_e32 v177, vcc_lo, s11, v4, vcc_lo
	s_add_i32 s9, s9, s8
	s_mul_i32 s8, s6, s15
	s_mov_b32 s16, 0
	s_lshl_b64 s[8:9], s[8:9], 2
.LBB151_85:                             ; =>This Inner Loop Header: Depth=1
	v_cmp_ge_i64_e64 s10, s[36:37], s[4:5]
	v_add_co_u32 v179, s11, v112, s36
	s_delay_alu instid0(VALU_DEP_1) | instskip(NEXT) | instid1(VALU_DEP_3)
	v_add_co_ci_u32_e64 v180, null, 0, s37, s11
	s_and_b32 vcc_lo, exec_lo, s10
	s_cbranch_vccz .LBB151_123
; %bb.86:                               ;   in Loop: Header=BB151_85 Depth=1
	s_load_b32 s10, s[2:3], 0xc
	v_mov_b32_e32 v181, 0
	s_waitcnt lgkmcnt(0)
	s_and_b32 s10, s10, 0xffff
	s_delay_alu instid0(SALU_CYCLE_1) | instskip(SKIP_1) | instid1(VALU_DEP_1)
	v_mad_u32_u24 v1, v111, s10, v173
	s_mov_b32 s10, exec_lo
	v_and_b32_e32 v1, 31, v1
	s_delay_alu instid0(VALU_DEP_1)
	v_cmpx_gt_u32_e32 16, v1
	s_cbranch_execz .LBB151_90
; %bb.87:                               ;   in Loop: Header=BB151_85 Depth=1
	v_add_co_u32 v1, vcc_lo, v179, v1
	v_add_co_ci_u32_e32 v4, vcc_lo, 0, v180, vcc_lo
	v_mov_b32_e32 v181, 0
	s_delay_alu instid0(VALU_DEP_3) | instskip(NEXT) | instid1(VALU_DEP_3)
	v_add_co_u32 v3, vcc_lo, 0xffffff01, v1
	v_add_co_ci_u32_e32 v4, vcc_lo, -1, v4, vcc_lo
	s_mov_b32 s11, exec_lo
	s_delay_alu instid0(VALU_DEP_1)
	v_cmpx_gt_i64_e64 s[4:5], v[3:4]
	s_cbranch_execz .LBB151_89
; %bb.88:                               ;   in Loop: Header=BB151_85 Depth=1
	v_lshlrev_b64 v[3:4], 2, v[3:4]
	s_delay_alu instid0(VALU_DEP_1) | instskip(NEXT) | instid1(VALU_DEP_2)
	v_add_co_u32 v3, vcc_lo, s12, v3
	v_add_co_ci_u32_e32 v4, vcc_lo, s13, v4, vcc_lo
	global_load_b32 v181, v[3:4], off
.LBB151_89:                             ;   in Loop: Header=BB151_85 Depth=1
	s_or_b32 exec_lo, exec_lo, s11
.LBB151_90:                             ;   in Loop: Header=BB151_85 Depth=1
	s_delay_alu instid0(SALU_CYCLE_1)
	s_or_b32 exec_lo, exec_lo, s10
	s_mov_b32 s31, s16
	s_mov_b32 s17, s16
	;; [unrolled: 1-line block ×15, first 2 shown]
	s_delay_alu instid0(SALU_CYCLE_1)
	v_dual_mov_b32 v32, s31 :: v_dual_mov_b32 v31, s30
	v_dual_mov_b32 v30, s29 :: v_dual_mov_b32 v29, s28
	;; [unrolled: 1-line block ×8, first 2 shown]
	v_add_co_u32 v3, vcc_lo, 0xffffff01, v179
	v_dual_mov_b32 v48, v32 :: v_dual_mov_b32 v47, v31
	v_add_co_ci_u32_e32 v4, vcc_lo, -1, v180, vcc_lo
	v_dual_mov_b32 v46, v30 :: v_dual_mov_b32 v45, v29
	v_dual_mov_b32 v44, v28 :: v_dual_mov_b32 v43, v27
	;; [unrolled: 1-line block ×7, first 2 shown]
	s_mov_b32 s10, exec_lo
	v_cmpx_gt_i64_e64 s[4:5], v[3:4]
	s_cbranch_execz .LBB151_92
; %bb.91:                               ;   in Loop: Header=BB151_85 Depth=1
	v_add_co_u32 v3, vcc_lo, v113, v109
	v_add_co_ci_u32_e32 v4, vcc_lo, v114, v110, vcc_lo
	v_add_co_u32 v5, vcc_lo, v115, v109
	v_add_co_ci_u32_e32 v6, vcc_lo, v116, v110, vcc_lo
	global_load_b32 v1, v[3:4], off
	v_mov_b32_e32 v16, v2
	v_mov_b32_e32 v3, v2
	global_load_b32 v17, v[5:6], off
	v_mov_b32_e32 v4, v2
	v_mov_b32_e32 v5, v2
	;; [unrolled: 1-line block ×12, first 2 shown]
	s_waitcnt vmcnt(1)
	v_dual_mov_b32 v19, v2 :: v_dual_mov_b32 v48, v16
	v_mov_b32_e32 v18, v2
	v_dual_mov_b32 v20, v2 :: v_dual_mov_b32 v45, v13
	v_dual_mov_b32 v21, v2 :: v_dual_mov_b32 v44, v12
	;; [unrolled: 1-line block ×7, first 2 shown]
	v_mov_b32_e32 v27, v2
	v_dual_mov_b32 v28, v2 :: v_dual_mov_b32 v37, v5
	v_mov_b32_e32 v29, v2
	v_dual_mov_b32 v30, v2 :: v_dual_mov_b32 v35, v3
	;; [unrolled: 2-line block ×3, first 2 shown]
	v_mov_b32_e32 v42, v10
	v_mov_b32_e32 v38, v6
	;; [unrolled: 1-line block ×3, first 2 shown]
	v_dual_mov_b32 v32, v2 :: v_dual_mov_b32 v33, v1
.LBB151_92:                             ;   in Loop: Header=BB151_85 Depth=1
	s_or_b32 exec_lo, exec_lo, s10
	v_add_co_u32 v3, vcc_lo, 0xffffff02, v179
	v_add_co_ci_u32_e32 v4, vcc_lo, -1, v180, vcc_lo
	s_mov_b32 s10, exec_lo
	s_delay_alu instid0(VALU_DEP_1)
	v_cmpx_gt_i64_e64 s[4:5], v[3:4]
	s_cbranch_execz .LBB151_94
; %bb.93:                               ;   in Loop: Header=BB151_85 Depth=1
	v_add_co_u32 v3, vcc_lo, v174, v109
	v_add_co_ci_u32_e32 v4, vcc_lo, v175, v110, vcc_lo
	v_add_co_u32 v5, vcc_lo, v176, v109
	v_add_co_ci_u32_e32 v6, vcc_lo, v177, v110, vcc_lo
	global_load_b32 v34, v[3:4], off
	global_load_b32 v18, v[5:6], off
.LBB151_94:                             ;   in Loop: Header=BB151_85 Depth=1
	s_or_b32 exec_lo, exec_lo, s10
	v_add_co_u32 v3, vcc_lo, 0xffffff03, v179
	v_add_co_ci_u32_e32 v4, vcc_lo, -1, v180, vcc_lo
	s_mov_b32 s10, exec_lo
	s_delay_alu instid0(VALU_DEP_1)
	v_cmpx_gt_i64_e64 s[4:5], v[3:4]
	s_cbranch_execz .LBB151_96
; %bb.95:                               ;   in Loop: Header=BB151_85 Depth=1
	v_add_co_u32 v3, vcc_lo, v169, v109
	v_add_co_ci_u32_e32 v4, vcc_lo, v170, v110, vcc_lo
	v_add_co_u32 v5, vcc_lo, v171, v109
	v_add_co_ci_u32_e32 v6, vcc_lo, v172, v110, vcc_lo
	global_load_b32 v35, v[3:4], off
	global_load_b32 v19, v[5:6], off
.LBB151_96:                             ;   in Loop: Header=BB151_85 Depth=1
	;; [unrolled: 15-line block ×3, first 2 shown]
	s_or_b32 exec_lo, exec_lo, s10
	v_add_co_u32 v3, vcc_lo, 0xffffff05, v179
	v_add_co_ci_u32_e32 v4, vcc_lo, -1, v180, vcc_lo
	s_mov_b32 s10, exec_lo
	s_delay_alu instid0(VALU_DEP_1)
	v_cmpx_gt_i64_e64 s[4:5], v[3:4]
	s_cbranch_execz .LBB151_100
; %bb.99:                               ;   in Loop: Header=BB151_85 Depth=1
	v_add_co_u32 v3, vcc_lo, v161, v109
	v_add_co_ci_u32_e32 v4, vcc_lo, v162, v110, vcc_lo
	v_add_co_u32 v5, vcc_lo, v163, v109
	v_add_co_ci_u32_e32 v6, vcc_lo, v164, v110, vcc_lo
	global_load_b32 v37, v[3:4], off
	global_load_b32 v21, v[5:6], off
.LBB151_100:                            ;   in Loop: Header=BB151_85 Depth=1
	s_or_b32 exec_lo, exec_lo, s10
	v_add_co_u32 v3, vcc_lo, 0xffffff06, v179
	v_add_co_ci_u32_e32 v4, vcc_lo, -1, v180, vcc_lo
	s_mov_b32 s10, exec_lo
	s_delay_alu instid0(VALU_DEP_1)
	v_cmpx_gt_i64_e64 s[4:5], v[3:4]
	s_cbranch_execz .LBB151_102
; %bb.101:                              ;   in Loop: Header=BB151_85 Depth=1
	v_add_co_u32 v3, vcc_lo, v157, v109
	v_add_co_ci_u32_e32 v4, vcc_lo, v158, v110, vcc_lo
	v_add_co_u32 v5, vcc_lo, v159, v109
	v_add_co_ci_u32_e32 v6, vcc_lo, v160, v110, vcc_lo
	global_load_b32 v38, v[3:4], off
	global_load_b32 v22, v[5:6], off
.LBB151_102:                            ;   in Loop: Header=BB151_85 Depth=1
	s_or_b32 exec_lo, exec_lo, s10
	v_add_co_u32 v3, vcc_lo, 0xffffff07, v179
	v_add_co_ci_u32_e32 v4, vcc_lo, -1, v180, vcc_lo
	s_mov_b32 s10, exec_lo
	s_delay_alu instid0(VALU_DEP_1)
	v_cmpx_gt_i64_e64 s[4:5], v[3:4]
	s_cbranch_execz .LBB151_104
; %bb.103:                              ;   in Loop: Header=BB151_85 Depth=1
	v_add_co_u32 v3, vcc_lo, v153, v109
	v_add_co_ci_u32_e32 v4, vcc_lo, v154, v110, vcc_lo
	v_add_co_u32 v5, vcc_lo, v155, v109
	v_add_co_ci_u32_e32 v6, vcc_lo, v156, v110, vcc_lo
	global_load_b32 v39, v[3:4], off
	global_load_b32 v23, v[5:6], off
.LBB151_104:                            ;   in Loop: Header=BB151_85 Depth=1
	;; [unrolled: 15-line block ×11, first 2 shown]
	s_or_b32 exec_lo, exec_lo, s10
	s_waitcnt vmcnt(0)
	ds_bpermute_b32 v1, v2, v181
	ds_bpermute_b32 v3, v2, v181 offset:4
	ds_bpermute_b32 v4, v2, v181 offset:8
	v_mul_f32_e32 v5, v17, v33
	ds_bpermute_b32 v6, v2, v181 offset:12
	v_mul_f32_e32 v7, v18, v34
	ds_bpermute_b32 v8, v2, v181 offset:16
	ds_bpermute_b32 v9, v2, v181 offset:20
	s_waitcnt lgkmcnt(5)
	v_fma_f32 v1, v5, v1, v178
	v_mul_f32_e32 v5, v19, v35
	s_waitcnt lgkmcnt(4)
	s_delay_alu instid0(VALU_DEP_2)
	v_fmac_f32_e32 v1, v7, v3
	v_mul_f32_e32 v3, v20, v36
	ds_bpermute_b32 v7, v2, v181 offset:24
	s_waitcnt lgkmcnt(4)
	v_fmac_f32_e32 v1, v5, v4
	v_mul_f32_e32 v4, v21, v37
	ds_bpermute_b32 v5, v2, v181 offset:28
	s_waitcnt lgkmcnt(4)
	;; [unrolled: 4-line block ×3, first 2 shown]
	v_dual_fmac_f32 v1, v4, v8 :: v_dual_mul_f32 v4, v23, v39
	ds_bpermute_b32 v8, v2, v181 offset:36
	s_waitcnt lgkmcnt(4)
	v_fmac_f32_e32 v1, v3, v9
	v_mul_f32_e32 v3, v24, v40
	ds_bpermute_b32 v9, v2, v181 offset:40
	s_waitcnt lgkmcnt(4)
	v_dual_fmac_f32 v1, v4, v7 :: v_dual_mul_f32 v4, v25, v41
	ds_bpermute_b32 v7, v2, v181 offset:44
	s_waitcnt lgkmcnt(4)
	v_fmac_f32_e32 v1, v3, v5
	v_mul_f32_e32 v3, v26, v42
	ds_bpermute_b32 v5, v2, v181 offset:48
	s_waitcnt lgkmcnt(4)
	;; [unrolled: 7-line block ×3, first 2 shown]
	v_fmac_f32_e32 v1, v4, v9
	s_waitcnt lgkmcnt(3)
	s_delay_alu instid0(VALU_DEP_1)
	v_dual_mul_f32 v4, v29, v45 :: v_dual_fmac_f32 v1, v3, v7
	ds_bpermute_b32 v3, v2, v181 offset:60
	v_mul_f32_e32 v7, v30, v46
	s_waitcnt lgkmcnt(3)
	v_dual_fmac_f32 v1, v4, v5 :: v_dual_mul_f32 v4, v31, v47
	s_waitcnt lgkmcnt(2)
	s_delay_alu instid0(VALU_DEP_1) | instskip(SKIP_1) | instid1(VALU_DEP_1)
	v_fmac_f32_e32 v1, v7, v6
	s_waitcnt lgkmcnt(1)
	v_fmac_f32_e32 v1, v4, v8
	v_mul_f32_e32 v4, v32, v48
	s_waitcnt lgkmcnt(0)
	s_delay_alu instid0(VALU_DEP_1)
	v_fmac_f32_e32 v1, v4, v3
	s_branch .LBB151_129
.LBB151_123:                            ;   in Loop: Header=BB151_85 Depth=1
                                        ; implicit-def: $vgpr1
	s_cbranch_execz .LBB151_129
; %bb.124:                              ;   in Loop: Header=BB151_85 Depth=1
	s_load_b32 s10, s[2:3], 0x0
	s_waitcnt lgkmcnt(0)
	s_cmp_lt_u32 s14, s10
	s_cselect_b32 s10, 12, 18
	s_delay_alu instid0(SALU_CYCLE_1)
	s_add_u32 s10, s2, s10
	s_addc_u32 s11, s3, 0
	global_load_u16 v1, v2, s[10:11]
	s_mov_b32 s10, exec_lo
	s_waitcnt vmcnt(0)
	v_mad_u32_u24 v1, v111, v1, v173
	s_delay_alu instid0(VALU_DEP_1) | instskip(SKIP_1) | instid1(VALU_DEP_2)
	v_and_b32_e32 v3, 31, v1
	v_mov_b32_e32 v1, 0
	v_cmpx_gt_u32_e32 16, v3
	s_cbranch_execz .LBB151_128
; %bb.125:                              ;   in Loop: Header=BB151_85 Depth=1
	v_add_co_u32 v1, vcc_lo, v179, v3
	v_add_co_ci_u32_e32 v4, vcc_lo, 0, v180, vcc_lo
	s_mov_b32 s11, exec_lo
	s_delay_alu instid0(VALU_DEP_2) | instskip(NEXT) | instid1(VALU_DEP_2)
	v_add_co_u32 v3, vcc_lo, 0xffffff01, v1
	v_add_co_ci_u32_e32 v4, vcc_lo, -1, v4, vcc_lo
	v_mov_b32_e32 v1, 0
	s_delay_alu instid0(VALU_DEP_2)
	v_cmpx_gt_i64_e64 s[4:5], v[3:4]
	s_cbranch_execz .LBB151_127
; %bb.126:                              ;   in Loop: Header=BB151_85 Depth=1
	v_lshlrev_b64 v[3:4], 2, v[3:4]
	s_delay_alu instid0(VALU_DEP_1) | instskip(NEXT) | instid1(VALU_DEP_2)
	v_add_co_u32 v3, vcc_lo, s12, v3
	v_add_co_ci_u32_e32 v4, vcc_lo, s13, v4, vcc_lo
	global_load_b32 v1, v[3:4], off
.LBB151_127:                            ;   in Loop: Header=BB151_85 Depth=1
	s_or_b32 exec_lo, exec_lo, s11
.LBB151_128:                            ;   in Loop: Header=BB151_85 Depth=1
	s_delay_alu instid0(SALU_CYCLE_1)
	s_or_b32 exec_lo, exec_lo, s10
	v_add_co_u32 v3, vcc_lo, v113, v109
	v_add_co_ci_u32_e32 v4, vcc_lo, v114, v110, vcc_lo
	global_load_b32 v5, v[3:4], off
	v_add_co_u32 v3, vcc_lo, v115, v109
	v_add_co_ci_u32_e32 v4, vcc_lo, v116, v110, vcc_lo
	global_load_b32 v6, v[3:4], off
	;; [unrolled: 3-line block ×32, first 2 shown]
	s_waitcnt vmcnt(32)
	ds_bpermute_b32 v4, v2, v1
	s_waitcnt vmcnt(0)
	v_mul_f32_e32 v3, v35, v3
	v_mul_f32_e32 v5, v5, v6
	s_waitcnt lgkmcnt(0)
	s_delay_alu instid0(VALU_DEP_1) | instskip(SKIP_3) | instid1(VALU_DEP_1)
	v_fmac_f32_e32 v178, v5, v4
	ds_bpermute_b32 v4, v2, v1 offset:4
	v_mul_f32_e32 v5, v7, v8
	s_waitcnt lgkmcnt(0)
	v_fmac_f32_e32 v178, v5, v4
	ds_bpermute_b32 v4, v2, v1 offset:8
	v_mul_f32_e32 v5, v9, v10
	s_waitcnt lgkmcnt(0)
	s_delay_alu instid0(VALU_DEP_1) | instskip(SKIP_3) | instid1(VALU_DEP_1)
	v_fmac_f32_e32 v178, v5, v4
	ds_bpermute_b32 v4, v2, v1 offset:12
	v_mul_f32_e32 v5, v11, v12
	s_waitcnt lgkmcnt(0)
	v_fmac_f32_e32 v178, v5, v4
	ds_bpermute_b32 v4, v2, v1 offset:16
	;; [unrolled: 9-line block ×7, first 2 shown]
	ds_bpermute_b32 v1, v2, v1 offset:60
	v_mul_f32_e32 v5, v33, v34
	s_waitcnt lgkmcnt(1)
	s_delay_alu instid0(VALU_DEP_1) | instskip(SKIP_1) | instid1(VALU_DEP_1)
	v_fmac_f32_e32 v178, v5, v4
	s_waitcnt lgkmcnt(0)
	v_fmac_f32_e32 v178, v3, v1
	s_delay_alu instid0(VALU_DEP_1)
	v_mov_b32_e32 v1, v178
.LBB151_129:                            ;   in Loop: Header=BB151_85 Depth=1
	v_add_co_u32 v49, vcc_lo, v49, s8
	v_add_co_ci_u32_e32 v50, vcc_lo, s9, v50, vcc_lo
	v_add_co_u32 v51, vcc_lo, v51, s8
	v_add_co_ci_u32_e32 v52, vcc_lo, s9, v52, vcc_lo
	;; [unrolled: 2-line block ×59, first 2 shown]
	v_add_co_u32 v171, vcc_lo, v171, s8
	s_add_u32 s34, s34, s15
	v_add_co_ci_u32_e32 v172, vcc_lo, s9, v172, vcc_lo
	s_addc_u32 s35, s35, 0
	v_add_co_u32 v174, vcc_lo, v174, s8
	v_cmp_ge_i64_e64 s10, s[34:35], s[4:5]
	v_add_co_ci_u32_e32 v175, vcc_lo, s9, v175, vcc_lo
	v_add_co_u32 v176, vcc_lo, v176, s8
	v_add_co_ci_u32_e32 v177, vcc_lo, s9, v177, vcc_lo
	s_add_u32 s36, s36, s15
	s_addc_u32 s37, s37, 0
	s_and_b32 vcc_lo, exec_lo, s10
	s_cbranch_vccnz .LBB151_131
; %bb.130:                              ;   in Loop: Header=BB151_85 Depth=1
	v_mov_b32_e32 v178, v1
	s_branch .LBB151_85
.LBB151_131:
	v_and_b32_e32 v4, 0x3ff, v0
	v_bfe_u32 v0, v0, 10, 10
	s_mov_b32 s15, 0
	s_mov_b32 s2, exec_lo
	s_delay_alu instid0(VALU_DEP_1) | instskip(NEXT) | instid1(VALU_DEP_1)
	v_mad_u32_u24 v2, 0x41, v0, v4
	v_sub_nc_u32_e32 v0, v2, v0
	v_lshl_add_u32 v3, v2, 2, 0
	v_mov_b32_e32 v2, 0
	ds_store_b32 v3, v1
	ds_store_b32 v3, v2 offset:4160
	s_waitcnt lgkmcnt(0)
	s_barrier
	buffer_gl0_inv
	v_cmpx_gt_u32_e32 0x800, v0
	s_cbranch_execz .LBB151_138
; %bb.132:
	v_mbcnt_lo_u32_b32 v5, -1, 0
	v_lshrrev_b32_e32 v3, 5, v0
	s_load_b64 s[8:9], s[0:1], 0x30
	v_and_b32_e32 v1, 31, v4
	v_cmp_ne_u32_e32 vcc_lo, 0, v4
	v_xor_b32_e32 v0, 8, v5
	v_xor_b32_e32 v4, 4, v5
	v_xor_b32_e32 v6, 2, v5
	v_xor_b32_e32 v7, 1, v5
	s_lshl_b64 s[4:5], s[14:15], 6
	v_cmp_gt_i32_e64 s1, 32, v0
	v_cmp_gt_u32_e64 s0, 16, v1
	v_mul_u32_u24_e32 v1, 0x104, v1
                                        ; implicit-def: $vgpr9
	s_delay_alu instid0(VALU_DEP_3) | instskip(SKIP_1) | instid1(VALU_DEP_1)
	v_cndmask_b32_e64 v0, v5, v0, s1
	v_cmp_gt_i32_e64 s1, 32, v4
	v_cndmask_b32_e64 v8, v5, v4, s1
	v_cmp_gt_i32_e64 s1, 32, v6
	s_waitcnt lgkmcnt(0)
	s_cmp_eq_u64 s[8:9], 0
	v_lshlrev_b32_e32 v4, 2, v0
	v_lshlrev_b32_e32 v0, 2, v3
	s_cselect_b32 s3, -1, 0
	v_cndmask_b32_e64 v6, v5, v6, s1
	v_cmp_gt_i32_e64 s1, 32, v7
	s_lshl_b64 s[10:11], s[14:15], 8
	s_delay_alu instid0(VALU_DEP_2) | instskip(NEXT) | instid1(VALU_DEP_2)
	v_lshlrev_b32_e32 v6, 2, v6
	v_cndmask_b32_e64 v7, v5, v7, s1
	s_add_u32 s1, s8, s10
	v_lshlrev_b32_e32 v5, 2, v8
	v_add3_u32 v8, v1, v0, 0
	s_addc_u32 s2, s9, s11
	v_add_co_u32 v0, s1, s1, v0
	v_lshlrev_b32_e32 v7, 2, v7
	v_add_co_ci_u32_e64 v1, null, s2, 0, s1
	s_branch .LBB151_134
.LBB151_133:                            ;   in Loop: Header=BB151_134 Depth=1
	s_or_b32 exec_lo, exec_lo, s1
	v_add_co_u32 v3, s1, v3, 32
	s_delay_alu instid0(VALU_DEP_1) | instskip(SKIP_1) | instid1(VALU_DEP_3)
	v_add_co_ci_u32_e64 v2, s1, 0, v2, s1
	v_add_co_u32 v0, s2, 0x80, v0
	v_subrev_nc_u32_e32 v10, 32, v3
	v_add_nc_u32_e32 v8, 0x80, v8
	v_add_co_ci_u32_e64 v1, s2, 0, v1, s2
	s_delay_alu instid0(VALU_DEP_3) | instskip(NEXT) | instid1(VALU_DEP_1)
	v_cmp_lt_u32_e64 s1, 31, v10
	s_or_b32 s15, s1, s15
	s_delay_alu instid0(SALU_CYCLE_1)
	s_and_not1_b32 exec_lo, exec_lo, s15
	s_cbranch_execz .LBB151_138
.LBB151_134:                            ; =>This Inner Loop Header: Depth=1
	s_and_saveexec_b32 s1, s0
	s_cbranch_execz .LBB151_136
; %bb.135:                              ;   in Loop: Header=BB151_134 Depth=1
	ds_load_b32 v9, v8
.LBB151_136:                            ;   in Loop: Header=BB151_134 Depth=1
	s_or_b32 exec_lo, exec_lo, s1
	s_waitcnt lgkmcnt(0)
	ds_bpermute_b32 v10, v4, v9
	s_waitcnt lgkmcnt(0)
	v_add_f32_e32 v9, v9, v10
	ds_bpermute_b32 v10, v5, v9
	s_waitcnt lgkmcnt(0)
	v_add_f32_e32 v9, v9, v10
	;; [unrolled: 3-line block ×3, first 2 shown]
	v_add_co_u32 v9, s1, s4, v3
	s_delay_alu instid0(VALU_DEP_1) | instskip(SKIP_2) | instid1(VALU_DEP_1)
	v_add_co_ci_u32_e64 v10, s1, s5, v2, s1
	ds_bpermute_b32 v12, v7, v11
	v_cmp_le_i64_e64 s1, s[6:7], v[9:10]
	s_or_b32 s1, vcc_lo, s1
	s_delay_alu instid0(SALU_CYCLE_1) | instskip(NEXT) | instid1(SALU_CYCLE_1)
	s_or_b32 s1, s3, s1
	s_xor_b32 s2, s1, -1
	s_waitcnt lgkmcnt(0)
	v_add_f32_e32 v9, v11, v12
	s_and_saveexec_b32 s1, s2
	s_cbranch_execz .LBB151_133
; %bb.137:                              ;   in Loop: Header=BB151_134 Depth=1
	global_store_b32 v[0:1], v9, off
	s_branch .LBB151_133
.LBB151_138:
	s_nop 0
	s_sendmsg sendmsg(MSG_DEALLOC_VGPRS)
	s_endpgm
	.section	.rodata,"a",@progbits
	.p2align	6, 0x0
	.amdhsa_kernel _ZN2at6native12_GLOBAL__N_135GammaBetaBackwardCUDAKernelTemplateIffLj64ELj16ELj256ELb0ELb0ELb1EEEvllPKT_S5_PKT0_S8_PS3_S9_
		.amdhsa_group_segment_fixed_size 0
		.amdhsa_private_segment_fixed_size 0
		.amdhsa_kernarg_size 320
		.amdhsa_user_sgpr_count 14
		.amdhsa_user_sgpr_dispatch_ptr 0
		.amdhsa_user_sgpr_queue_ptr 0
		.amdhsa_user_sgpr_kernarg_segment_ptr 1
		.amdhsa_user_sgpr_dispatch_id 0
		.amdhsa_user_sgpr_private_segment_size 0
		.amdhsa_wavefront_size32 1
		.amdhsa_uses_dynamic_stack 0
		.amdhsa_enable_private_segment 0
		.amdhsa_system_sgpr_workgroup_id_x 1
		.amdhsa_system_sgpr_workgroup_id_y 1
		.amdhsa_system_sgpr_workgroup_id_z 0
		.amdhsa_system_sgpr_workgroup_info 0
		.amdhsa_system_vgpr_workitem_id 1
		.amdhsa_next_free_vgpr 182
		.amdhsa_next_free_sgpr 45
		.amdhsa_reserve_vcc 1
		.amdhsa_float_round_mode_32 0
		.amdhsa_float_round_mode_16_64 0
		.amdhsa_float_denorm_mode_32 3
		.amdhsa_float_denorm_mode_16_64 3
		.amdhsa_dx10_clamp 1
		.amdhsa_ieee_mode 1
		.amdhsa_fp16_overflow 0
		.amdhsa_workgroup_processor_mode 1
		.amdhsa_memory_ordered 1
		.amdhsa_forward_progress 0
		.amdhsa_shared_vgpr_count 0
		.amdhsa_exception_fp_ieee_invalid_op 0
		.amdhsa_exception_fp_denorm_src 0
		.amdhsa_exception_fp_ieee_div_zero 0
		.amdhsa_exception_fp_ieee_overflow 0
		.amdhsa_exception_fp_ieee_underflow 0
		.amdhsa_exception_fp_ieee_inexact 0
		.amdhsa_exception_int_div_zero 0
	.end_amdhsa_kernel
	.section	.text._ZN2at6native12_GLOBAL__N_135GammaBetaBackwardCUDAKernelTemplateIffLj64ELj16ELj256ELb0ELb0ELb1EEEvllPKT_S5_PKT0_S8_PS3_S9_,"axG",@progbits,_ZN2at6native12_GLOBAL__N_135GammaBetaBackwardCUDAKernelTemplateIffLj64ELj16ELj256ELb0ELb0ELb1EEEvllPKT_S5_PKT0_S8_PS3_S9_,comdat
.Lfunc_end151:
	.size	_ZN2at6native12_GLOBAL__N_135GammaBetaBackwardCUDAKernelTemplateIffLj64ELj16ELj256ELb0ELb0ELb1EEEvllPKT_S5_PKT0_S8_PS3_S9_, .Lfunc_end151-_ZN2at6native12_GLOBAL__N_135GammaBetaBackwardCUDAKernelTemplateIffLj64ELj16ELj256ELb0ELb0ELb1EEEvllPKT_S5_PKT0_S8_PS3_S9_
                                        ; -- End function
	.section	.AMDGPU.csdata,"",@progbits
; Kernel info:
; codeLenInByte = 13004
; NumSgprs: 47
; NumVgprs: 182
; ScratchSize: 0
; MemoryBound: 0
; FloatMode: 240
; IeeeMode: 1
; LDSByteSize: 0 bytes/workgroup (compile time only)
; SGPRBlocks: 5
; VGPRBlocks: 22
; NumSGPRsForWavesPerEU: 47
; NumVGPRsForWavesPerEU: 182
; Occupancy: 8
; WaveLimiterHint : 0
; COMPUTE_PGM_RSRC2:SCRATCH_EN: 0
; COMPUTE_PGM_RSRC2:USER_SGPR: 14
; COMPUTE_PGM_RSRC2:TRAP_HANDLER: 0
; COMPUTE_PGM_RSRC2:TGID_X_EN: 1
; COMPUTE_PGM_RSRC2:TGID_Y_EN: 1
; COMPUTE_PGM_RSRC2:TGID_Z_EN: 0
; COMPUTE_PGM_RSRC2:TIDIG_COMP_CNT: 1
	.section	.text._ZN2at6native12_GLOBAL__N_135GammaBetaBackwardCUDAKernelTemplateIffLj32ELj1ELj32ELb1ELb1ELb1EEEvllPKT_S5_PKT0_S8_PS3_S9_,"axG",@progbits,_ZN2at6native12_GLOBAL__N_135GammaBetaBackwardCUDAKernelTemplateIffLj32ELj1ELj32ELb1ELb1ELb1EEEvllPKT_S5_PKT0_S8_PS3_S9_,comdat
	.globl	_ZN2at6native12_GLOBAL__N_135GammaBetaBackwardCUDAKernelTemplateIffLj32ELj1ELj32ELb1ELb1ELb1EEEvllPKT_S5_PKT0_S8_PS3_S9_ ; -- Begin function _ZN2at6native12_GLOBAL__N_135GammaBetaBackwardCUDAKernelTemplateIffLj32ELj1ELj32ELb1ELb1ELb1EEEvllPKT_S5_PKT0_S8_PS3_S9_
	.p2align	8
	.type	_ZN2at6native12_GLOBAL__N_135GammaBetaBackwardCUDAKernelTemplateIffLj32ELj1ELj32ELb1ELb1ELb1EEEvllPKT_S5_PKT0_S8_PS3_S9_,@function
_ZN2at6native12_GLOBAL__N_135GammaBetaBackwardCUDAKernelTemplateIffLj32ELj1ELj32ELb1ELb1ELb1EEEvllPKT_S5_PKT0_S8_PS3_S9_: ; @_ZN2at6native12_GLOBAL__N_135GammaBetaBackwardCUDAKernelTemplateIffLj32ELj1ELj32ELb1ELb1ELb1EEEvllPKT_S5_PKT0_S8_PS3_S9_
; %bb.0:
	s_clause 0x1
	s_load_b128 s[4:7], s[0:1], 0x0
	s_load_b64 s[2:3], s[0:1], 0x30
	s_mov_b32 s13, 0
	s_lshl_b32 s12, s15, 5
	v_mov_b32_e32 v29, 0
	v_bfe_u32 v1, v0, 10, 10
	v_and_b32_e32 v0, 0x3ff, v0
	s_waitcnt lgkmcnt(0)
	v_cmp_ge_i64_e64 s8, s[12:13], s[4:5]
	s_delay_alu instid0(VALU_DEP_1)
	s_and_b32 vcc_lo, exec_lo, s8
	s_cbranch_vccnz .LBB152_5
; %bb.1:
	s_clause 0x3
	s_load_b32 s16, s[0:1], 0x4c
	s_load_b32 s17, s[0:1], 0x44
	s_load_b128 s[8:11], s[0:1], 0x10
	s_load_b64 s[18:19], s[0:1], 0x28
	v_dual_mov_b32 v3, 0 :: v_dual_lshlrev_b32 v4, 5, v1
	v_lshl_or_b32 v2, s14, 5, v0
	v_dual_mov_b32 v8, 4 :: v_dual_mov_b32 v9, 8
	v_dual_mov_b32 v10, 12 :: v_dual_mov_b32 v11, 16
	v_dual_mov_b32 v12, 20 :: v_dual_mov_b32 v13, 24
	v_dual_mov_b32 v14, 28 :: v_dual_mov_b32 v15, 32
	v_dual_mov_b32 v16, 36 :: v_dual_mov_b32 v17, 40
	v_dual_mov_b32 v18, 44 :: v_dual_mov_b32 v19, 48
	v_dual_mov_b32 v20, 52 :: v_dual_mov_b32 v21, 56
	s_waitcnt lgkmcnt(0)
	s_and_b32 s16, s16, 0xffff
	v_dual_mov_b32 v22, 60 :: v_dual_mov_b32 v23, 64
	v_mad_u32_u24 v5, v1, s16, v0
	v_add_co_u32 v40, s16, v4, s12
	s_delay_alu instid0(VALU_DEP_1) | instskip(NEXT) | instid1(VALU_DEP_3)
	v_add_co_ci_u32_e64 v41, null, 0, 0, s16
	v_dual_mov_b32 v24, 0x44 :: v_dual_and_b32 v29, 31, v5
	s_delay_alu instid0(VALU_DEP_3) | instskip(NEXT) | instid1(VALU_DEP_3)
	v_mul_lo_u32 v6, s7, v40
	v_mul_lo_u32 v7, s6, v41
	v_mad_u64_u32 v[4:5], null, s6, v40, 0
	s_lshl_b32 s16, s17, 5
	v_mov_b32_e32 v25, 0x48
	s_mul_i32 s20, s7, s16
	s_mul_hi_u32 s21, s6, s16
	v_mov_b32_e32 v26, 0x4c
	v_mov_b32_e32 v27, 0x50
	s_delay_alu instid0(VALU_DEP_4)
	v_add3_u32 v5, v5, v7, v6
	v_mov_b32_e32 v28, 0x54
	v_mov_b32_e32 v30, 0x58
	;; [unrolled: 1-line block ×4, first 2 shown]
	v_lshlrev_b64 v[6:7], 2, v[4:5]
	v_add_co_u32 v4, vcc_lo, v40, v29
	v_mov_b32_e32 v29, 0
	v_add_co_ci_u32_e32 v5, vcc_lo, 0, v41, vcc_lo
	v_lshlrev_b64 v[40:41], 2, v[2:3]
	v_mov_b32_e32 v33, 0x64
	v_mov_b32_e32 v34, 0x68
	s_delay_alu instid0(VALU_DEP_4)
	v_lshlrev_b64 v[42:43], 2, v[4:5]
	v_mov_b32_e32 v35, 0x6c
	v_mov_b32_e32 v36, 0x70
	v_add_co_u32 v2, vcc_lo, v6, v40
	v_add_co_ci_u32_e32 v40, vcc_lo, v7, v41, vcc_lo
	v_add_co_u32 v6, vcc_lo, s18, v42
	v_mov_b32_e32 v37, 0x74
	v_mov_b32_e32 v38, 0x78
	;; [unrolled: 1-line block ×3, first 2 shown]
	v_add_co_ci_u32_e32 v7, vcc_lo, s19, v43, vcc_lo
	s_mov_b32 s17, s13
	s_add_i32 s21, s21, s20
	s_mul_i32 s20, s6, s16
	s_lshl_b64 s[22:23], s[6:7], 2
	s_lshl_b64 s[18:19], s[20:21], 2
	;; [unrolled: 1-line block ×3, first 2 shown]
	s_branch .LBB152_3
.LBB152_2:                              ;   in Loop: Header=BB152_3 Depth=1
	s_or_b32 exec_lo, exec_lo, s17
	v_add_co_u32 v42, vcc_lo, s8, v2
	v_add_co_ci_u32_e32 v43, vcc_lo, s9, v40, vcc_lo
	v_add_co_u32 v44, vcc_lo, s10, v2
	v_add_co_ci_u32_e32 v45, vcc_lo, s11, v40, vcc_lo
	s_add_u32 s12, s12, s16
	global_load_b32 v52, v[42:43], off
	global_load_b32 v53, v[44:45], off
	v_add_co_u32 v42, vcc_lo, v42, s22
	v_add_co_ci_u32_e32 v43, vcc_lo, s23, v43, vcc_lo
	v_add_co_u32 v44, vcc_lo, v44, s22
	v_add_co_ci_u32_e32 v45, vcc_lo, s23, v45, vcc_lo
	global_load_b32 v54, v[42:43], off
	global_load_b32 v55, v[44:45], off
	v_add_co_u32 v42, vcc_lo, v42, s22
	v_add_co_ci_u32_e32 v43, vcc_lo, s23, v43, vcc_lo
	v_add_co_u32 v44, vcc_lo, v44, s22
	v_add_co_ci_u32_e32 v45, vcc_lo, s23, v45, vcc_lo
	;; [unrolled: 6-line block ×5, first 2 shown]
	s_delay_alu instid0(VALU_DEP_4) | instskip(NEXT) | instid1(VALU_DEP_4)
	v_add_co_u32 v46, vcc_lo, v42, s22
	v_add_co_ci_u32_e32 v47, vcc_lo, s23, v43, vcc_lo
	s_delay_alu instid0(VALU_DEP_4) | instskip(NEXT) | instid1(VALU_DEP_4)
	v_add_co_u32 v48, vcc_lo, v44, s22
	v_add_co_ci_u32_e32 v49, vcc_lo, s23, v45, vcc_lo
	global_load_b32 v62, v[42:43], off
	global_load_b32 v63, v[44:45], off
	global_load_b32 v64, v[46:47], off
	global_load_b32 v65, v[48:49], off
	v_add_co_u32 v42, vcc_lo, v46, s22
	v_add_co_ci_u32_e32 v43, vcc_lo, s23, v47, vcc_lo
	v_add_co_u32 v44, vcc_lo, v48, s22
	v_add_co_ci_u32_e32 v45, vcc_lo, s23, v49, vcc_lo
	global_load_b32 v66, v[42:43], off
	v_add_co_u32 v42, vcc_lo, v42, s22
	v_add_co_ci_u32_e32 v43, vcc_lo, s23, v43, vcc_lo
	v_add_co_u32 v46, vcc_lo, v44, s22
	v_add_co_ci_u32_e32 v47, vcc_lo, s23, v45, vcc_lo
	s_delay_alu instid0(VALU_DEP_4) | instskip(NEXT) | instid1(VALU_DEP_4)
	v_add_co_u32 v48, vcc_lo, v42, s22
	v_add_co_ci_u32_e32 v49, vcc_lo, s23, v43, vcc_lo
	s_delay_alu instid0(VALU_DEP_4) | instskip(NEXT) | instid1(VALU_DEP_4)
	v_add_co_u32 v50, vcc_lo, v46, s22
	v_add_co_ci_u32_e32 v51, vcc_lo, s23, v47, vcc_lo
	global_load_b32 v67, v[44:45], off
	global_load_b32 v68, v[42:43], off
	global_load_b32 v69, v[46:47], off
	global_load_b32 v70, v[48:49], off
	global_load_b32 v71, v[50:51], off
	v_add_co_u32 v42, vcc_lo, v48, s22
	v_add_co_ci_u32_e32 v43, vcc_lo, s23, v49, vcc_lo
	v_add_co_u32 v44, vcc_lo, v50, s22
	v_add_co_ci_u32_e32 v45, vcc_lo, s23, v51, vcc_lo
	global_load_b32 v72, v[42:43], off
	v_add_co_u32 v42, vcc_lo, v42, s22
	v_add_co_ci_u32_e32 v43, vcc_lo, s23, v43, vcc_lo
	v_add_co_u32 v46, vcc_lo, v44, s22
	v_add_co_ci_u32_e32 v47, vcc_lo, s23, v45, vcc_lo
	s_delay_alu instid0(VALU_DEP_4) | instskip(NEXT) | instid1(VALU_DEP_4)
	v_add_co_u32 v48, vcc_lo, v42, s22
	v_add_co_ci_u32_e32 v49, vcc_lo, s23, v43, vcc_lo
	s_delay_alu instid0(VALU_DEP_4) | instskip(NEXT) | instid1(VALU_DEP_4)
	v_add_co_u32 v50, vcc_lo, v46, s22
	v_add_co_ci_u32_e32 v51, vcc_lo, s23, v47, vcc_lo
	global_load_b32 v73, v[44:45], off
	;; [unrolled: 20-line block ×5, first 2 shown]
	global_load_b32 v92, v[42:43], off
	global_load_b32 v93, v[46:47], off
	;; [unrolled: 1-line block ×4, first 2 shown]
	v_add_co_u32 v42, vcc_lo, v48, s22
	v_add_co_ci_u32_e32 v43, vcc_lo, s23, v49, vcc_lo
	v_add_co_u32 v44, vcc_lo, v50, s22
	v_add_co_ci_u32_e32 v45, vcc_lo, s23, v51, vcc_lo
	global_load_b32 v48, v[42:43], off
	v_add_co_u32 v42, vcc_lo, v42, s22
	v_add_co_ci_u32_e32 v43, vcc_lo, s23, v43, vcc_lo
	v_add_co_u32 v46, vcc_lo, v44, s22
	v_add_co_ci_u32_e32 v47, vcc_lo, s23, v45, vcc_lo
	global_load_b32 v49, v[44:45], off
	v_add_co_u32 v44, vcc_lo, v42, s22
	v_add_co_ci_u32_e32 v45, vcc_lo, s23, v43, vcc_lo
	global_load_b32 v50, v[42:43], off
	s_waitcnt vmcnt(47)
	ds_bpermute_b32 v43, v3, v41
	global_load_b32 v51, v[46:47], off
	s_addc_u32 s13, s13, 0
	s_delay_alu instid0(SALU_CYCLE_1)
	v_cmp_lt_i64_e64 s17, s[12:13], s[4:5]
	s_waitcnt vmcnt(46)
	v_mul_f32_e32 v42, v52, v53
	global_load_b32 v52, v[44:45], off
	s_waitcnt lgkmcnt(0)
	v_fmac_f32_e32 v29, v42, v43
	v_add_co_u32 v42, vcc_lo, v46, s22
	v_add_co_ci_u32_e32 v43, vcc_lo, s23, v47, vcc_lo
	v_add_co_u32 v46, vcc_lo, v44, s22
	v_add_co_ci_u32_e32 v47, vcc_lo, s23, v45, vcc_lo
	ds_bpermute_b32 v45, v8, v41
	s_waitcnt vmcnt(45)
	v_mul_f32_e32 v44, v54, v55
	global_load_b32 v53, v[42:43], off
	global_load_b32 v54, v[46:47], off
	s_waitcnt lgkmcnt(0)
	v_fmac_f32_e32 v29, v44, v45
	v_add_co_u32 v44, vcc_lo, v42, s22
	v_add_co_ci_u32_e32 v45, vcc_lo, s23, v43, vcc_lo
	v_add_co_u32 v42, vcc_lo, v46, s22
	v_add_co_ci_u32_e32 v43, vcc_lo, s23, v47, vcc_lo
	ds_bpermute_b32 v47, v9, v41
	s_waitcnt vmcnt(45)
	v_mul_f32_e32 v46, v56, v57
	global_load_b32 v55, v[44:45], off
	global_load_b32 v56, v[42:43], off
	s_waitcnt lgkmcnt(0)
	v_fmac_f32_e32 v29, v46, v47
	v_add_co_u32 v46, vcc_lo, v44, s22
	v_add_co_ci_u32_e32 v47, vcc_lo, s23, v45, vcc_lo
	v_add_co_u32 v44, vcc_lo, v42, s22
	s_waitcnt vmcnt(45)
	v_mul_f32_e32 v42, v58, v59
	v_add_co_ci_u32_e32 v45, vcc_lo, s23, v43, vcc_lo
	ds_bpermute_b32 v43, v10, v41
	global_load_b32 v57, v[46:47], off
	global_load_b32 v58, v[44:45], off
	s_waitcnt lgkmcnt(0)
	v_fmac_f32_e32 v29, v42, v43
	v_add_co_u32 v42, vcc_lo, v46, s22
	v_add_co_ci_u32_e32 v43, vcc_lo, s23, v47, vcc_lo
	v_add_co_u32 v46, vcc_lo, v44, s22
	s_waitcnt vmcnt(45)
	v_mul_f32_e32 v44, v60, v61
	v_add_co_ci_u32_e32 v47, vcc_lo, s23, v45, vcc_lo
	ds_bpermute_b32 v45, v11, v41
	global_load_b32 v59, v[42:43], off
	global_load_b32 v60, v[46:47], off
	s_waitcnt lgkmcnt(0)
	v_fmac_f32_e32 v29, v44, v45
	v_add_co_u32 v44, vcc_lo, v42, s22
	v_add_co_ci_u32_e32 v45, vcc_lo, s23, v43, vcc_lo
	v_add_co_u32 v42, vcc_lo, v46, s22
	s_waitcnt vmcnt(45)
	v_mul_f32_e32 v46, v62, v63
	v_add_co_ci_u32_e32 v43, vcc_lo, s23, v47, vcc_lo
	ds_bpermute_b32 v47, v12, v41
	global_load_b32 v61, v[44:45], off
	global_load_b32 v62, v[42:43], off
	s_waitcnt lgkmcnt(0)
	v_fmac_f32_e32 v29, v46, v47
	v_add_co_u32 v46, vcc_lo, v44, s22
	v_add_co_ci_u32_e32 v47, vcc_lo, s23, v45, vcc_lo
	v_add_co_u32 v44, vcc_lo, v42, s22
	s_waitcnt vmcnt(45)
	v_mul_f32_e32 v42, v64, v65
	v_add_co_ci_u32_e32 v45, vcc_lo, s23, v43, vcc_lo
	ds_bpermute_b32 v43, v13, v41
	global_load_b32 v63, v[46:47], off
	s_waitcnt vmcnt(42)
	v_mul_f32_e32 v65, v68, v69
	global_load_b32 v64, v[44:45], off
	s_waitcnt lgkmcnt(0)
	v_fmac_f32_e32 v29, v42, v43
	v_add_co_u32 v42, vcc_lo, v46, s22
	v_add_co_ci_u32_e32 v43, vcc_lo, s23, v47, vcc_lo
	v_add_co_u32 v46, vcc_lo, v44, s22
	v_add_co_ci_u32_e32 v47, vcc_lo, s23, v45, vcc_lo
	s_delay_alu instid0(VALU_DEP_4) | instskip(NEXT) | instid1(VALU_DEP_4)
	v_add_co_u32 v44, vcc_lo, v42, s22
	v_add_co_ci_u32_e32 v45, vcc_lo, s23, v43, vcc_lo
	global_load_b32 v42, v[42:43], off
	global_load_b32 v43, v[46:47], off
	;; [unrolled: 1-line block ×3, first 2 shown]
	ds_bpermute_b32 v45, v14, v41
	v_mul_f32_e32 v46, v66, v67
	ds_bpermute_b32 v47, v15, v41
	ds_bpermute_b32 v66, v18, v41
	v_add_co_u32 v2, vcc_lo, v2, s18
	v_add_co_ci_u32_e32 v40, vcc_lo, s19, v40, vcc_lo
	v_add_co_u32 v6, vcc_lo, v6, s20
	v_add_co_ci_u32_e32 v7, vcc_lo, s21, v7, vcc_lo
	;; [unrolled: 2-line block ×3, first 2 shown]
	s_and_b32 vcc_lo, exec_lo, s17
	s_waitcnt vmcnt(2) lgkmcnt(2)
	v_dual_mul_f32 v42, v64, v42 :: v_dual_fmac_f32 v29, v46, v45
	ds_bpermute_b32 v45, v16, v41
	ds_bpermute_b32 v46, v17, v41
	s_waitcnt lgkmcnt(3)
	v_fmac_f32_e32 v29, v65, v47
	v_mul_f32_e32 v47, v70, v71
	ds_bpermute_b32 v65, v19, v41
	s_waitcnt lgkmcnt(2)
	v_fmac_f32_e32 v29, v47, v45
	v_mul_f32_e32 v45, v72, v73
	;; [unrolled: 4-line block ×3, first 2 shown]
	ds_bpermute_b32 v46, v21, v41
	v_fmac_f32_e32 v29, v45, v66
	v_mul_f32_e32 v45, v76, v77
	ds_bpermute_b32 v66, v22, v41
	s_waitcnt lgkmcnt(3)
	v_fmac_f32_e32 v29, v45, v65
	v_mul_f32_e32 v45, v78, v79
	ds_bpermute_b32 v65, v23, v41
	s_waitcnt lgkmcnt(3)
	v_fmac_f32_e32 v29, v45, v47
	v_mul_f32_e32 v45, v80, v81
	ds_bpermute_b32 v47, v24, v41
	s_waitcnt lgkmcnt(3)
	v_fmac_f32_e32 v29, v45, v46
	v_mul_f32_e32 v45, v82, v83
	ds_bpermute_b32 v46, v25, v41
	s_waitcnt lgkmcnt(3)
	v_fmac_f32_e32 v29, v45, v66
	v_mul_f32_e32 v45, v84, v85
	ds_bpermute_b32 v66, v26, v41
	s_waitcnt lgkmcnt(3)
	v_fmac_f32_e32 v29, v45, v65
	v_mul_f32_e32 v45, v86, v87
	ds_bpermute_b32 v65, v27, v41
	s_waitcnt lgkmcnt(3)
	v_fmac_f32_e32 v29, v45, v47
	v_mul_f32_e32 v45, v88, v89
	ds_bpermute_b32 v47, v28, v41
	s_waitcnt lgkmcnt(3)
	v_fmac_f32_e32 v29, v45, v46
	v_mul_f32_e32 v45, v90, v91
	ds_bpermute_b32 v46, v30, v41
	s_waitcnt lgkmcnt(3)
	v_fmac_f32_e32 v29, v45, v66
	v_mul_f32_e32 v45, v92, v93
	ds_bpermute_b32 v66, v31, v41
	s_waitcnt lgkmcnt(3)
	v_fmac_f32_e32 v29, v45, v65
	v_mul_f32_e32 v45, v94, v95
	ds_bpermute_b32 v65, v32, v41
	s_waitcnt lgkmcnt(3)
	v_fmac_f32_e32 v29, v45, v47
	v_mul_f32_e32 v45, v48, v49
	ds_bpermute_b32 v47, v33, v41
	ds_bpermute_b32 v48, v35, v41
	;; [unrolled: 1-line block ×3, first 2 shown]
	s_waitcnt lgkmcnt(5)
	v_fmac_f32_e32 v29, v45, v46
	v_mul_f32_e32 v45, v50, v51
	ds_bpermute_b32 v46, v34, v41
	s_waitcnt lgkmcnt(5)
	v_fmac_f32_e32 v29, v45, v66
	v_mul_f32_e32 v45, v52, v53
	s_waitcnt lgkmcnt(4)
	s_delay_alu instid0(VALU_DEP_1) | instskip(SKIP_2) | instid1(VALU_DEP_1)
	v_fmac_f32_e32 v29, v45, v65
	v_mul_f32_e32 v45, v54, v55
	s_waitcnt lgkmcnt(3)
	v_fmac_f32_e32 v29, v45, v47
	v_mul_f32_e32 v45, v56, v57
	ds_bpermute_b32 v47, v37, v41
	s_waitcnt lgkmcnt(1)
	v_fmac_f32_e32 v29, v45, v46
	v_mul_f32_e32 v45, v58, v59
	ds_bpermute_b32 v46, v38, v41
	ds_bpermute_b32 v41, v39, v41
	v_fmac_f32_e32 v29, v45, v48
	v_mul_f32_e32 v45, v60, v61
	s_delay_alu instid0(VALU_DEP_1) | instskip(SKIP_2) | instid1(VALU_DEP_1)
	v_fmac_f32_e32 v29, v45, v49
	v_mul_f32_e32 v45, v62, v63
	s_waitcnt lgkmcnt(2)
	v_fmac_f32_e32 v29, v45, v47
	s_waitcnt vmcnt(0) lgkmcnt(1)
	s_delay_alu instid0(VALU_DEP_1) | instskip(SKIP_1) | instid1(VALU_DEP_1)
	v_dual_fmac_f32 v29, v42, v46 :: v_dual_mul_f32 v42, v43, v44
	s_waitcnt lgkmcnt(0)
	v_fmac_f32_e32 v29, v42, v41
	s_cbranch_vccz .LBB152_5
.LBB152_3:                              ; =>This Inner Loop Header: Depth=1
	v_mov_b32_e32 v41, 0
	s_mov_b32 s17, exec_lo
	v_cmpx_gt_i64_e64 s[4:5], v[4:5]
	s_cbranch_execz .LBB152_2
; %bb.4:                                ;   in Loop: Header=BB152_3 Depth=1
	global_load_b32 v41, v[6:7], off
	s_branch .LBB152_2
.LBB152_5:
	s_cmp_eq_u64 s[2:3], 0
	s_cbranch_scc1 .LBB152_7
; %bb.6:
	s_load_b32 s0, s[0:1], 0x4c
	v_mov_b32_e32 v2, 0
	v_lshlrev_b32_e32 v0, 2, v0
	s_waitcnt lgkmcnt(0)
	s_lshr_b32 s0, s0, 16
	s_delay_alu instid0(VALU_DEP_2) | instid1(SALU_CYCLE_1)
	v_mad_u64_u32 v[3:4], null, s0, s15, v[1:2]
	s_mov_b32 s15, 0
	s_delay_alu instid0(SALU_CYCLE_1) | instskip(NEXT) | instid1(SALU_CYCLE_1)
	s_lshl_b64 s[0:1], s[14:15], 7
	s_add_u32 s0, s0, s2
	s_addc_u32 s1, s1, s3
	s_delay_alu instid0(VALU_DEP_1) | instskip(NEXT) | instid1(VALU_DEP_2)
	v_mul_lo_u32 v4, v4, s6
	v_mul_lo_u32 v5, v3, s7
	v_mad_u64_u32 v[1:2], null, v3, s6, 0
	s_delay_alu instid0(VALU_DEP_1) | instskip(NEXT) | instid1(VALU_DEP_1)
	v_add3_u32 v2, v2, v5, v4
	v_lshlrev_b64 v[1:2], 2, v[1:2]
	s_delay_alu instid0(VALU_DEP_1) | instskip(NEXT) | instid1(VALU_DEP_2)
	v_add_co_u32 v1, vcc_lo, s0, v1
	v_add_co_ci_u32_e32 v2, vcc_lo, s1, v2, vcc_lo
	s_delay_alu instid0(VALU_DEP_2) | instskip(NEXT) | instid1(VALU_DEP_2)
	v_add_co_u32 v0, vcc_lo, v1, v0
	v_add_co_ci_u32_e32 v1, vcc_lo, 0, v2, vcc_lo
	global_store_b32 v[0:1], v29, off
.LBB152_7:
	s_nop 0
	s_sendmsg sendmsg(MSG_DEALLOC_VGPRS)
	s_endpgm
	.section	.rodata,"a",@progbits
	.p2align	6, 0x0
	.amdhsa_kernel _ZN2at6native12_GLOBAL__N_135GammaBetaBackwardCUDAKernelTemplateIffLj32ELj1ELj32ELb1ELb1ELb1EEEvllPKT_S5_PKT0_S8_PS3_S9_
		.amdhsa_group_segment_fixed_size 0
		.amdhsa_private_segment_fixed_size 0
		.amdhsa_kernarg_size 320
		.amdhsa_user_sgpr_count 14
		.amdhsa_user_sgpr_dispatch_ptr 0
		.amdhsa_user_sgpr_queue_ptr 0
		.amdhsa_user_sgpr_kernarg_segment_ptr 1
		.amdhsa_user_sgpr_dispatch_id 0
		.amdhsa_user_sgpr_private_segment_size 0
		.amdhsa_wavefront_size32 1
		.amdhsa_uses_dynamic_stack 0
		.amdhsa_enable_private_segment 0
		.amdhsa_system_sgpr_workgroup_id_x 1
		.amdhsa_system_sgpr_workgroup_id_y 1
		.amdhsa_system_sgpr_workgroup_id_z 0
		.amdhsa_system_sgpr_workgroup_info 0
		.amdhsa_system_vgpr_workitem_id 1
		.amdhsa_next_free_vgpr 96
		.amdhsa_next_free_sgpr 24
		.amdhsa_reserve_vcc 1
		.amdhsa_float_round_mode_32 0
		.amdhsa_float_round_mode_16_64 0
		.amdhsa_float_denorm_mode_32 3
		.amdhsa_float_denorm_mode_16_64 3
		.amdhsa_dx10_clamp 1
		.amdhsa_ieee_mode 1
		.amdhsa_fp16_overflow 0
		.amdhsa_workgroup_processor_mode 1
		.amdhsa_memory_ordered 1
		.amdhsa_forward_progress 0
		.amdhsa_shared_vgpr_count 0
		.amdhsa_exception_fp_ieee_invalid_op 0
		.amdhsa_exception_fp_denorm_src 0
		.amdhsa_exception_fp_ieee_div_zero 0
		.amdhsa_exception_fp_ieee_overflow 0
		.amdhsa_exception_fp_ieee_underflow 0
		.amdhsa_exception_fp_ieee_inexact 0
		.amdhsa_exception_int_div_zero 0
	.end_amdhsa_kernel
	.section	.text._ZN2at6native12_GLOBAL__N_135GammaBetaBackwardCUDAKernelTemplateIffLj32ELj1ELj32ELb1ELb1ELb1EEEvllPKT_S5_PKT0_S8_PS3_S9_,"axG",@progbits,_ZN2at6native12_GLOBAL__N_135GammaBetaBackwardCUDAKernelTemplateIffLj32ELj1ELj32ELb1ELb1ELb1EEEvllPKT_S5_PKT0_S8_PS3_S9_,comdat
.Lfunc_end152:
	.size	_ZN2at6native12_GLOBAL__N_135GammaBetaBackwardCUDAKernelTemplateIffLj32ELj1ELj32ELb1ELb1ELb1EEEvllPKT_S5_PKT0_S8_PS3_S9_, .Lfunc_end152-_ZN2at6native12_GLOBAL__N_135GammaBetaBackwardCUDAKernelTemplateIffLj32ELj1ELj32ELb1ELb1ELb1EEEvllPKT_S5_PKT0_S8_PS3_S9_
                                        ; -- End function
	.section	.AMDGPU.csdata,"",@progbits
; Kernel info:
; codeLenInByte = 2772
; NumSgprs: 26
; NumVgprs: 96
; ScratchSize: 0
; MemoryBound: 0
; FloatMode: 240
; IeeeMode: 1
; LDSByteSize: 0 bytes/workgroup (compile time only)
; SGPRBlocks: 3
; VGPRBlocks: 11
; NumSGPRsForWavesPerEU: 26
; NumVGPRsForWavesPerEU: 96
; Occupancy: 16
; WaveLimiterHint : 0
; COMPUTE_PGM_RSRC2:SCRATCH_EN: 0
; COMPUTE_PGM_RSRC2:USER_SGPR: 14
; COMPUTE_PGM_RSRC2:TRAP_HANDLER: 0
; COMPUTE_PGM_RSRC2:TGID_X_EN: 1
; COMPUTE_PGM_RSRC2:TGID_Y_EN: 1
; COMPUTE_PGM_RSRC2:TGID_Z_EN: 0
; COMPUTE_PGM_RSRC2:TIDIG_COMP_CNT: 1
	.section	.text._ZN2at6native12_GLOBAL__N_135GammaBetaBackwardCUDAKernelTemplateIffLj32ELj1ELj32ELb1ELb0ELb1EEEvllPKT_S5_PKT0_S8_PS3_S9_,"axG",@progbits,_ZN2at6native12_GLOBAL__N_135GammaBetaBackwardCUDAKernelTemplateIffLj32ELj1ELj32ELb1ELb0ELb1EEEvllPKT_S5_PKT0_S8_PS3_S9_,comdat
	.globl	_ZN2at6native12_GLOBAL__N_135GammaBetaBackwardCUDAKernelTemplateIffLj32ELj1ELj32ELb1ELb0ELb1EEEvllPKT_S5_PKT0_S8_PS3_S9_ ; -- Begin function _ZN2at6native12_GLOBAL__N_135GammaBetaBackwardCUDAKernelTemplateIffLj32ELj1ELj32ELb1ELb0ELb1EEEvllPKT_S5_PKT0_S8_PS3_S9_
	.p2align	8
	.type	_ZN2at6native12_GLOBAL__N_135GammaBetaBackwardCUDAKernelTemplateIffLj32ELj1ELj32ELb1ELb0ELb1EEEvllPKT_S5_PKT0_S8_PS3_S9_,@function
_ZN2at6native12_GLOBAL__N_135GammaBetaBackwardCUDAKernelTemplateIffLj32ELj1ELj32ELb1ELb0ELb1EEEvllPKT_S5_PKT0_S8_PS3_S9_: ; @_ZN2at6native12_GLOBAL__N_135GammaBetaBackwardCUDAKernelTemplateIffLj32ELj1ELj32ELb1ELb0ELb1EEEvllPKT_S5_PKT0_S8_PS3_S9_
; %bb.0:
	s_clause 0x1
	s_load_b256 s[16:23], s[0:1], 0x0
	s_load_b64 s[6:7], s[0:1], 0x28
	s_mov_b32 s2, s15
	s_lshl_b32 s15, s14, 5
	s_mov_b32 s9, 0
	s_or_b32 s8, s15, 31
	v_mov_b32_e32 v207, v0
	s_waitcnt lgkmcnt(0)
	v_cmp_ge_i64_e64 s3, s[8:9], s[18:19]
	s_lshl_b32 s8, s2, 5
	s_delay_alu instid0(SALU_CYCLE_1) | instskip(NEXT) | instid1(VALU_DEP_2)
	v_cmp_lt_i64_e64 s26, s[8:9], s[16:17]
	s_and_b32 vcc_lo, exec_lo, s3
	s_delay_alu instid0(VALU_DEP_1) | instskip(NEXT) | instid1(VALU_DEP_1)
	v_cndmask_b32_e64 v0, 0, 1, s26
	v_cmp_ne_u32_e64 s3, 1, v0
	s_cbranch_vccz .LBB153_141
; %bb.1:
	v_mov_b32_e32 v144, 0
	s_delay_alu instid0(VALU_DEP_2)
	s_and_b32 vcc_lo, exec_lo, s3
	s_cbranch_vccnz .LBB153_142
; %bb.2:
	v_bfe_u32 v9, v207, 10, 10
	s_load_b32 s4, s[0:1], 0x44
	v_dual_mov_b32 v2, 0 :: v_dual_and_b32 v11, 0x3ff, v207
	s_add_u32 s10, s0, 64
	s_delay_alu instid0(VALU_DEP_2) | instskip(NEXT) | instid1(VALU_DEP_2)
	v_dual_mov_b32 v139, 0 :: v_dual_lshlrev_b32 v10, 5, v9
	v_dual_mov_b32 v12, v2 :: v_dual_add_nc_u32 v1, s15, v11
	s_addc_u32 s11, s1, 0
	s_delay_alu instid0(VALU_DEP_2) | instskip(NEXT) | instid1(VALU_DEP_1)
	v_add_co_u32 v5, s3, v10, s8
	v_add_co_ci_u32_e64 v6, null, 0, 0, s3
	s_delay_alu instid0(VALU_DEP_3) | instskip(NEXT) | instid1(VALU_DEP_3)
	v_cmp_gt_i64_e64 s3, s[18:19], v[1:2]
	v_add_co_u32 v0, vcc_lo, v5, 31
	s_delay_alu instid0(VALU_DEP_3) | instskip(SKIP_1) | instid1(VALU_DEP_3)
	v_add_co_ci_u32_e32 v3, vcc_lo, 0, v6, vcc_lo
	v_mul_lo_u32 v130, s19, v5
	v_mul_lo_u32 v4, s19, v0
	v_mad_u64_u32 v[7:8], null, s18, v0, 0
	s_delay_alu instid0(VALU_DEP_4) | instskip(SKIP_4) | instid1(VALU_DEP_2)
	v_mul_lo_u32 v3, s18, v3
	v_add_co_u32 v0, vcc_lo, v5, 30
	v_add_co_ci_u32_e32 v13, vcc_lo, 0, v6, vcc_lo
	s_waitcnt lgkmcnt(0)
	s_lshl_b32 s27, s4, 5
	v_mul_lo_u32 v14, s19, v0
	v_mad_u64_u32 v[16:17], null, s18, v0, 0
	v_add3_u32 v8, v8, v3, v4
	v_mul_lo_u32 v15, s18, v13
	v_lshlrev_b64 v[3:4], 2, v[1:2]
	s_mul_i32 s4, s19, s27
	s_mul_hi_u32 s5, s18, s27
	v_lshlrev_b64 v[7:8], 2, v[7:8]
	s_add_i32 s13, s5, s4
	v_mad_u64_u32 v[133:134], null, s18, v5, 0
	s_delay_alu instid0(VALU_DEP_4) | instskip(SKIP_1) | instid1(VALU_DEP_3)
	v_add3_u32 v17, v17, v15, v14
	s_mul_i32 s12, s18, s27
	v_add_co_u32 v1, vcc_lo, s20, v7
	v_add_co_ci_u32_e32 v13, vcc_lo, s21, v8, vcc_lo
	v_add_co_u32 v0, vcc_lo, v5, 29
	v_add_co_u32 v14, s4, s22, v7
	s_delay_alu instid0(VALU_DEP_1)
	v_add_co_ci_u32_e64 v15, s4, s23, v8, s4
	v_lshlrev_b64 v[7:8], 2, v[16:17]
	v_add_co_ci_u32_e32 v16, vcc_lo, 0, v6, vcc_lo
	v_add_co_u32 v17, vcc_lo, v5, 28
	v_add_co_ci_u32_e32 v19, vcc_lo, 0, v6, vcc_lo
	v_mul_lo_u32 v18, s19, v0
	s_delay_alu instid0(VALU_DEP_4)
	v_mul_lo_u32 v24, s18, v16
	v_mad_u64_u32 v[20:21], null, s18, v0, 0
	v_mul_lo_u32 v0, s19, v17
	v_mul_lo_u32 v25, s18, v19
	v_mad_u64_u32 v[22:23], null, s18, v17, 0
	v_add_co_u32 v16, vcc_lo, s20, v7
	v_add_co_ci_u32_e32 v17, vcc_lo, s21, v8, vcc_lo
	v_add3_u32 v21, v21, v24, v18
	v_add_co_u32 v18, vcc_lo, s22, v7
	v_add_co_ci_u32_e32 v19, vcc_lo, s23, v8, vcc_lo
	v_add3_u32 v23, v23, v25, v0
	v_add_co_u32 v0, vcc_lo, v5, 27
	v_add_co_ci_u32_e32 v24, vcc_lo, 0, v6, vcc_lo
	v_lshlrev_b64 v[7:8], 2, v[20:21]
	s_delay_alu instid0(VALU_DEP_3) | instskip(SKIP_1) | instid1(VALU_DEP_4)
	v_mul_lo_u32 v30, s19, v0
	v_mad_u64_u32 v[28:29], null, s18, v0, 0
	v_mul_lo_u32 v31, s18, v24
	v_lshlrev_b64 v[26:27], 2, v[22:23]
	v_add_co_u32 v20, vcc_lo, s20, v7
	v_add_co_ci_u32_e32 v21, vcc_lo, s21, v8, vcc_lo
	v_add_co_u32 v22, vcc_lo, s22, v7
	v_add_co_ci_u32_e32 v23, vcc_lo, s23, v8, vcc_lo
	v_add_co_u32 v24, vcc_lo, s20, v26
	v_add3_u32 v29, v29, v31, v30
	v_add_co_ci_u32_e32 v25, vcc_lo, s21, v27, vcc_lo
	v_add_co_u32 v0, vcc_lo, v5, 26
	s_delay_alu instid0(VALU_DEP_3) | instskip(SKIP_4) | instid1(VALU_DEP_4)
	v_lshlrev_b64 v[7:8], 2, v[28:29]
	v_add_co_ci_u32_e32 v28, vcc_lo, 0, v6, vcc_lo
	v_add_co_u32 v29, vcc_lo, v5, 25
	v_add_co_ci_u32_e32 v31, vcc_lo, 0, v6, vcc_lo
	v_mul_lo_u32 v30, s19, v0
	v_mul_lo_u32 v36, s18, v28
	v_mad_u64_u32 v[32:33], null, s18, v0, 0
	v_mul_lo_u32 v0, s19, v29
	v_mul_lo_u32 v37, s18, v31
	v_mad_u64_u32 v[34:35], null, s18, v29, 0
	v_add_co_u32 v28, vcc_lo, s20, v7
	v_add_co_ci_u32_e32 v29, vcc_lo, s21, v8, vcc_lo
	v_add3_u32 v33, v33, v36, v30
	v_add_co_u32 v30, vcc_lo, s22, v7
	v_add_co_ci_u32_e32 v31, vcc_lo, s23, v8, vcc_lo
	v_add3_u32 v35, v35, v37, v0
	v_add_co_u32 v0, vcc_lo, v5, 24
	v_add_co_ci_u32_e32 v36, vcc_lo, 0, v6, vcc_lo
	v_lshlrev_b64 v[7:8], 2, v[32:33]
	s_delay_alu instid0(VALU_DEP_3) | instskip(SKIP_1) | instid1(VALU_DEP_4)
	v_mul_lo_u32 v42, s19, v0
	v_mad_u64_u32 v[40:41], null, s18, v0, 0
	v_mul_lo_u32 v43, s18, v36
	v_lshlrev_b64 v[38:39], 2, v[34:35]
	v_add_co_u32 v32, vcc_lo, s20, v7
	v_add_co_ci_u32_e32 v33, vcc_lo, s21, v8, vcc_lo
	v_add_co_u32 v34, vcc_lo, s22, v7
	v_add_co_ci_u32_e32 v35, vcc_lo, s23, v8, vcc_lo
	v_add_co_u32 v36, vcc_lo, s20, v38
	v_add3_u32 v41, v41, v43, v42
	v_add_co_ci_u32_e32 v37, vcc_lo, s21, v39, vcc_lo
	v_add_co_u32 v0, vcc_lo, v5, 23
	s_delay_alu instid0(VALU_DEP_3) | instskip(SKIP_4) | instid1(VALU_DEP_4)
	v_lshlrev_b64 v[7:8], 2, v[40:41]
	v_add_co_ci_u32_e32 v40, vcc_lo, 0, v6, vcc_lo
	v_add_co_u32 v41, vcc_lo, v5, 22
	v_add_co_ci_u32_e32 v43, vcc_lo, 0, v6, vcc_lo
	v_mul_lo_u32 v42, s19, v0
	;; [unrolled: 33-line block ×5, first 2 shown]
	v_mul_lo_u32 v84, s18, v76
	v_mad_u64_u32 v[80:81], null, s18, v0, 0
	v_mul_lo_u32 v0, s19, v77
	v_mul_lo_u32 v85, s18, v79
	v_mad_u64_u32 v[82:83], null, s18, v77, 0
	v_add_co_u32 v76, vcc_lo, s20, v7
	v_add_co_ci_u32_e32 v77, vcc_lo, s21, v8, vcc_lo
	v_add3_u32 v81, v81, v84, v78
	v_add_co_u32 v78, vcc_lo, s22, v7
	v_add_co_ci_u32_e32 v79, vcc_lo, s23, v8, vcc_lo
	v_add3_u32 v83, v83, v85, v0
	v_add_co_u32 v0, vcc_lo, v5, 12
	v_add_co_ci_u32_e32 v84, vcc_lo, 0, v6, vcc_lo
	v_lshlrev_b64 v[7:8], 2, v[80:81]
	s_delay_alu instid0(VALU_DEP_3) | instskip(SKIP_1) | instid1(VALU_DEP_4)
	v_mul_lo_u32 v90, s19, v0
	v_mad_u64_u32 v[88:89], null, s18, v0, 0
	v_mul_lo_u32 v91, s18, v84
	v_lshlrev_b64 v[86:87], 2, v[82:83]
	v_add_co_u32 v80, vcc_lo, s20, v7
	v_add_co_ci_u32_e32 v81, vcc_lo, s21, v8, vcc_lo
	v_add_co_u32 v82, vcc_lo, s22, v7
	v_add_co_ci_u32_e32 v83, vcc_lo, s23, v8, vcc_lo
	v_add_co_u32 v84, vcc_lo, s20, v86
	v_add3_u32 v89, v89, v91, v90
	v_add_co_ci_u32_e32 v85, vcc_lo, s21, v87, vcc_lo
	v_add_co_u32 v0, vcc_lo, v5, 11
	s_delay_alu instid0(VALU_DEP_3) | instskip(SKIP_2) | instid1(VALU_DEP_4)
	v_lshlrev_b64 v[7:8], 2, v[88:89]
	v_add_co_ci_u32_e32 v88, vcc_lo, 0, v6, vcc_lo
	v_add_co_u32 v90, vcc_lo, v5, 10
	v_mul_lo_u32 v89, s19, v0
	v_add_co_ci_u32_e32 v93, vcc_lo, 0, v6, vcc_lo
	s_delay_alu instid0(VALU_DEP_4) | instskip(SKIP_2) | instid1(VALU_DEP_4)
	v_mul_lo_u32 v95, s18, v88
	v_mad_u64_u32 v[91:92], null, s18, v0, 0
	v_mul_lo_u32 v96, s19, v90
	v_mul_lo_u32 v97, s18, v93
	v_mad_u64_u32 v[93:94], null, s18, v90, 0
	v_add_co_u32 v0, vcc_lo, s20, v7
	v_add_co_ci_u32_e32 v88, vcc_lo, s21, v8, vcc_lo
	v_add3_u32 v92, v92, v95, v89
	v_add_co_u32 v89, vcc_lo, s22, v7
	v_add_co_ci_u32_e32 v90, vcc_lo, s23, v8, vcc_lo
	v_add_co_u32 v95, vcc_lo, v5, 9
	v_add3_u32 v94, v94, v97, v96
	v_add_co_ci_u32_e32 v96, vcc_lo, 0, v6, vcc_lo
	v_lshlrev_b64 v[7:8], 2, v[91:92]
	s_delay_alu instid0(VALU_DEP_4) | instskip(SKIP_1) | instid1(VALU_DEP_4)
	v_mul_lo_u32 v101, s19, v95
	v_mad_u64_u32 v[99:100], null, s18, v95, 0
	v_mul_lo_u32 v102, s18, v96
	v_lshlrev_b64 v[97:98], 2, v[93:94]
	v_add_co_u32 v91, vcc_lo, s20, v7
	v_add_co_ci_u32_e32 v92, vcc_lo, s21, v8, vcc_lo
	v_add_co_u32 v93, vcc_lo, s22, v7
	v_add_co_ci_u32_e32 v94, vcc_lo, s23, v8, vcc_lo
	v_add_co_u32 v95, vcc_lo, s20, v97
	v_add3_u32 v100, v100, v102, v101
	v_add_co_ci_u32_e32 v96, vcc_lo, s21, v98, vcc_lo
	v_add_co_u32 v101, vcc_lo, v5, 8
	s_delay_alu instid0(VALU_DEP_3) | instskip(SKIP_4) | instid1(VALU_DEP_4)
	v_lshlrev_b64 v[7:8], 2, v[99:100]
	v_add_co_ci_u32_e32 v99, vcc_lo, 0, v6, vcc_lo
	v_add_co_u32 v100, vcc_lo, v5, 7
	v_add_co_ci_u32_e32 v105, vcc_lo, 0, v6, vcc_lo
	v_mul_lo_u32 v102, s19, v101
	v_mul_lo_u32 v107, s18, v99
	v_mad_u64_u32 v[103:104], null, s18, v101, 0
	v_mul_lo_u32 v108, s19, v100
	v_mul_lo_u32 v109, s18, v105
	v_mad_u64_u32 v[105:106], null, s18, v100, 0
	v_add_co_u32 v99, vcc_lo, s20, v7
	v_add_co_ci_u32_e32 v100, vcc_lo, s21, v8, vcc_lo
	v_add_co_u32 v101, vcc_lo, s22, v7
	v_add3_u32 v104, v104, v107, v102
	v_add_co_ci_u32_e32 v102, vcc_lo, s23, v8, vcc_lo
	v_add_co_u32 v107, vcc_lo, v5, 6
	v_add3_u32 v106, v106, v109, v108
	v_add_co_ci_u32_e32 v108, vcc_lo, 0, v6, vcc_lo
	v_lshlrev_b64 v[7:8], 2, v[103:104]
	s_delay_alu instid0(VALU_DEP_4) | instskip(SKIP_1) | instid1(VALU_DEP_4)
	v_mul_lo_u32 v113, s19, v107
	v_mad_u64_u32 v[111:112], null, s18, v107, 0
	v_mul_lo_u32 v114, s18, v108
	v_lshlrev_b64 v[109:110], 2, v[105:106]
	v_add_co_u32 v103, vcc_lo, s20, v7
	v_add_co_ci_u32_e32 v104, vcc_lo, s21, v8, vcc_lo
	v_add_co_u32 v105, vcc_lo, s22, v7
	v_add_co_ci_u32_e32 v106, vcc_lo, s23, v8, vcc_lo
	v_add_co_u32 v107, vcc_lo, s20, v109
	v_add3_u32 v112, v112, v114, v113
	v_add_co_ci_u32_e32 v108, vcc_lo, s21, v110, vcc_lo
	v_add_co_u32 v113, vcc_lo, v5, 5
	s_delay_alu instid0(VALU_DEP_3) | instskip(SKIP_2) | instid1(VALU_DEP_4)
	v_lshlrev_b64 v[7:8], 2, v[111:112]
	v_add_co_ci_u32_e32 v111, vcc_lo, 0, v6, vcc_lo
	v_add_co_u32 v112, vcc_lo, v5, 4
	v_mul_lo_u32 v114, s19, v113
	s_delay_alu instid0(VALU_DEP_3) | instskip(SKIP_4) | instid1(VALU_DEP_3)
	v_mul_lo_u32 v119, s18, v111
	v_mad_u64_u32 v[115:116], null, s18, v113, 0
	v_add_co_ci_u32_e32 v117, vcc_lo, 0, v6, vcc_lo
	v_mul_lo_u32 v120, s19, v112
	v_add_co_u32 v111, vcc_lo, s20, v7
	v_mul_lo_u32 v121, s18, v117
	v_mad_u64_u32 v[117:118], null, s18, v112, 0
	v_add3_u32 v116, v116, v119, v114
	v_add_co_ci_u32_e32 v112, vcc_lo, s21, v8, vcc_lo
	v_add_co_u32 v113, vcc_lo, s22, v7
	v_add_co_ci_u32_e32 v114, vcc_lo, s23, v8, vcc_lo
	s_delay_alu instid0(VALU_DEP_4) | instskip(SKIP_3) | instid1(VALU_DEP_4)
	v_lshlrev_b64 v[7:8], 2, v[115:116]
	v_add_co_u32 v119, vcc_lo, v5, 3
	v_add3_u32 v118, v118, v121, v120
	v_add_co_ci_u32_e32 v120, vcc_lo, 0, v6, vcc_lo
	v_add_co_u32 v115, vcc_lo, s20, v7
	s_delay_alu instid0(VALU_DEP_3) | instskip(SKIP_1) | instid1(VALU_DEP_4)
	v_lshlrev_b64 v[121:122], 2, v[117:118]
	v_mul_lo_u32 v125, s19, v119
	v_mul_lo_u32 v126, s18, v120
	v_mad_u64_u32 v[123:124], null, s18, v119, 0
	v_add_co_ci_u32_e32 v116, vcc_lo, s21, v8, vcc_lo
	v_add_co_u32 v117, vcc_lo, s22, v7
	v_add_co_ci_u32_e32 v118, vcc_lo, s23, v8, vcc_lo
	v_add_co_u32 v119, vcc_lo, s20, v121
	v_add_co_ci_u32_e32 v120, vcc_lo, s21, v122, vcc_lo
	v_add3_u32 v124, v124, v126, v125
	v_add_co_u32 v125, vcc_lo, v5, 2
	v_add_co_ci_u32_e32 v126, vcc_lo, 0, v6, vcc_lo
	s_delay_alu instid0(VALU_DEP_3) | instskip(NEXT) | instid1(VALU_DEP_3)
	v_lshlrev_b64 v[7:8], 2, v[123:124]
	v_mul_lo_u32 v129, s19, v125
	v_mad_u64_u32 v[127:128], null, s18, v125, 0
	s_delay_alu instid0(VALU_DEP_4)
	v_mul_lo_u32 v126, s18, v126
	v_mul_lo_u32 v6, s18, v6
	v_add_co_u32 v121, vcc_lo, s22, v121
	v_add_co_ci_u32_e32 v122, vcc_lo, s23, v122, vcc_lo
	v_add_co_u32 v123, vcc_lo, s20, v7
	v_add_co_ci_u32_e32 v124, vcc_lo, s21, v8, vcc_lo
	v_add3_u32 v128, v128, v126, v129
	v_add_co_u32 v125, vcc_lo, s22, v7
	v_add3_u32 v134, v134, v6, v130
	v_add_co_ci_u32_e32 v126, vcc_lo, s23, v8, vcc_lo
	v_add_co_u32 v7, vcc_lo, v133, s18
	v_add_co_u32 v26, s4, s22, v26
	v_lshlrev_b64 v[5:6], 2, v[127:128]
	v_add_co_ci_u32_e32 v8, vcc_lo, s19, v134, vcc_lo
	v_add_co_ci_u32_e64 v27, s4, s23, v27, s4
	v_add_co_u32 v38, s4, s22, v38
	s_delay_alu instid0(VALU_DEP_1)
	v_add_co_ci_u32_e64 v39, s4, s23, v39, s4
	v_add_co_u32 v50, s4, s22, v50
	v_add_co_u32 v127, vcc_lo, s20, v5
	v_lshlrev_b64 v[7:8], 2, v[7:8]
	v_add_co_ci_u32_e64 v51, s4, s23, v51, s4
	v_add_co_ci_u32_e32 v128, vcc_lo, s21, v6, vcc_lo
	v_add_co_u32 v62, s4, s22, v62
	v_add_co_u32 v129, vcc_lo, s22, v5
	v_add_co_ci_u32_e64 v63, s4, s23, v63, s4
	v_add_co_ci_u32_e32 v130, vcc_lo, s23, v6, vcc_lo
	v_add_co_u32 v74, s4, s22, v74
	v_add_co_u32 v131, vcc_lo, s20, v7
	v_lshlrev_b64 v[5:6], 2, v[133:134]
	v_add_co_ci_u32_e64 v75, s4, s23, v75, s4
	v_add_co_ci_u32_e32 v132, vcc_lo, s21, v8, vcc_lo
	v_add_co_u32 v86, s4, s22, v86
	v_add_co_u32 v133, vcc_lo, s22, v7
	v_add_co_ci_u32_e64 v87, s4, s23, v87, s4
	v_add_co_ci_u32_e32 v134, vcc_lo, s23, v8, vcc_lo
	v_add_co_u32 v97, s4, s22, v97
	v_add_co_u32 v135, vcc_lo, s20, v5
	;; [unrolled: 4-line block ×3, first 2 shown]
	v_add_co_ci_u32_e64 v110, s4, s23, v110, s4
	v_add_co_ci_u32_e32 v138, vcc_lo, s23, v6, vcc_lo
	s_mov_b64 s[4:5], 31
	s_lshl_b64 s[12:13], s[12:13], 2
	s_mov_b64 s[24:25], s[8:9]
.LBB153_3:                              ; =>This Inner Loop Header: Depth=1
	s_add_u32 s28, s8, s4
	s_addc_u32 s29, 0, s5
	v_add_co_u32 v5, vcc_lo, s8, v10
	v_cmp_ge_i64_e64 s28, s[28:29], s[16:17]
	v_add_co_ci_u32_e32 v6, vcc_lo, 0, v12, vcc_lo
	s_delay_alu instid0(VALU_DEP_2)
	s_and_b32 vcc_lo, exec_lo, s28
	s_cbranch_vccz .LBB153_71
; %bb.4:                                ;   in Loop: Header=BB153_3 Depth=1
	s_load_b32 s28, s[10:11], 0xc
	v_dual_mov_b32 v141, 0 :: v_dual_mov_b32 v140, 0
	s_waitcnt lgkmcnt(0)
	s_and_b32 s28, s28, 0xffff
	s_delay_alu instid0(SALU_CYCLE_1) | instskip(SKIP_1) | instid1(VALU_DEP_1)
	v_mad_u32_u24 v7, v9, s28, v11
	s_mov_b32 s28, exec_lo
	v_and_b32_e32 v7, 31, v7
	s_delay_alu instid0(VALU_DEP_1) | instskip(SKIP_1) | instid1(VALU_DEP_1)
	v_add_co_u32 v7, vcc_lo, v5, v7
	v_add_co_ci_u32_e32 v8, vcc_lo, 0, v6, vcc_lo
	v_cmpx_gt_i64_e64 s[16:17], v[7:8]
	s_cbranch_execz .LBB153_6
; %bb.5:                                ;   in Loop: Header=BB153_3 Depth=1
	v_lshlrev_b64 v[7:8], 2, v[7:8]
	s_delay_alu instid0(VALU_DEP_1) | instskip(NEXT) | instid1(VALU_DEP_2)
	v_add_co_u32 v7, vcc_lo, s6, v7
	v_add_co_ci_u32_e32 v8, vcc_lo, s7, v8, vcc_lo
	global_load_b32 v140, v[7:8], off
.LBB153_6:                              ;   in Loop: Header=BB153_3 Depth=1
	s_or_b32 exec_lo, exec_lo, s28
	v_cmp_gt_i64_e32 vcc_lo, s[16:17], v[5:6]
	v_mov_b32_e32 v7, 0
	s_and_b32 s29, s3, vcc_lo
	s_delay_alu instid0(SALU_CYCLE_1)
	s_and_saveexec_b32 s28, s29
	s_cbranch_execz .LBB153_8
; %bb.7:                                ;   in Loop: Header=BB153_3 Depth=1
	v_add_co_u32 v7, vcc_lo, v135, v3
	v_add_co_ci_u32_e32 v8, vcc_lo, v136, v4, vcc_lo
	v_add_co_u32 v142, vcc_lo, v137, v3
	v_add_co_ci_u32_e32 v143, vcc_lo, v138, v4, vcc_lo
	global_load_b32 v141, v[7:8], off
	global_load_b32 v7, v[142:143], off
.LBB153_8:                              ;   in Loop: Header=BB153_3 Depth=1
	s_or_b32 exec_lo, exec_lo, s28
	v_add_co_u32 v142, vcc_lo, v5, 1
	v_add_co_ci_u32_e32 v143, vcc_lo, 0, v6, vcc_lo
	v_mov_b32_e32 v8, 0
	s_delay_alu instid0(VALU_DEP_2) | instskip(SKIP_2) | instid1(SALU_CYCLE_1)
	v_cmp_gt_i64_e32 vcc_lo, s[16:17], v[142:143]
	v_dual_mov_b32 v143, 0 :: v_dual_mov_b32 v142, 0
	s_and_b32 s29, s3, vcc_lo
	s_and_saveexec_b32 s28, s29
	s_cbranch_execz .LBB153_10
; %bb.9:                                ;   in Loop: Header=BB153_3 Depth=1
	v_add_co_u32 v142, vcc_lo, v131, v3
	v_add_co_ci_u32_e32 v143, vcc_lo, v132, v4, vcc_lo
	v_add_co_u32 v144, vcc_lo, v133, v3
	v_add_co_ci_u32_e32 v145, vcc_lo, v134, v4, vcc_lo
	global_load_b32 v142, v[142:143], off
	global_load_b32 v143, v[144:145], off
.LBB153_10:                             ;   in Loop: Header=BB153_3 Depth=1
	s_or_b32 exec_lo, exec_lo, s28
	v_add_co_u32 v144, vcc_lo, v5, 2
	v_add_co_ci_u32_e32 v145, vcc_lo, 0, v6, vcc_lo
	s_delay_alu instid0(VALU_DEP_1) | instskip(SKIP_2) | instid1(SALU_CYCLE_1)
	v_cmp_gt_i64_e32 vcc_lo, s[16:17], v[144:145]
	v_mov_b32_e32 v145, 0
	s_and_b32 s29, s3, vcc_lo
	s_and_saveexec_b32 s28, s29
	s_cbranch_execz .LBB153_12
; %bb.11:                               ;   in Loop: Header=BB153_3 Depth=1
	v_add_co_u32 v144, vcc_lo, v127, v3
	v_add_co_ci_u32_e32 v145, vcc_lo, v128, v4, vcc_lo
	v_add_co_u32 v146, vcc_lo, v129, v3
	v_add_co_ci_u32_e32 v147, vcc_lo, v130, v4, vcc_lo
	global_load_b32 v8, v[144:145], off
	global_load_b32 v145, v[146:147], off
.LBB153_12:                             ;   in Loop: Header=BB153_3 Depth=1
	s_or_b32 exec_lo, exec_lo, s28
	v_add_co_u32 v146, vcc_lo, v5, 3
	v_add_co_ci_u32_e32 v147, vcc_lo, 0, v6, vcc_lo
	v_mov_b32_e32 v148, 0
	s_delay_alu instid0(VALU_DEP_2) | instskip(SKIP_2) | instid1(SALU_CYCLE_1)
	v_cmp_gt_i64_e32 vcc_lo, s[16:17], v[146:147]
	v_dual_mov_b32 v146, 0 :: v_dual_mov_b32 v147, 0
	s_and_b32 s29, s3, vcc_lo
	s_and_saveexec_b32 s28, s29
	s_cbranch_execz .LBB153_14
; %bb.13:                               ;   in Loop: Header=BB153_3 Depth=1
	v_add_co_u32 v147, vcc_lo, v123, v3
	v_add_co_ci_u32_e32 v148, vcc_lo, v124, v4, vcc_lo
	v_add_co_u32 v149, vcc_lo, v125, v3
	v_add_co_ci_u32_e32 v150, vcc_lo, v126, v4, vcc_lo
	global_load_b32 v147, v[147:148], off
	global_load_b32 v148, v[149:150], off
.LBB153_14:                             ;   in Loop: Header=BB153_3 Depth=1
	s_or_b32 exec_lo, exec_lo, s28
	v_add_co_u32 v149, vcc_lo, v5, 4
	v_add_co_ci_u32_e32 v150, vcc_lo, 0, v6, vcc_lo
	s_delay_alu instid0(VALU_DEP_1) | instskip(SKIP_2) | instid1(SALU_CYCLE_1)
	v_cmp_gt_i64_e32 vcc_lo, s[16:17], v[149:150]
	v_mov_b32_e32 v149, 0
	s_and_b32 s29, s3, vcc_lo
	s_and_saveexec_b32 s28, s29
	s_cbranch_execz .LBB153_16
; %bb.15:                               ;   in Loop: Header=BB153_3 Depth=1
	v_add_co_u32 v149, vcc_lo, v119, v3
	v_add_co_ci_u32_e32 v150, vcc_lo, v120, v4, vcc_lo
	v_add_co_u32 v151, vcc_lo, v121, v3
	v_add_co_ci_u32_e32 v152, vcc_lo, v122, v4, vcc_lo
	global_load_b32 v146, v[149:150], off
	global_load_b32 v149, v[151:152], off
.LBB153_16:                             ;   in Loop: Header=BB153_3 Depth=1
	s_or_b32 exec_lo, exec_lo, s28
	v_add_co_u32 v150, vcc_lo, v5, 5
	v_add_co_ci_u32_e32 v151, vcc_lo, 0, v6, vcc_lo
	v_mov_b32_e32 v152, 0
	s_delay_alu instid0(VALU_DEP_2) | instskip(SKIP_2) | instid1(SALU_CYCLE_1)
	v_cmp_gt_i64_e32 vcc_lo, s[16:17], v[150:151]
	v_dual_mov_b32 v150, 0 :: v_dual_mov_b32 v151, 0
	s_and_b32 s29, s3, vcc_lo
	s_and_saveexec_b32 s28, s29
	s_cbranch_execz .LBB153_18
; %bb.17:                               ;   in Loop: Header=BB153_3 Depth=1
	v_add_co_u32 v151, vcc_lo, v115, v3
	v_add_co_ci_u32_e32 v152, vcc_lo, v116, v4, vcc_lo
	v_add_co_u32 v153, vcc_lo, v117, v3
	v_add_co_ci_u32_e32 v154, vcc_lo, v118, v4, vcc_lo
	global_load_b32 v151, v[151:152], off
	global_load_b32 v152, v[153:154], off
.LBB153_18:                             ;   in Loop: Header=BB153_3 Depth=1
	;; [unrolled: 35-line block ×10, first 2 shown]
	s_or_b32 exec_lo, exec_lo, s28
	v_add_co_u32 v185, vcc_lo, v5, 22
	v_add_co_ci_u32_e32 v186, vcc_lo, 0, v6, vcc_lo
	s_delay_alu instid0(VALU_DEP_1) | instskip(SKIP_2) | instid1(SALU_CYCLE_1)
	v_cmp_gt_i64_e32 vcc_lo, s[16:17], v[185:186]
	v_mov_b32_e32 v185, 0
	s_and_b32 s29, s3, vcc_lo
	s_and_saveexec_b32 s28, s29
	s_cbranch_execz .LBB153_52
; %bb.51:                               ;   in Loop: Header=BB153_3 Depth=1
	v_add_co_u32 v185, vcc_lo, v48, v3
	v_add_co_ci_u32_e32 v186, vcc_lo, v49, v4, vcc_lo
	v_add_co_u32 v187, vcc_lo, v50, v3
	v_add_co_ci_u32_e32 v188, vcc_lo, v51, v4, vcc_lo
	global_load_b32 v182, v[185:186], off
	global_load_b32 v185, v[187:188], off
.LBB153_52:                             ;   in Loop: Header=BB153_3 Depth=1
	s_or_b32 exec_lo, exec_lo, s28
	v_add_co_u32 v186, vcc_lo, v5, 23
	v_add_co_ci_u32_e32 v187, vcc_lo, 0, v6, vcc_lo
	v_dual_mov_b32 v189, 0 :: v_dual_mov_b32 v188, 0
	s_delay_alu instid0(VALU_DEP_2) | instskip(SKIP_2) | instid1(SALU_CYCLE_1)
	v_cmp_gt_i64_e32 vcc_lo, s[16:17], v[186:187]
	v_mov_b32_e32 v187, 0
	s_and_b32 s29, s3, vcc_lo
	s_and_saveexec_b32 s28, s29
	s_cbranch_execz .LBB153_54
; %bb.53:                               ;   in Loop: Header=BB153_3 Depth=1
	v_add_co_u32 v188, vcc_lo, v44, v3
	v_add_co_ci_u32_e32 v189, vcc_lo, v45, v4, vcc_lo
	v_add_co_u32 v190, vcc_lo, v46, v3
	v_add_co_ci_u32_e32 v191, vcc_lo, v47, v4, vcc_lo
	global_load_b32 v188, v[188:189], off
	global_load_b32 v189, v[190:191], off
.LBB153_54:                             ;   in Loop: Header=BB153_3 Depth=1
	s_or_b32 exec_lo, exec_lo, s28
	v_add_co_u32 v190, vcc_lo, v5, 24
	v_add_co_ci_u32_e32 v191, vcc_lo, 0, v6, vcc_lo
	s_delay_alu instid0(VALU_DEP_1) | instskip(SKIP_2) | instid1(SALU_CYCLE_1)
	v_cmp_gt_i64_e32 vcc_lo, s[16:17], v[190:191]
	v_mov_b32_e32 v190, 0
	s_and_b32 s29, s3, vcc_lo
	s_and_saveexec_b32 s28, s29
	s_cbranch_execz .LBB153_56
; %bb.55:                               ;   in Loop: Header=BB153_3 Depth=1
	v_add_co_u32 v186, vcc_lo, v40, v3
	v_add_co_ci_u32_e32 v187, vcc_lo, v41, v4, vcc_lo
	v_add_co_u32 v190, vcc_lo, v42, v3
	v_add_co_ci_u32_e32 v191, vcc_lo, v43, v4, vcc_lo
	global_load_b32 v187, v[186:187], off
	global_load_b32 v190, v[190:191], off
.LBB153_56:                             ;   in Loop: Header=BB153_3 Depth=1
	s_or_b32 exec_lo, exec_lo, s28
	v_add_co_u32 v191, vcc_lo, v5, 25
	v_add_co_ci_u32_e32 v192, vcc_lo, 0, v6, vcc_lo
	v_mov_b32_e32 v193, 0
	s_delay_alu instid0(VALU_DEP_2) | instskip(SKIP_2) | instid1(SALU_CYCLE_1)
	v_cmp_gt_i64_e32 vcc_lo, s[16:17], v[191:192]
	v_dual_mov_b32 v191, 0 :: v_dual_mov_b32 v192, 0
	s_and_b32 s29, s3, vcc_lo
	s_and_saveexec_b32 s28, s29
	s_cbranch_execz .LBB153_58
; %bb.57:                               ;   in Loop: Header=BB153_3 Depth=1
	v_add_co_u32 v192, vcc_lo, v36, v3
	v_add_co_ci_u32_e32 v193, vcc_lo, v37, v4, vcc_lo
	v_add_co_u32 v194, vcc_lo, v38, v3
	v_add_co_ci_u32_e32 v195, vcc_lo, v39, v4, vcc_lo
	global_load_b32 v192, v[192:193], off
	global_load_b32 v193, v[194:195], off
.LBB153_58:                             ;   in Loop: Header=BB153_3 Depth=1
	s_or_b32 exec_lo, exec_lo, s28
	v_add_co_u32 v194, vcc_lo, v5, 26
	v_add_co_ci_u32_e32 v195, vcc_lo, 0, v6, vcc_lo
	s_delay_alu instid0(VALU_DEP_1) | instskip(SKIP_2) | instid1(SALU_CYCLE_1)
	v_cmp_gt_i64_e32 vcc_lo, s[16:17], v[194:195]
	v_mov_b32_e32 v194, 0
	s_and_b32 s29, s3, vcc_lo
	s_and_saveexec_b32 s28, s29
	s_cbranch_execz .LBB153_60
; %bb.59:                               ;   in Loop: Header=BB153_3 Depth=1
	v_add_co_u32 v194, vcc_lo, v32, v3
	v_add_co_ci_u32_e32 v195, vcc_lo, v33, v4, vcc_lo
	v_add_co_u32 v196, vcc_lo, v34, v3
	v_add_co_ci_u32_e32 v197, vcc_lo, v35, v4, vcc_lo
	global_load_b32 v191, v[194:195], off
	global_load_b32 v194, v[196:197], off
.LBB153_60:                             ;   in Loop: Header=BB153_3 Depth=1
	s_or_b32 exec_lo, exec_lo, s28
	v_add_co_u32 v195, vcc_lo, v5, 27
	v_add_co_ci_u32_e32 v196, vcc_lo, 0, v6, vcc_lo
	v_mov_b32_e32 v197, 0
	s_delay_alu instid0(VALU_DEP_2) | instskip(SKIP_2) | instid1(SALU_CYCLE_1)
	v_cmp_gt_i64_e32 vcc_lo, s[16:17], v[195:196]
	v_dual_mov_b32 v195, 0 :: v_dual_mov_b32 v196, 0
	;; [unrolled: 35-line block ×3, first 2 shown]
	s_and_b32 s29, s3, vcc_lo
	s_and_saveexec_b32 s28, s29
	s_cbranch_execz .LBB153_66
; %bb.65:                               ;   in Loop: Header=BB153_3 Depth=1
	v_add_co_u32 v200, vcc_lo, v20, v3
	v_add_co_ci_u32_e32 v201, vcc_lo, v21, v4, vcc_lo
	v_add_co_u32 v202, vcc_lo, v22, v3
	v_add_co_ci_u32_e32 v203, vcc_lo, v23, v4, vcc_lo
	global_load_b32 v200, v[200:201], off
	global_load_b32 v201, v[202:203], off
.LBB153_66:                             ;   in Loop: Header=BB153_3 Depth=1
	s_or_b32 exec_lo, exec_lo, s28
	v_add_co_u32 v202, vcc_lo, v5, 30
	v_add_co_ci_u32_e32 v203, vcc_lo, 0, v6, vcc_lo
	s_delay_alu instid0(VALU_DEP_1) | instskip(SKIP_2) | instid1(SALU_CYCLE_1)
	v_cmp_gt_i64_e32 vcc_lo, s[16:17], v[202:203]
	v_mov_b32_e32 v202, 0
	s_and_b32 s29, s3, vcc_lo
	s_and_saveexec_b32 s28, s29
	s_cbranch_execz .LBB153_68
; %bb.67:                               ;   in Loop: Header=BB153_3 Depth=1
	v_add_co_u32 v202, vcc_lo, v16, v3
	v_add_co_ci_u32_e32 v203, vcc_lo, v17, v4, vcc_lo
	v_add_co_u32 v204, vcc_lo, v18, v3
	v_add_co_ci_u32_e32 v205, vcc_lo, v19, v4, vcc_lo
	global_load_b32 v199, v[202:203], off
	global_load_b32 v202, v[204:205], off
.LBB153_68:                             ;   in Loop: Header=BB153_3 Depth=1
	s_or_b32 exec_lo, exec_lo, s28
	v_add_co_u32 v203, vcc_lo, v5, 31
	v_add_co_ci_u32_e32 v204, vcc_lo, 0, v6, vcc_lo
	v_mov_b32_e32 v186, 0
	s_delay_alu instid0(VALU_DEP_2) | instskip(SKIP_1) | instid1(SALU_CYCLE_1)
	v_cmp_gt_i64_e32 vcc_lo, s[16:17], v[203:204]
	s_and_b32 s29, s3, vcc_lo
	s_and_saveexec_b32 s28, s29
	s_cbranch_execz .LBB153_70
; %bb.69:                               ;   in Loop: Header=BB153_3 Depth=1
	v_add_co_u32 v203, vcc_lo, v1, v3
	v_add_co_ci_u32_e32 v204, vcc_lo, v13, v4, vcc_lo
	v_add_co_u32 v205, vcc_lo, v14, v3
	v_add_co_ci_u32_e32 v206, vcc_lo, v15, v4, vcc_lo
	global_load_b32 v144, v[203:204], off
	global_load_b32 v186, v[205:206], off
	s_waitcnt vmcnt(0)
	v_mul_f32_e32 v186, v144, v186
.LBB153_70:                             ;   in Loop: Header=BB153_3 Depth=1
	s_or_b32 exec_lo, exec_lo, s28
	s_waitcnt vmcnt(0)
	ds_bpermute_b32 v144, v2, v140
	ds_bpermute_b32 v203, v2, v140 offset:4
	ds_bpermute_b32 v204, v2, v140 offset:8
	v_mul_f32_e32 v7, v141, v7
	ds_bpermute_b32 v141, v2, v140 offset:12
	v_mul_f32_e32 v142, v142, v143
	ds_bpermute_b32 v143, v2, v140 offset:16
	s_waitcnt lgkmcnt(4)
	v_fma_f32 v144, v7, v144, v139
	v_mul_f32_e32 v7, v8, v145
	ds_bpermute_b32 v8, v2, v140 offset:20
	ds_bpermute_b32 v145, v2, v140 offset:24
	s_waitcnt lgkmcnt(5)
	v_fmac_f32_e32 v144, v142, v203
	v_mul_f32_e32 v142, v147, v148
	s_waitcnt lgkmcnt(4)
	s_delay_alu instid0(VALU_DEP_2)
	v_dual_fmac_f32 v144, v7, v204 :: v_dual_mul_f32 v7, v146, v149
	ds_bpermute_b32 v146, v2, v140 offset:28
	s_waitcnt lgkmcnt(4)
	v_dual_fmac_f32 v144, v142, v141 :: v_dual_mul_f32 v141, v151, v152
	ds_bpermute_b32 v142, v2, v140 offset:32
	s_waitcnt lgkmcnt(4)
	v_dual_fmac_f32 v144, v7, v143 :: v_dual_mul_f32 v7, v150, v153
	ds_bpermute_b32 v143, v2, v140 offset:36
	s_waitcnt lgkmcnt(4)
	v_fmac_f32_e32 v144, v141, v8
	v_mul_f32_e32 v8, v155, v156
	ds_bpermute_b32 v141, v2, v140 offset:40
	s_waitcnt lgkmcnt(4)
	v_fmac_f32_e32 v144, v7, v145
	v_mul_f32_e32 v7, v154, v157
	ds_bpermute_b32 v145, v2, v140 offset:44
	s_waitcnt lgkmcnt(4)
	;; [unrolled: 4-line block ×3, first 2 shown]
	v_dual_fmac_f32 v144, v7, v142 :: v_dual_mul_f32 v7, v158, v161
	ds_bpermute_b32 v142, v2, v140 offset:52
	s_waitcnt lgkmcnt(4)
	v_fmac_f32_e32 v144, v8, v143
	v_mul_f32_e32 v8, v163, v164
	ds_bpermute_b32 v143, v2, v140 offset:56
	s_waitcnt lgkmcnt(4)
	v_fmac_f32_e32 v144, v7, v141
	v_mul_f32_e32 v7, v162, v165
	;; [unrolled: 4-line block ×3, first 2 shown]
	ds_bpermute_b32 v145, v2, v140 offset:64
	s_waitcnt lgkmcnt(4)
	v_dual_fmac_f32 v144, v7, v146 :: v_dual_mul_f32 v7, v166, v169
	ds_bpermute_b32 v146, v2, v140 offset:68
	s_waitcnt lgkmcnt(4)
	v_fmac_f32_e32 v144, v8, v142
	v_mul_f32_e32 v8, v171, v172
	ds_bpermute_b32 v142, v2, v140 offset:72
	s_waitcnt lgkmcnt(4)
	v_dual_fmac_f32 v144, v7, v143 :: v_dual_mul_f32 v7, v170, v173
	ds_bpermute_b32 v143, v2, v140 offset:76
	s_waitcnt lgkmcnt(4)
	v_fmac_f32_e32 v144, v8, v141
	v_mul_f32_e32 v8, v175, v176
	ds_bpermute_b32 v141, v2, v140 offset:80
	s_waitcnt lgkmcnt(4)
	v_fmac_f32_e32 v144, v7, v145
	v_mul_f32_e32 v7, v174, v177
	ds_bpermute_b32 v145, v2, v140 offset:84
	s_waitcnt lgkmcnt(4)
	v_fmac_f32_e32 v144, v8, v146
	v_mul_f32_e32 v8, v179, v180
	ds_bpermute_b32 v146, v2, v140 offset:88
	s_waitcnt lgkmcnt(4)
	v_dual_fmac_f32 v144, v7, v142 :: v_dual_mul_f32 v7, v178, v181
	ds_bpermute_b32 v142, v2, v140 offset:92
	s_waitcnt lgkmcnt(4)
	v_fmac_f32_e32 v144, v8, v143
	v_mul_f32_e32 v8, v183, v184
	ds_bpermute_b32 v143, v2, v140 offset:96
	s_waitcnt lgkmcnt(4)
	v_fmac_f32_e32 v144, v7, v141
	v_mul_f32_e32 v7, v182, v185
	;; [unrolled: 4-line block ×9, first 2 shown]
	s_waitcnt lgkmcnt(3)
	s_delay_alu instid0(VALU_DEP_2) | instskip(SKIP_1) | instid1(VALU_DEP_1)
	v_fmac_f32_e32 v144, v145, v142
	s_waitcnt lgkmcnt(2)
	v_fmac_f32_e32 v144, v8, v143
	v_mul_f32_e32 v8, v199, v202
	s_waitcnt lgkmcnt(1)
	s_delay_alu instid0(VALU_DEP_1)
	v_fmac_f32_e32 v144, v8, v141
	s_branch .LBB153_137
.LBB153_71:                             ;   in Loop: Header=BB153_3 Depth=1
                                        ; implicit-def: $vgpr144
                                        ; implicit-def: $vgpr186
                                        ; implicit-def: $vgpr7
	s_cbranch_execz .LBB153_137
; %bb.72:                               ;   in Loop: Header=BB153_3 Depth=1
	s_load_b32 s28, s[10:11], 0x0
	v_mov_b32_e32 v8, 0
	s_waitcnt lgkmcnt(0)
	s_cmp_lt_u32 s14, s28
	s_cselect_b32 s28, 12, 18
	s_delay_alu instid0(SALU_CYCLE_1)
	s_add_u32 s28, s10, s28
	s_addc_u32 s29, s11, 0
	global_load_u16 v7, v2, s[28:29]
	s_mov_b32 s28, exec_lo
	s_waitcnt vmcnt(0)
	v_mad_u32_u24 v7, v9, v7, v11
	s_delay_alu instid0(VALU_DEP_1) | instskip(NEXT) | instid1(VALU_DEP_1)
	v_and_b32_e32 v7, 31, v7
	v_add_co_u32 v5, vcc_lo, v5, v7
	v_add_co_ci_u32_e32 v6, vcc_lo, 0, v6, vcc_lo
	v_mov_b32_e32 v7, 0
	s_delay_alu instid0(VALU_DEP_2)
	v_cmpx_gt_i64_e64 s[16:17], v[5:6]
	s_cbranch_execz .LBB153_74
; %bb.73:                               ;   in Loop: Header=BB153_3 Depth=1
	v_lshlrev_b64 v[5:6], 2, v[5:6]
	s_delay_alu instid0(VALU_DEP_1) | instskip(NEXT) | instid1(VALU_DEP_2)
	v_add_co_u32 v5, vcc_lo, s6, v5
	v_add_co_ci_u32_e32 v6, vcc_lo, s7, v6, vcc_lo
	global_load_b32 v7, v[5:6], off
.LBB153_74:                             ;   in Loop: Header=BB153_3 Depth=1
	s_or_b32 exec_lo, exec_lo, s28
	v_mov_b32_e32 v5, 0
	s_and_saveexec_b32 s28, s3
	s_cbranch_execz .LBB153_76
; %bb.75:                               ;   in Loop: Header=BB153_3 Depth=1
	v_add_co_u32 v5, vcc_lo, v135, v3
	v_add_co_ci_u32_e32 v6, vcc_lo, v136, v4, vcc_lo
	v_add_co_u32 v140, vcc_lo, v137, v3
	v_add_co_ci_u32_e32 v141, vcc_lo, v138, v4, vcc_lo
	global_load_b32 v8, v[5:6], off
	global_load_b32 v5, v[140:141], off
.LBB153_76:                             ;   in Loop: Header=BB153_3 Depth=1
	s_or_b32 exec_lo, exec_lo, s28
	v_dual_mov_b32 v6, 0 :: v_dual_mov_b32 v141, 0
	v_mov_b32_e32 v140, 0
	s_and_saveexec_b32 s28, s3
	s_cbranch_execz .LBB153_78
; %bb.77:                               ;   in Loop: Header=BB153_3 Depth=1
	v_add_co_u32 v140, vcc_lo, v131, v3
	v_add_co_ci_u32_e32 v141, vcc_lo, v132, v4, vcc_lo
	v_add_co_u32 v142, vcc_lo, v133, v3
	v_add_co_ci_u32_e32 v143, vcc_lo, v134, v4, vcc_lo
	global_load_b32 v140, v[140:141], off
	global_load_b32 v141, v[142:143], off
.LBB153_78:                             ;   in Loop: Header=BB153_3 Depth=1
	s_or_b32 exec_lo, exec_lo, s28
	v_mov_b32_e32 v142, 0
	s_and_saveexec_b32 s28, s3
	s_cbranch_execz .LBB153_80
; %bb.79:                               ;   in Loop: Header=BB153_3 Depth=1
	v_add_co_u32 v142, vcc_lo, v127, v3
	v_add_co_ci_u32_e32 v143, vcc_lo, v128, v4, vcc_lo
	v_add_co_u32 v144, vcc_lo, v129, v3
	v_add_co_ci_u32_e32 v145, vcc_lo, v130, v4, vcc_lo
	global_load_b32 v6, v[142:143], off
	global_load_b32 v142, v[144:145], off
.LBB153_80:                             ;   in Loop: Header=BB153_3 Depth=1
	s_or_b32 exec_lo, exec_lo, s28
	v_dual_mov_b32 v143, 0 :: v_dual_mov_b32 v144, 0
	v_mov_b32_e32 v145, 0
	s_and_saveexec_b32 s28, s3
	s_cbranch_execz .LBB153_82
; %bb.81:                               ;   in Loop: Header=BB153_3 Depth=1
	v_add_co_u32 v144, vcc_lo, v123, v3
	v_add_co_ci_u32_e32 v145, vcc_lo, v124, v4, vcc_lo
	v_add_co_u32 v146, vcc_lo, v125, v3
	v_add_co_ci_u32_e32 v147, vcc_lo, v126, v4, vcc_lo
	global_load_b32 v144, v[144:145], off
	global_load_b32 v145, v[146:147], off
.LBB153_82:                             ;   in Loop: Header=BB153_3 Depth=1
	;; [unrolled: 25-line block ×6, first 2 shown]
	s_or_b32 exec_lo, exec_lo, s28
	v_mov_b32_e32 v162, 0
	s_and_saveexec_b32 s28, s3
	s_cbranch_execz .LBB153_100
; %bb.99:                               ;   in Loop: Header=BB153_3 Depth=1
	v_add_co_u32 v162, vcc_lo, v0, v3
	v_add_co_ci_u32_e32 v163, vcc_lo, v88, v4, vcc_lo
	v_add_co_u32 v164, vcc_lo, v89, v3
	v_add_co_ci_u32_e32 v165, vcc_lo, v90, v4, vcc_lo
	global_load_b32 v159, v[162:163], off
	global_load_b32 v162, v[164:165], off
.LBB153_100:                            ;   in Loop: Header=BB153_3 Depth=1
	s_or_b32 exec_lo, exec_lo, s28
	v_dual_mov_b32 v163, 0 :: v_dual_mov_b32 v164, 0
	v_mov_b32_e32 v165, 0
	s_and_saveexec_b32 s28, s3
	s_cbranch_execz .LBB153_102
; %bb.101:                              ;   in Loop: Header=BB153_3 Depth=1
	v_add_co_u32 v164, vcc_lo, v84, v3
	v_add_co_ci_u32_e32 v165, vcc_lo, v85, v4, vcc_lo
	v_add_co_u32 v166, vcc_lo, v86, v3
	v_add_co_ci_u32_e32 v167, vcc_lo, v87, v4, vcc_lo
	global_load_b32 v164, v[164:165], off
	global_load_b32 v165, v[166:167], off
.LBB153_102:                            ;   in Loop: Header=BB153_3 Depth=1
	s_or_b32 exec_lo, exec_lo, s28
	v_mov_b32_e32 v166, 0
	s_and_saveexec_b32 s28, s3
	s_cbranch_execz .LBB153_104
; %bb.103:                              ;   in Loop: Header=BB153_3 Depth=1
	v_add_co_u32 v166, vcc_lo, v80, v3
	v_add_co_ci_u32_e32 v167, vcc_lo, v81, v4, vcc_lo
	v_add_co_u32 v168, vcc_lo, v82, v3
	v_add_co_ci_u32_e32 v169, vcc_lo, v83, v4, vcc_lo
	global_load_b32 v163, v[166:167], off
	global_load_b32 v166, v[168:169], off
.LBB153_104:                            ;   in Loop: Header=BB153_3 Depth=1
	s_or_b32 exec_lo, exec_lo, s28
	v_dual_mov_b32 v167, 0 :: v_dual_mov_b32 v168, 0
	v_mov_b32_e32 v169, 0
	s_and_saveexec_b32 s28, s3
	s_cbranch_execz .LBB153_106
; %bb.105:                              ;   in Loop: Header=BB153_3 Depth=1
	v_add_co_u32 v168, vcc_lo, v76, v3
	v_add_co_ci_u32_e32 v169, vcc_lo, v77, v4, vcc_lo
	v_add_co_u32 v170, vcc_lo, v78, v3
	v_add_co_ci_u32_e32 v171, vcc_lo, v79, v4, vcc_lo
	global_load_b32 v168, v[168:169], off
	global_load_b32 v169, v[170:171], off
.LBB153_106:                            ;   in Loop: Header=BB153_3 Depth=1
	s_or_b32 exec_lo, exec_lo, s28
	v_mov_b32_e32 v170, 0
	s_and_saveexec_b32 s28, s3
	s_cbranch_execz .LBB153_108
; %bb.107:                              ;   in Loop: Header=BB153_3 Depth=1
	v_add_co_u32 v170, vcc_lo, v72, v3
	v_add_co_ci_u32_e32 v171, vcc_lo, v73, v4, vcc_lo
	v_add_co_u32 v172, vcc_lo, v74, v3
	v_add_co_ci_u32_e32 v173, vcc_lo, v75, v4, vcc_lo
	global_load_b32 v167, v[170:171], off
	global_load_b32 v170, v[172:173], off
.LBB153_108:                            ;   in Loop: Header=BB153_3 Depth=1
	;; [unrolled: 25-line block ×8, first 2 shown]
	s_or_b32 exec_lo, exec_lo, s28
	v_dual_mov_b32 v196, 0 :: v_dual_mov_b32 v197, 0
	v_mov_b32_e32 v198, 0
	s_and_saveexec_b32 s28, s3
	s_cbranch_execnz .LBB153_139
; %bb.133:                              ;   in Loop: Header=BB153_3 Depth=1
	s_or_b32 exec_lo, exec_lo, s28
	v_mov_b32_e32 v199, 0
	s_and_saveexec_b32 s28, s3
	s_cbranch_execnz .LBB153_140
.LBB153_134:                            ;   in Loop: Header=BB153_3 Depth=1
	s_or_b32 exec_lo, exec_lo, s28
	v_mov_b32_e32 v186, 0
	s_and_saveexec_b32 s28, s3
	s_cbranch_execz .LBB153_136
.LBB153_135:                            ;   in Loop: Header=BB153_3 Depth=1
	v_add_co_u32 v200, vcc_lo, v1, v3
	v_add_co_ci_u32_e32 v201, vcc_lo, v13, v4, vcc_lo
	v_add_co_u32 v202, vcc_lo, v14, v3
	v_add_co_ci_u32_e32 v203, vcc_lo, v15, v4, vcc_lo
	global_load_b32 v186, v[200:201], off
	global_load_b32 v200, v[202:203], off
	s_waitcnt vmcnt(0)
	v_mul_f32_e32 v186, v186, v200
.LBB153_136:                            ;   in Loop: Header=BB153_3 Depth=1
	s_or_b32 exec_lo, exec_lo, s28
	s_waitcnt vmcnt(0)
	ds_bpermute_b32 v200, v2, v7
	ds_bpermute_b32 v201, v2, v7 offset:4
	ds_bpermute_b32 v202, v2, v7 offset:8
	v_mul_f32_e32 v5, v8, v5
	ds_bpermute_b32 v8, v2, v7 offset:12
	v_mul_f32_e32 v140, v140, v141
	ds_bpermute_b32 v141, v2, v7 offset:16
	s_waitcnt lgkmcnt(4)
	v_fmac_f32_e32 v139, v5, v200
	v_mul_f32_e32 v5, v6, v142
	ds_bpermute_b32 v6, v2, v7 offset:20
	ds_bpermute_b32 v142, v2, v7 offset:24
	s_waitcnt lgkmcnt(5)
	v_fmac_f32_e32 v139, v140, v201
	s_waitcnt lgkmcnt(4)
	s_delay_alu instid0(VALU_DEP_1)
	v_dual_mul_f32 v140, v144, v145 :: v_dual_fmac_f32 v139, v5, v202
	v_mul_f32_e32 v5, v143, v146
	ds_bpermute_b32 v143, v2, v7 offset:28
	s_waitcnt lgkmcnt(4)
	v_fmac_f32_e32 v139, v140, v8
	v_mul_f32_e32 v8, v148, v149
	ds_bpermute_b32 v140, v2, v7 offset:32
	s_waitcnt lgkmcnt(4)
	v_fmac_f32_e32 v139, v5, v141
	;; [unrolled: 4-line block ×4, first 2 shown]
	v_mul_f32_e32 v5, v151, v154
	ds_bpermute_b32 v142, v2, v7 offset:44
	s_waitcnt lgkmcnt(4)
	v_dual_fmac_f32 v139, v6, v143 :: v_dual_mul_f32 v6, v156, v157
	ds_bpermute_b32 v143, v2, v7 offset:48
	s_waitcnt lgkmcnt(4)
	v_fmac_f32_e32 v139, v5, v140
	v_mul_f32_e32 v5, v155, v158
	ds_bpermute_b32 v140, v2, v7 offset:52
	s_waitcnt lgkmcnt(4)
	v_fmac_f32_e32 v139, v6, v141
	v_mul_f32_e32 v6, v160, v161
	;; [unrolled: 4-line block ×3, first 2 shown]
	ds_bpermute_b32 v8, v2, v7 offset:60
	s_waitcnt lgkmcnt(4)
	v_dual_fmac_f32 v139, v6, v142 :: v_dual_mul_f32 v6, v164, v165
	ds_bpermute_b32 v142, v2, v7 offset:64
	s_waitcnt lgkmcnt(4)
	v_fmac_f32_e32 v139, v5, v143
	v_mul_f32_e32 v5, v163, v166
	ds_bpermute_b32 v143, v2, v7 offset:68
	s_waitcnt lgkmcnt(4)
	v_dual_fmac_f32 v139, v6, v140 :: v_dual_mul_f32 v6, v168, v169
	ds_bpermute_b32 v140, v2, v7 offset:72
	s_waitcnt lgkmcnt(4)
	v_fmac_f32_e32 v139, v5, v141
	v_mul_f32_e32 v5, v167, v170
	ds_bpermute_b32 v141, v2, v7 offset:76
	s_waitcnt lgkmcnt(4)
	v_dual_fmac_f32 v139, v6, v8 :: v_dual_mul_f32 v6, v172, v173
	ds_bpermute_b32 v8, v2, v7 offset:80
	s_waitcnt lgkmcnt(4)
	v_fmac_f32_e32 v139, v5, v142
	v_mul_f32_e32 v5, v171, v174
	ds_bpermute_b32 v142, v2, v7 offset:84
	s_waitcnt lgkmcnt(4)
	v_dual_fmac_f32 v139, v6, v143 :: v_dual_mul_f32 v6, v176, v177
	ds_bpermute_b32 v143, v2, v7 offset:88
	s_waitcnt lgkmcnt(4)
	v_fmac_f32_e32 v139, v5, v140
	v_mul_f32_e32 v5, v175, v178
	ds_bpermute_b32 v140, v2, v7 offset:92
	s_waitcnt lgkmcnt(4)
	v_fmac_f32_e32 v139, v6, v141
	v_mul_f32_e32 v6, v180, v181
	ds_bpermute_b32 v141, v2, v7 offset:96
	s_waitcnt lgkmcnt(4)
	v_fmac_f32_e32 v139, v5, v8
	v_mul_f32_e32 v5, v179, v182
	ds_bpermute_b32 v8, v2, v7 offset:100
	s_waitcnt lgkmcnt(4)
	v_dual_fmac_f32 v139, v6, v142 :: v_dual_mul_f32 v6, v184, v185
	ds_bpermute_b32 v142, v2, v7 offset:104
	s_waitcnt lgkmcnt(4)
	v_fmac_f32_e32 v139, v5, v143
	v_mul_f32_e32 v5, v183, v187
	ds_bpermute_b32 v143, v2, v7 offset:108
	s_waitcnt lgkmcnt(4)
	v_dual_fmac_f32 v139, v6, v140 :: v_dual_mul_f32 v6, v189, v190
	;; [unrolled: 7-line block ×3, first 2 shown]
	s_waitcnt lgkmcnt(3)
	s_delay_alu instid0(VALU_DEP_1)
	v_dual_mul_f32 v8, v192, v195 :: v_dual_fmac_f32 v139, v5, v142
	ds_bpermute_b32 v5, v2, v7 offset:120
	ds_bpermute_b32 v7, v2, v7 offset:124
	s_waitcnt lgkmcnt(4)
	v_dual_fmac_f32 v139, v6, v143 :: v_dual_mul_f32 v6, v197, v198
	s_waitcnt lgkmcnt(3)
	s_delay_alu instid0(VALU_DEP_1) | instskip(SKIP_1) | instid1(VALU_DEP_1)
	v_fmac_f32_e32 v139, v8, v140
	s_waitcnt lgkmcnt(2)
	v_dual_fmac_f32 v139, v6, v141 :: v_dual_mul_f32 v6, v196, v199
	s_waitcnt lgkmcnt(1)
	s_delay_alu instid0(VALU_DEP_1) | instskip(NEXT) | instid1(VALU_DEP_1)
	v_fmac_f32_e32 v139, v6, v5
	v_mov_b32_e32 v144, v139
.LBB153_137:                            ;   in Loop: Header=BB153_3 Depth=1
	v_add_co_u32 v1, vcc_lo, v1, s12
	v_add_co_ci_u32_e32 v13, vcc_lo, s13, v13, vcc_lo
	v_add_co_u32 v14, vcc_lo, v14, s12
	v_add_co_ci_u32_e32 v15, vcc_lo, s13, v15, vcc_lo
	;; [unrolled: 2-line block ×62, first 2 shown]
	v_add_co_u32 v135, vcc_lo, v135, s12
	s_add_u32 s24, s24, s27
	v_add_co_ci_u32_e32 v136, vcc_lo, s13, v136, vcc_lo
	s_addc_u32 s25, s25, 0
	v_add_co_u32 v137, vcc_lo, v137, s12
	v_add_co_ci_u32_e32 v138, vcc_lo, s13, v138, vcc_lo
	v_cmp_lt_i64_e64 s28, s[24:25], s[16:17]
	v_add_co_u32 v10, vcc_lo, v10, s27
	s_waitcnt lgkmcnt(0)
	v_fmac_f32_e32 v144, v186, v7
	v_add_co_ci_u32_e32 v12, vcc_lo, 0, v12, vcc_lo
	s_add_u32 s4, s4, s27
	s_addc_u32 s5, s5, 0
	s_and_b32 vcc_lo, exec_lo, s28
	s_cbranch_vccz .LBB153_142
; %bb.138:                              ;   in Loop: Header=BB153_3 Depth=1
	v_mov_b32_e32 v139, v144
	s_branch .LBB153_3
.LBB153_139:                            ;   in Loop: Header=BB153_3 Depth=1
	v_add_co_u32 v197, vcc_lo, v20, v3
	v_add_co_ci_u32_e32 v198, vcc_lo, v21, v4, vcc_lo
	v_add_co_u32 v199, vcc_lo, v22, v3
	v_add_co_ci_u32_e32 v200, vcc_lo, v23, v4, vcc_lo
	global_load_b32 v197, v[197:198], off
	global_load_b32 v198, v[199:200], off
	s_or_b32 exec_lo, exec_lo, s28
	v_mov_b32_e32 v199, 0
	s_and_saveexec_b32 s28, s3
	s_cbranch_execz .LBB153_134
.LBB153_140:                            ;   in Loop: Header=BB153_3 Depth=1
	v_add_co_u32 v199, vcc_lo, v16, v3
	v_add_co_ci_u32_e32 v200, vcc_lo, v17, v4, vcc_lo
	v_add_co_u32 v201, vcc_lo, v18, v3
	v_add_co_ci_u32_e32 v202, vcc_lo, v19, v4, vcc_lo
	global_load_b32 v196, v[199:200], off
	global_load_b32 v199, v[201:202], off
	s_or_b32 exec_lo, exec_lo, s28
	v_mov_b32_e32 v186, 0
	s_and_saveexec_b32 s28, s3
	s_cbranch_execnz .LBB153_135
	s_branch .LBB153_136
.LBB153_141:
                                        ; implicit-def: $vgpr144
	s_load_b64 s[4:5], s[0:1], 0x30
	s_branch .LBB153_143
.LBB153_142:
	s_load_b64 s[4:5], s[0:1], 0x30
	s_cbranch_execnz .LBB153_220
.LBB153_143:
	v_mov_b32_e32 v144, 0
	s_and_not1_b32 vcc_lo, exec_lo, s26
	s_cbranch_vccnz .LBB153_220
; %bb.144:
	v_bfe_u32 v7, v207, 10, 10
	s_add_u32 s10, s0, 64
	s_addc_u32 s11, s1, 0
	s_lshl_b64 s[12:13], s[8:9], 2
	s_delay_alu instid0(VALU_DEP_1) | instskip(NEXT) | instid1(VALU_DEP_1)
	v_lshlrev_b32_e32 v0, 7, v7
	v_add_co_u32 v121, s3, v0, s12
	s_delay_alu instid0(VALU_DEP_1) | instskip(NEXT) | instid1(VALU_DEP_2)
	v_add_co_ci_u32_e64 v122, null, 0, s13, s3
	v_add_co_u32 v11, vcc_lo, v121, 4
	s_delay_alu instid0(VALU_DEP_2) | instskip(SKIP_3) | instid1(VALU_DEP_4)
	v_add_co_ci_u32_e32 v0, vcc_lo, 0, v122, vcc_lo
	v_add_co_u32 v15, vcc_lo, v121, 8
	v_add_co_ci_u32_e32 v5, vcc_lo, 0, v122, vcc_lo
	v_add_co_u32 v19, vcc_lo, v121, 12
	v_mul_lo_u32 v18, s18, v0
	v_add_co_ci_u32_e32 v0, vcc_lo, 0, v122, vcc_lo
	v_add_co_u32 v24, vcc_lo, v121, 16
	v_add_co_ci_u32_e32 v9, vcc_lo, 0, v122, vcc_lo
	s_delay_alu instid0(VALU_DEP_3)
	v_mul_lo_u32 v22, s18, v0
	v_lshlrev_b32_e32 v0, 5, v7
	scratch_store_b32 off, v7, off offset:284 ; 4-byte Folded Spill
	v_add_co_u32 v25, vcc_lo, v121, 20
	v_mad_u64_u32 v[1:2], null, s18, v11, s[20:21]
	scratch_store_b32 off, v0, off          ; 4-byte Folded Spill
	v_add_co_u32 v0, s3, v0, s8
	s_delay_alu instid0(VALU_DEP_1) | instskip(SKIP_1) | instid1(VALU_DEP_3)
	v_add_co_ci_u32_e64 v133, null, 0, 0, s3
	v_mul_lo_u32 v17, s19, v11
	v_mul_lo_u32 v14, s19, v0
	v_mad_u64_u32 v[135:136], null, s18, v0, 0
	s_delay_alu instid0(VALU_DEP_4)
	v_mul_lo_u32 v16, s18, v133
	v_add_co_ci_u32_e32 v13, vcc_lo, 0, v122, vcc_lo
	v_mul_lo_u32 v26, s18, v9
	v_mad_u64_u32 v[9:10], null, s18, v11, s[22:23]
	v_mad_u64_u32 v[3:4], null, s18, v15, s[20:21]
	v_mul_lo_u32 v20, s18, v5
	v_mul_lo_u32 v21, s19, v15
	v_mad_u64_u32 v[5:6], null, s18, v19, s[20:21]
	v_mul_lo_u32 v23, s19, v19
	v_mul_lo_u32 v28, s18, v13
	v_add3_u32 v136, v136, v16, v14
	v_mad_u64_u32 v[13:14], null, s18, v15, s[22:23]
	v_mad_u64_u32 v[15:16], null, s18, v19, s[22:23]
	v_add3_u32 v2, v17, v2, v18
	v_mad_u64_u32 v[7:8], null, s18, v24, s[20:21]
	v_mul_lo_u32 v27, s19, v24
	v_add3_u32 v10, v17, v10, v18
	v_mad_u64_u32 v[17:18], null, s18, v24, s[22:23]
	v_add_co_u32 v30, vcc_lo, v121, 24
	v_add3_u32 v4, v21, v4, v20
	v_add3_u32 v6, v23, v6, v22
	v_mad_u64_u32 v[11:12], null, s18, v25, s[20:21]
	v_mul_lo_u32 v29, s19, v25
	v_add_co_ci_u32_e32 v31, vcc_lo, 0, v122, vcc_lo
	v_add3_u32 v14, v21, v14, v20
	v_add3_u32 v16, v23, v16, v22
	v_mad_u64_u32 v[21:22], null, s18, v25, s[22:23]
	v_mad_u64_u32 v[19:20], null, s18, v30, s[20:21]
	v_mul_lo_u32 v32, s19, v30
	v_mad_u64_u32 v[23:24], null, s18, v30, s[22:23]
	v_add_co_u32 v30, vcc_lo, v121, 28
	v_add3_u32 v8, v27, v8, v26
	v_add3_u32 v18, v27, v18, v26
	v_add_co_ci_u32_e32 v27, vcc_lo, 0, v122, vcc_lo
	v_mul_lo_u32 v31, s18, v31
	v_add3_u32 v12, v29, v12, v28
	v_add3_u32 v22, v29, v22, v28
	v_mad_u64_u32 v[25:26], null, s18, v30, s[20:21]
	v_mul_lo_u32 v29, s18, v27
	v_mul_lo_u32 v33, s19, v30
	v_mad_u64_u32 v[27:28], null, s18, v30, s[22:23]
	v_add_co_u32 v34, vcc_lo, v121, 32
	v_add_co_ci_u32_e32 v30, vcc_lo, 0, v122, vcc_lo
	v_add3_u32 v20, v32, v20, v31
	v_add3_u32 v24, v32, v24, v31
	;; [unrolled: 1-line block ×4, first 2 shown]
	v_mul_lo_u32 v33, s18, v30
	v_mul_lo_u32 v35, s19, v34
	v_mad_u64_u32 v[29:30], null, s18, v34, s[20:21]
	v_mad_u64_u32 v[31:32], null, s18, v34, s[22:23]
	v_add_co_u32 v37, vcc_lo, v121, 36
	v_lshlrev_b64 v[137:138], 2, v[135:136]
	s_load_b32 s3, s[0:1], 0x44
	s_delay_alu instid0(VALU_DEP_4) | instskip(NEXT) | instid1(VALU_DEP_3)
	v_add3_u32 v30, v35, v30, v33
	v_mul_lo_u32 v39, s19, v37
	v_add3_u32 v32, v35, v32, v33
	v_add_co_ci_u32_e32 v33, vcc_lo, 0, v122, vcc_lo
	v_mad_u64_u32 v[35:36], null, s18, v37, s[22:23]
	v_add_co_u32 v41, vcc_lo, v121, 40
	s_delay_alu instid0(VALU_DEP_3) | instskip(SKIP_2) | instid1(VALU_DEP_4)
	v_mul_lo_u32 v38, s18, v33
	v_mad_u64_u32 v[33:34], null, s18, v37, s[20:21]
	v_add_co_ci_u32_e32 v37, vcc_lo, 0, v122, vcc_lo
	v_mul_lo_u32 v43, s19, v41
	v_add_co_u32 v45, vcc_lo, v121, 44
	v_add3_u32 v36, v39, v36, v38
	v_add3_u32 v34, v39, v34, v38
	v_mul_lo_u32 v42, s18, v37
	v_mad_u64_u32 v[37:38], null, s18, v41, s[20:21]
	v_mad_u64_u32 v[39:40], null, s18, v41, s[22:23]
	v_add_co_ci_u32_e32 v41, vcc_lo, 0, v122, vcc_lo
	v_mul_lo_u32 v47, s19, v45
	v_add_co_u32 v49, vcc_lo, v121, 48
	v_add3_u32 v38, v43, v38, v42
	v_add3_u32 v40, v43, v40, v42
	v_mul_lo_u32 v46, s18, v41
	v_mad_u64_u32 v[41:42], null, s18, v45, s[20:21]
	;; [unrolled: 8-line block ×20, first 2 shown]
	v_mad_u64_u32 v[115:116], null, s18, v117, s[22:23]
	v_add_co_ci_u32_e32 v117, vcc_lo, 0, v122, vcc_lo
	v_mul_lo_u32 v125, s19, v123
	s_waitcnt lgkmcnt(0)
	s_lshl_b32 s3, s3, 5
	s_delay_alu instid0(VALU_DEP_4)
	v_add3_u32 v114, v119, v114, v118
	v_mul_lo_u32 v124, s18, v117
	v_add3_u32 v116, v119, v116, v118
	v_mad_u64_u32 v[117:118], null, s18, v123, s[20:21]
	v_mad_u64_u32 v[119:120], null, s18, v123, s[22:23]
	s_mul_i32 s12, s19, s3
	s_mul_hi_u32 s13, s18, s3
	s_delay_alu instid0(SALU_CYCLE_1) | instskip(NEXT) | instid1(VALU_DEP_2)
	s_add_i32 s13, s13, s12
	v_add3_u32 v118, v125, v118, v124
	s_mul_i32 s12, s18, s3
	s_delay_alu instid0(VALU_DEP_2) | instskip(SKIP_3) | instid1(VALU_DEP_2)
	v_add3_u32 v120, v125, v120, v124
	v_add_co_u32 v125, vcc_lo, 0x7c, v121
	v_add_co_ci_u32_e32 v121, vcc_lo, 0, v122, vcc_lo
	s_lshl_b64 s[12:13], s[12:13], 2
	v_mul_lo_u32 v127, s19, v125
	v_mad_u64_u32 v[123:124], null, s18, v125, s[22:23]
	s_delay_alu instid0(VALU_DEP_3) | instskip(SKIP_2) | instid1(VALU_DEP_3)
	v_mul_lo_u32 v126, s18, v121
	v_mad_u64_u32 v[121:122], null, s18, v125, s[20:21]
	v_add_co_u32 v125, vcc_lo, v0, 31
	v_add3_u32 v124, v127, v124, v126
	s_delay_alu instid0(VALU_DEP_3) | instskip(SKIP_1) | instid1(VALU_DEP_4)
	v_add3_u32 v122, v127, v122, v126
	v_add_co_ci_u32_e32 v126, vcc_lo, 0, v133, vcc_lo
	v_mul_lo_u32 v129, s19, v125
	v_mad_u64_u32 v[127:128], null, s18, v125, 0
	s_delay_alu instid0(VALU_DEP_3) | instskip(SKIP_1) | instid1(VALU_DEP_1)
	v_mul_lo_u32 v126, s18, v126
	v_add_co_u32 v125, vcc_lo, v0, 30
	v_mul_lo_u32 v131, s19, v125
	s_delay_alu instid0(VALU_DEP_3) | instskip(SKIP_3) | instid1(VALU_DEP_3)
	v_add3_u32 v128, v128, v126, v129
	v_add_co_ci_u32_e32 v126, vcc_lo, 0, v133, vcc_lo
	v_mad_u64_u32 v[129:130], null, s18, v125, 0
	v_add_co_u32 v125, vcc_lo, v0, 29
	v_mul_lo_u32 v126, s18, v126
	v_lshlrev_b64 v[127:128], 2, v[127:128]
	s_delay_alu instid0(VALU_DEP_3) | instskip(NEXT) | instid1(VALU_DEP_3)
	v_mul_lo_u32 v134, s19, v125
	v_add3_u32 v130, v130, v126, v131
	v_add_co_ci_u32_e32 v126, vcc_lo, 0, v133, vcc_lo
	v_mad_u64_u32 v[131:132], null, s18, v125, 0
	v_add_co_u32 v125, vcc_lo, v0, 28
	s_delay_alu instid0(VALU_DEP_3) | instskip(NEXT) | instid1(VALU_DEP_2)
	v_mul_lo_u32 v126, s18, v126
	v_mad_u64_u32 v[139:140], null, s18, v125, 0
	s_delay_alu instid0(VALU_DEP_2) | instskip(SKIP_3) | instid1(VALU_DEP_3)
	v_add3_u32 v132, v132, v126, v134
	v_add_co_ci_u32_e32 v126, vcc_lo, 0, v133, vcc_lo
	v_mul_lo_u32 v134, s19, v125
	v_add_co_u32 v125, vcc_lo, v0, 27
	v_mul_lo_u32 v126, s18, v126
	s_delay_alu instid0(VALU_DEP_2) | instskip(NEXT) | instid1(VALU_DEP_2)
	v_mad_u64_u32 v[141:142], null, s18, v125, 0
	v_add3_u32 v140, v140, v126, v134
	v_add_co_ci_u32_e32 v126, vcc_lo, 0, v133, vcc_lo
	v_mul_lo_u32 v134, s19, v125
	v_add_co_u32 v125, vcc_lo, v0, 26
	s_delay_alu instid0(VALU_DEP_3) | instskip(NEXT) | instid1(VALU_DEP_2)
	v_mul_lo_u32 v126, s18, v126
	v_mad_u64_u32 v[143:144], null, s18, v125, 0
	s_delay_alu instid0(VALU_DEP_2) | instskip(SKIP_3) | instid1(VALU_DEP_3)
	v_add3_u32 v142, v142, v126, v134
	v_add_co_ci_u32_e32 v126, vcc_lo, 0, v133, vcc_lo
	v_mul_lo_u32 v134, s19, v125
	v_add_co_u32 v125, vcc_lo, v0, 25
	v_mul_lo_u32 v126, s18, v126
	s_delay_alu instid0(VALU_DEP_2) | instskip(NEXT) | instid1(VALU_DEP_2)
	v_mad_u64_u32 v[145:146], null, s18, v125, 0
	v_add3_u32 v144, v144, v126, v134
	v_add_co_ci_u32_e32 v126, vcc_lo, 0, v133, vcc_lo
	v_mul_lo_u32 v134, s19, v125
	;; [unrolled: 15-line block ×13, first 2 shown]
	v_add_co_u32 v0, vcc_lo, v0, 2
	s_delay_alu instid0(VALU_DEP_3) | instskip(SKIP_1) | instid1(VALU_DEP_1)
	v_mul_lo_u32 v126, s18, v126
	v_add_co_ci_u32_e32 v125, vcc_lo, 0, v133, vcc_lo
	v_mul_lo_u32 v125, s18, v125
	s_delay_alu instid0(VALU_DEP_3) | instskip(SKIP_2) | instid1(VALU_DEP_1)
	v_add3_u32 v252, v252, v126, v134
	v_mul_lo_u32 v126, s19, v0
	v_mad_u64_u32 v[133:134], null, s18, v0, 0
	v_add3_u32 v134, v134, v125, v126
	v_add_co_u32 v125, vcc_lo, v135, s18
	v_add_co_ci_u32_e32 v126, vcc_lo, s19, v136, vcc_lo
	v_add_co_u32 v135, vcc_lo, s20, v137
	v_add_co_ci_u32_e32 v136, vcc_lo, s21, v138, vcc_lo
	;; [unrolled: 2-line block ×3, first 2 shown]
	v_add_co_u32 v0, vcc_lo, s20, v127
	v_lshlrev_b64 v[125:126], 2, v[125:126]
	scratch_store_b32 off, v0, off offset:4 ; 4-byte Folded Spill
	v_add_co_ci_u32_e32 v0, vcc_lo, s21, v128, vcc_lo
	scratch_store_b32 off, v0, off offset:8 ; 4-byte Folded Spill
	v_add_co_u32 v0, vcc_lo, s22, v127
	scratch_store_b32 off, v0, off offset:12 ; 4-byte Folded Spill
	v_add_co_ci_u32_e32 v0, vcc_lo, s23, v128, vcc_lo
	v_lshlrev_b64 v[127:128], 2, v[129:130]
	v_mov_b32_e32 v129, v207
	s_clause 0x1
	scratch_store_b32 off, v0, off offset:16
	scratch_store_b32 off, v129, off offset:292
	v_add_co_u32 v0, vcc_lo, s20, v127
	scratch_store_b32 off, v0, off offset:20 ; 4-byte Folded Spill
	v_add_co_ci_u32_e32 v0, vcc_lo, s21, v128, vcc_lo
	scratch_store_b32 off, v0, off offset:24 ; 4-byte Folded Spill
	v_add_co_u32 v0, vcc_lo, s22, v127
	scratch_store_b32 off, v0, off offset:28 ; 4-byte Folded Spill
	v_add_co_ci_u32_e32 v0, vcc_lo, s23, v128, vcc_lo
	v_lshlrev_b64 v[127:128], 2, v[131:132]
	scratch_store_b32 off, v0, off offset:32 ; 4-byte Folded Spill
	v_add_co_u32 v0, vcc_lo, s20, v127
	scratch_store_b32 off, v0, off offset:36 ; 4-byte Folded Spill
	v_add_co_ci_u32_e32 v0, vcc_lo, s21, v128, vcc_lo
	scratch_store_b32 off, v0, off offset:40 ; 4-byte Folded Spill
	v_add_co_u32 v0, vcc_lo, s22, v127
	scratch_store_b32 off, v0, off offset:44 ; 4-byte Folded Spill
	v_add_co_ci_u32_e32 v0, vcc_lo, s23, v128, vcc_lo
	v_lshlrev_b64 v[127:128], 2, v[139:140]
	scratch_store_b32 off, v0, off offset:48 ; 4-byte Folded Spill
	;; [unrolled: 9-line block ×4, first 2 shown]
	v_add_co_u32 v0, vcc_lo, s20, v127
	scratch_store_b32 off, v0, off offset:84 ; 4-byte Folded Spill
	v_add_co_ci_u32_e32 v0, vcc_lo, s21, v128, vcc_lo
	scratch_store_b32 off, v0, off offset:88 ; 4-byte Folded Spill
	v_add_co_u32 v0, vcc_lo, s22, v127
	scratch_store_b32 off, v0, off offset:92 ; 4-byte Folded Spill
	v_add_co_ci_u32_e32 v0, vcc_lo, s23, v128, vcc_lo
	v_lshlrev_b64 v[127:128], 2, v[145:146]
	v_mov_b32_e32 v145, 0
	scratch_store_b32 off, v0, off offset:96 ; 4-byte Folded Spill
	v_add_co_u32 v0, vcc_lo, s20, v127
	scratch_store_b32 off, v0, off offset:100 ; 4-byte Folded Spill
	v_add_co_ci_u32_e32 v0, vcc_lo, s21, v128, vcc_lo
	scratch_store_b32 off, v0, off offset:104 ; 4-byte Folded Spill
	v_add_co_u32 v0, vcc_lo, s22, v127
	scratch_store_b32 off, v0, off offset:108 ; 4-byte Folded Spill
	v_add_co_ci_u32_e32 v0, vcc_lo, s23, v128, vcc_lo
	v_lshlrev_b64 v[127:128], 2, v[147:148]
	scratch_store_b32 off, v0, off offset:112 ; 4-byte Folded Spill
	v_add_co_u32 v0, vcc_lo, s20, v127
	scratch_store_b32 off, v0, off offset:116 ; 4-byte Folded Spill
	v_add_co_ci_u32_e32 v0, vcc_lo, s21, v128, vcc_lo
	scratch_store_b32 off, v0, off offset:120 ; 4-byte Folded Spill
	v_add_co_u32 v0, vcc_lo, s22, v127
	scratch_store_b32 off, v0, off offset:124 ; 4-byte Folded Spill
	v_add_co_ci_u32_e32 v0, vcc_lo, s23, v128, vcc_lo
	v_lshlrev_b64 v[127:128], 2, v[149:150]
	;; [unrolled: 9-line block ×4, first 2 shown]
	scratch_store_b32 off, v0, off offset:160 ; 4-byte Folded Spill
	v_add_co_u32 v0, vcc_lo, s20, v127
	v_add_co_ci_u32_e32 v180, vcc_lo, s21, v128, vcc_lo
	v_add_co_u32 v181, vcc_lo, s22, v127
	scratch_store_b32 off, v0, off offset:164 ; 4-byte Folded Spill
	v_add_co_ci_u32_e32 v0, vcc_lo, s23, v128, vcc_lo
	v_lshlrev_b64 v[127:128], 2, v[155:156]
	scratch_store_b32 off, v0, off offset:168 ; 4-byte Folded Spill
	v_add_co_u32 v0, vcc_lo, s20, v127
	v_add_co_ci_u32_e32 v184, vcc_lo, s21, v128, vcc_lo
	v_add_co_u32 v185, vcc_lo, s22, v127
	v_add_co_ci_u32_e32 v186, vcc_lo, s23, v128, vcc_lo
	v_lshlrev_b64 v[127:128], 2, v[157:158]
	scratch_store_b32 off, v0, off offset:172 ; 4-byte Folded Spill
	v_add_co_u32 v187, vcc_lo, s20, v127
	v_add_co_ci_u32_e32 v188, vcc_lo, s21, v128, vcc_lo
	v_add_co_u32 v189, vcc_lo, s22, v127
	v_add_co_ci_u32_e32 v190, vcc_lo, s23, v128, vcc_lo
	v_lshlrev_b64 v[127:128], 2, v[159:160]
	s_delay_alu instid0(VALU_DEP_1) | instskip(NEXT) | instid1(VALU_DEP_2)
	v_add_co_u32 v191, vcc_lo, s20, v127
	v_add_co_ci_u32_e32 v192, vcc_lo, s21, v128, vcc_lo
	v_add_co_u32 v193, vcc_lo, s22, v127
	v_add_co_ci_u32_e32 v194, vcc_lo, s23, v128, vcc_lo
	v_lshlrev_b64 v[127:128], 2, v[161:162]
	s_delay_alu instid0(VALU_DEP_1) | instskip(NEXT) | instid1(VALU_DEP_2)
	;; [unrolled: 6-line block ×17, first 2 shown]
	v_add_co_u32 v255, vcc_lo, s20, v127
	v_add_co_ci_u32_e32 v133, vcc_lo, s21, v128, vcc_lo
	v_add_co_u32 v0, vcc_lo, s22, v127
	v_add_co_ci_u32_e32 v134, vcc_lo, s23, v128, vcc_lo
	;; [unrolled: 2-line block ×3, first 2 shown]
	v_add_co_u32 v141, vcc_lo, s22, v125
	v_and_b32_e32 v125, 0x3ff, v129
	v_add_co_ci_u32_e32 v142, vcc_lo, s23, v126, vcc_lo
	v_mov_b32_e32 v126, 0
	s_mov_b64 s[20:21], 31
	scratch_store_b32 off, v125, off offset:288 ; 4-byte Folded Spill
	v_add_nc_u32_e32 v125, s15, v125
	s_mov_b64 s[22:23], s[8:9]
	v_mov_b32_e32 v143, v126
	s_delay_alu instid0(VALU_DEP_2)
	v_lshlrev_b64 v[127:128], 2, v[125:126]
.LBB153_145:                            ; =>This Inner Loop Header: Depth=1
	scratch_load_b32 v125, off, off         ; 4-byte Folded Reload
	s_add_u32 s24, s8, s20
	s_addc_u32 s25, 0, s21
	s_delay_alu instid0(SALU_CYCLE_1) | instskip(SKIP_3) | instid1(VALU_DEP_3)
	v_cmp_ge_i64_e64 s9, s[24:25], s[16:17]
	s_waitcnt vmcnt(0)
	v_add_co_u32 v129, vcc_lo, s8, v125
	v_add_co_ci_u32_e32 v130, vcc_lo, 0, v143, vcc_lo
	s_and_b32 vcc_lo, exec_lo, s9
	s_cbranch_vccz .LBB153_213
; %bb.146:                              ;   in Loop: Header=BB153_145 Depth=1
	s_load_b32 s9, s[10:11], 0xc
	s_clause 0x1
	scratch_load_b32 v125, off, off offset:284
	scratch_load_b32 v131, off, off offset:288
	v_mov_b32_e32 v176, 0
	s_waitcnt lgkmcnt(0)
	s_and_b32 s9, s9, 0xffff
	s_waitcnt vmcnt(0)
	v_mad_u32_u24 v125, v125, s9, v131
	s_mov_b32 s9, exec_lo
	s_delay_alu instid0(VALU_DEP_1) | instskip(NEXT) | instid1(VALU_DEP_1)
	v_and_b32_e32 v125, 31, v125
	v_add_co_u32 v131, vcc_lo, v129, v125
	v_add_co_ci_u32_e32 v132, vcc_lo, 0, v130, vcc_lo
	v_mov_b32_e32 v125, 0
	s_delay_alu instid0(VALU_DEP_2)
	v_cmpx_gt_i64_e64 s[16:17], v[131:132]
	s_cbranch_execz .LBB153_148
; %bb.147:                              ;   in Loop: Header=BB153_145 Depth=1
	v_lshlrev_b64 v[131:132], 2, v[131:132]
	s_delay_alu instid0(VALU_DEP_1) | instskip(NEXT) | instid1(VALU_DEP_2)
	v_add_co_u32 v131, vcc_lo, s6, v131
	v_add_co_ci_u32_e32 v132, vcc_lo, s7, v132, vcc_lo
	global_load_b32 v125, v[131:132], off
.LBB153_148:                            ;   in Loop: Header=BB153_145 Depth=1
	s_or_b32 exec_lo, exec_lo, s9
	v_mov_b32_e32 v177, 0
	s_mov_b32 s9, exec_lo
	v_cmpx_gt_i64_e64 s[16:17], v[129:130]
	s_cbranch_execz .LBB153_150
; %bb.149:                              ;   in Loop: Header=BB153_145 Depth=1
	v_add_co_u32 v131, vcc_lo, v135, v127
	v_add_co_ci_u32_e32 v132, vcc_lo, v136, v128, vcc_lo
	v_add_co_u32 v146, vcc_lo, v137, v127
	v_add_co_ci_u32_e32 v147, vcc_lo, v138, v128, vcc_lo
	global_load_b32 v176, v[131:132], off
	global_load_b32 v177, v[146:147], off
.LBB153_150:                            ;   in Loop: Header=BB153_145 Depth=1
	s_or_b32 exec_lo, exec_lo, s9
	v_add_co_u32 v131, vcc_lo, v129, 1
	v_add_co_ci_u32_e32 v132, vcc_lo, 0, v130, vcc_lo
	v_dual_mov_b32 v178, 0 :: v_dual_mov_b32 v179, 0
	v_mov_b32_e32 v144, 0
	s_mov_b32 s9, exec_lo
	s_delay_alu instid0(VALU_DEP_3)
	v_cmpx_gt_i64_e64 s[16:17], v[131:132]
	s_cbranch_execz .LBB153_152
; %bb.151:                              ;   in Loop: Header=BB153_145 Depth=1
	v_add_co_u32 v131, vcc_lo, v139, v127
	v_add_co_ci_u32_e32 v132, vcc_lo, v140, v128, vcc_lo
	v_add_co_u32 v146, vcc_lo, v141, v127
	v_add_co_ci_u32_e32 v147, vcc_lo, v142, v128, vcc_lo
	global_load_b32 v179, v[131:132], off
	global_load_b32 v144, v[146:147], off
.LBB153_152:                            ;   in Loop: Header=BB153_145 Depth=1
	s_or_b32 exec_lo, exec_lo, s9
	v_add_co_u32 v131, vcc_lo, v129, 2
	v_add_co_ci_u32_e32 v132, vcc_lo, 0, v130, vcc_lo
	v_mov_b32_e32 v175, 0
	s_mov_b32 s9, exec_lo
	s_delay_alu instid0(VALU_DEP_2)
	v_cmpx_gt_i64_e64 s[16:17], v[131:132]
	s_cbranch_execz .LBB153_154
; %bb.153:                              ;   in Loop: Header=BB153_145 Depth=1
	v_add_co_u32 v131, vcc_lo, v255, v127
	v_add_co_ci_u32_e32 v132, vcc_lo, v133, v128, vcc_lo
	v_add_co_u32 v146, vcc_lo, v0, v127
	v_add_co_ci_u32_e32 v147, vcc_lo, v134, v128, vcc_lo
	global_load_b32 v178, v[131:132], off
	global_load_b32 v175, v[146:147], off
.LBB153_154:                            ;   in Loop: Header=BB153_145 Depth=1
	s_or_b32 exec_lo, exec_lo, s9
	v_add_co_u32 v131, vcc_lo, v129, 3
	v_add_co_ci_u32_e32 v132, vcc_lo, 0, v130, vcc_lo
	v_dual_mov_b32 v182, 0 :: v_dual_mov_b32 v183, 0
	s_delay_alu instid0(VALU_DEP_2)
	v_cmp_gt_i64_e32 vcc_lo, s[16:17], v[131:132]
	v_mov_b32_e32 v131, 0
	scratch_store_b32 off, v131, off offset:176 ; 4-byte Folded Spill
	s_and_saveexec_b32 s9, vcc_lo
	s_cbranch_execz .LBB153_156
; %bb.155:                              ;   in Loop: Header=BB153_145 Depth=1
	v_add_co_u32 v131, vcc_lo, v251, v127
	v_add_co_ci_u32_e32 v132, vcc_lo, v252, v128, vcc_lo
	v_add_co_u32 v146, vcc_lo, v253, v127
	v_add_co_ci_u32_e32 v147, vcc_lo, v254, v128, vcc_lo
	global_load_b32 v183, v[131:132], off
	global_load_b32 v131, v[146:147], off
	s_waitcnt vmcnt(0)
	scratch_store_b32 off, v131, off offset:176 ; 4-byte Folded Spill
.LBB153_156:                            ;   in Loop: Header=BB153_145 Depth=1
	s_or_b32 exec_lo, exec_lo, s9
	v_add_co_u32 v131, vcc_lo, v129, 4
	v_add_co_ci_u32_e32 v132, vcc_lo, 0, v130, vcc_lo
	s_delay_alu instid0(VALU_DEP_1)
	v_cmp_gt_i64_e32 vcc_lo, s[16:17], v[131:132]
	v_mov_b32_e32 v131, 0
	scratch_store_b32 off, v131, off offset:180 ; 4-byte Folded Spill
	s_and_saveexec_b32 s9, vcc_lo
	s_cbranch_execz .LBB153_158
; %bb.157:                              ;   in Loop: Header=BB153_145 Depth=1
	v_add_co_u32 v131, vcc_lo, v247, v127
	v_add_co_ci_u32_e32 v132, vcc_lo, v248, v128, vcc_lo
	v_add_co_u32 v146, vcc_lo, v249, v127
	v_add_co_ci_u32_e32 v147, vcc_lo, v250, v128, vcc_lo
	global_load_b32 v182, v[131:132], off
	global_load_b32 v131, v[146:147], off
	s_waitcnt vmcnt(0)
	scratch_store_b32 off, v131, off offset:180 ; 4-byte Folded Spill
.LBB153_158:                            ;   in Loop: Header=BB153_145 Depth=1
	s_or_b32 exec_lo, exec_lo, s9
	v_add_co_u32 v131, vcc_lo, v129, 5
	v_add_co_ci_u32_e32 v132, vcc_lo, 0, v130, vcc_lo
	v_mov_b32_e32 v146, 0
	s_delay_alu instid0(VALU_DEP_2)
	v_cmp_gt_i64_e32 vcc_lo, s[16:17], v[131:132]
	v_mov_b32_e32 v131, 0
	s_clause 0x1
	scratch_store_b32 off, v146, off offset:184
	scratch_store_b32 off, v131, off offset:188
	v_mov_b32_e32 v131, 0
	scratch_store_b32 off, v131, off offset:192 ; 4-byte Folded Spill
	s_and_saveexec_b32 s9, vcc_lo
	s_cbranch_execz .LBB153_160
; %bb.159:                              ;   in Loop: Header=BB153_145 Depth=1
	v_add_co_u32 v131, vcc_lo, v243, v127
	v_add_co_ci_u32_e32 v132, vcc_lo, v244, v128, vcc_lo
	v_add_co_u32 v146, vcc_lo, v245, v127
	v_add_co_ci_u32_e32 v147, vcc_lo, v246, v128, vcc_lo
	global_load_b32 v131, v[131:132], off
	s_waitcnt vmcnt(0)
	scratch_store_b32 off, v131, off offset:188 ; 4-byte Folded Spill
	global_load_b32 v131, v[146:147], off
	s_waitcnt vmcnt(0)
	scratch_store_b32 off, v131, off offset:192 ; 4-byte Folded Spill
.LBB153_160:                            ;   in Loop: Header=BB153_145 Depth=1
	s_or_b32 exec_lo, exec_lo, s9
	v_add_co_u32 v131, vcc_lo, v129, 6
	v_add_co_ci_u32_e32 v132, vcc_lo, 0, v130, vcc_lo
	s_delay_alu instid0(VALU_DEP_1)
	v_cmp_gt_i64_e32 vcc_lo, s[16:17], v[131:132]
	v_mov_b32_e32 v131, 0
	scratch_store_b32 off, v131, off offset:196 ; 4-byte Folded Spill
	s_and_saveexec_b32 s9, vcc_lo
	s_cbranch_execz .LBB153_162
; %bb.161:                              ;   in Loop: Header=BB153_145 Depth=1
	v_add_co_u32 v131, vcc_lo, v239, v127
	v_add_co_ci_u32_e32 v132, vcc_lo, v240, v128, vcc_lo
	v_add_co_u32 v146, vcc_lo, v241, v127
	v_add_co_ci_u32_e32 v147, vcc_lo, v242, v128, vcc_lo
	global_load_b32 v131, v[131:132], off
	s_waitcnt vmcnt(0)
	scratch_store_b32 off, v131, off offset:184 ; 4-byte Folded Spill
	global_load_b32 v131, v[146:147], off
	s_waitcnt vmcnt(0)
	scratch_store_b32 off, v131, off offset:196 ; 4-byte Folded Spill
.LBB153_162:                            ;   in Loop: Header=BB153_145 Depth=1
	s_or_b32 exec_lo, exec_lo, s9
	v_add_co_u32 v131, vcc_lo, v129, 7
	v_add_co_ci_u32_e32 v132, vcc_lo, 0, v130, vcc_lo
	v_mov_b32_e32 v146, 0
	s_delay_alu instid0(VALU_DEP_2)
	v_cmp_gt_i64_e32 vcc_lo, s[16:17], v[131:132]
	v_mov_b32_e32 v131, 0
	s_clause 0x1
	scratch_store_b32 off, v146, off offset:200
	scratch_store_b32 off, v131, off offset:204
	v_mov_b32_e32 v131, 0
	scratch_store_b32 off, v131, off offset:208 ; 4-byte Folded Spill
	s_and_saveexec_b32 s9, vcc_lo
	s_cbranch_execz .LBB153_164
; %bb.163:                              ;   in Loop: Header=BB153_145 Depth=1
	v_add_co_u32 v131, vcc_lo, v235, v127
	v_add_co_ci_u32_e32 v132, vcc_lo, v236, v128, vcc_lo
	v_add_co_u32 v146, vcc_lo, v237, v127
	v_add_co_ci_u32_e32 v147, vcc_lo, v238, v128, vcc_lo
	global_load_b32 v131, v[131:132], off
	s_waitcnt vmcnt(0)
	scratch_store_b32 off, v131, off offset:204 ; 4-byte Folded Spill
	global_load_b32 v131, v[146:147], off
	s_waitcnt vmcnt(0)
	scratch_store_b32 off, v131, off offset:208 ; 4-byte Folded Spill
.LBB153_164:                            ;   in Loop: Header=BB153_145 Depth=1
	s_or_b32 exec_lo, exec_lo, s9
	v_add_co_u32 v131, vcc_lo, v129, 8
	v_add_co_ci_u32_e32 v132, vcc_lo, 0, v130, vcc_lo
	s_delay_alu instid0(VALU_DEP_1)
	v_cmp_gt_i64_e32 vcc_lo, s[16:17], v[131:132]
	v_mov_b32_e32 v131, 0
	scratch_store_b32 off, v131, off offset:212 ; 4-byte Folded Spill
	s_and_saveexec_b32 s9, vcc_lo
	s_cbranch_execz .LBB153_166
; %bb.165:                              ;   in Loop: Header=BB153_145 Depth=1
	v_add_co_u32 v131, vcc_lo, v231, v127
	v_add_co_ci_u32_e32 v132, vcc_lo, v232, v128, vcc_lo
	v_add_co_u32 v146, vcc_lo, v233, v127
	v_add_co_ci_u32_e32 v147, vcc_lo, v234, v128, vcc_lo
	global_load_b32 v131, v[131:132], off
	s_waitcnt vmcnt(0)
	scratch_store_b32 off, v131, off offset:200 ; 4-byte Folded Spill
	global_load_b32 v131, v[146:147], off
	s_waitcnt vmcnt(0)
	scratch_store_b32 off, v131, off offset:212 ; 4-byte Folded Spill
.LBB153_166:                            ;   in Loop: Header=BB153_145 Depth=1
	;; [unrolled: 47-line block ×6, first 2 shown]
	s_or_b32 exec_lo, exec_lo, s9
	v_add_co_u32 v146, vcc_lo, v129, 17
	v_add_co_ci_u32_e32 v147, vcc_lo, 0, v130, vcc_lo
	v_dual_mov_b32 v131, 0 :: v_dual_mov_b32 v132, 0
	s_delay_alu instid0(VALU_DEP_2)
	v_cmp_gt_i64_e32 vcc_lo, s[16:17], v[146:147]
	v_mov_b32_e32 v146, 0
	scratch_store_b32 off, v131, off offset:280 ; 4-byte Folded Spill
	s_and_saveexec_b32 s9, vcc_lo
	s_cbranch_execz .LBB153_184
; %bb.183:                              ;   in Loop: Header=BB153_145 Depth=1
	v_add_co_u32 v146, vcc_lo, v195, v127
	v_add_co_ci_u32_e32 v147, vcc_lo, v196, v128, vcc_lo
	v_add_co_u32 v148, vcc_lo, v197, v127
	v_add_co_ci_u32_e32 v149, vcc_lo, v198, v128, vcc_lo
	global_load_b32 v132, v[146:147], off
	global_load_b32 v146, v[148:149], off
.LBB153_184:                            ;   in Loop: Header=BB153_145 Depth=1
	s_or_b32 exec_lo, exec_lo, s9
	v_add_co_u32 v147, vcc_lo, v129, 18
	v_add_co_ci_u32_e32 v148, vcc_lo, 0, v130, vcc_lo
	s_delay_alu instid0(VALU_DEP_1)
	v_cmp_gt_i64_e32 vcc_lo, s[16:17], v[147:148]
	v_mov_b32_e32 v147, 0
	s_and_saveexec_b32 s9, vcc_lo
	s_cbranch_execz .LBB153_186
; %bb.185:                              ;   in Loop: Header=BB153_145 Depth=1
	v_add_co_u32 v147, vcc_lo, v191, v127
	v_add_co_ci_u32_e32 v148, vcc_lo, v192, v128, vcc_lo
	v_add_co_u32 v149, vcc_lo, v193, v127
	v_add_co_ci_u32_e32 v150, vcc_lo, v194, v128, vcc_lo
	global_load_b32 v131, v[147:148], off
	global_load_b32 v147, v[149:150], off
	s_waitcnt vmcnt(1)
	scratch_store_b32 off, v131, off offset:280 ; 4-byte Folded Spill
.LBB153_186:                            ;   in Loop: Header=BB153_145 Depth=1
	s_or_b32 exec_lo, exec_lo, s9
	v_add_co_u32 v149, vcc_lo, v129, 19
	v_add_co_ci_u32_e32 v150, vcc_lo, 0, v130, vcc_lo
	v_mov_b32_e32 v148, 0
	s_delay_alu instid0(VALU_DEP_2)
	v_cmp_gt_i64_e32 vcc_lo, s[16:17], v[149:150]
	v_dual_mov_b32 v149, 0 :: v_dual_mov_b32 v150, 0
	s_and_saveexec_b32 s9, vcc_lo
	s_cbranch_execz .LBB153_188
; %bb.187:                              ;   in Loop: Header=BB153_145 Depth=1
	v_add_co_u32 v149, vcc_lo, v187, v127
	v_add_co_ci_u32_e32 v150, vcc_lo, v188, v128, vcc_lo
	v_add_co_u32 v151, vcc_lo, v189, v127
	v_add_co_ci_u32_e32 v152, vcc_lo, v190, v128, vcc_lo
	global_load_b32 v149, v[149:150], off
	global_load_b32 v150, v[151:152], off
.LBB153_188:                            ;   in Loop: Header=BB153_145 Depth=1
	s_or_b32 exec_lo, exec_lo, s9
	v_add_co_u32 v151, vcc_lo, v129, 20
	v_add_co_ci_u32_e32 v152, vcc_lo, 0, v130, vcc_lo
	s_delay_alu instid0(VALU_DEP_1)
	v_cmp_gt_i64_e32 vcc_lo, s[16:17], v[151:152]
	v_mov_b32_e32 v151, 0
	s_and_saveexec_b32 s9, vcc_lo
	s_cbranch_execz .LBB153_190
; %bb.189:                              ;   in Loop: Header=BB153_145 Depth=1
	scratch_load_b32 v131, off, off offset:172 ; 4-byte Folded Reload
	s_waitcnt vmcnt(0)
	v_add_co_u32 v151, vcc_lo, v131, v127
	v_add_co_ci_u32_e32 v152, vcc_lo, v184, v128, vcc_lo
	v_add_co_u32 v153, vcc_lo, v185, v127
	v_add_co_ci_u32_e32 v154, vcc_lo, v186, v128, vcc_lo
	global_load_b32 v148, v[151:152], off
	global_load_b32 v151, v[153:154], off
.LBB153_190:                            ;   in Loop: Header=BB153_145 Depth=1
	s_or_b32 exec_lo, exec_lo, s9
	v_add_co_u32 v153, vcc_lo, v129, 21
	v_add_co_ci_u32_e32 v154, vcc_lo, 0, v130, vcc_lo
	v_mov_b32_e32 v152, 0
	s_delay_alu instid0(VALU_DEP_2)
	v_cmp_gt_i64_e32 vcc_lo, s[16:17], v[153:154]
	v_dual_mov_b32 v153, 0 :: v_dual_mov_b32 v154, 0
	s_and_saveexec_b32 s9, vcc_lo
	s_cbranch_execz .LBB153_192
; %bb.191:                              ;   in Loop: Header=BB153_145 Depth=1
	s_clause 0x1
	scratch_load_b32 v153, off, off offset:164
	scratch_load_b32 v131, off, off offset:168
	s_waitcnt vmcnt(1)
	v_add_co_u32 v153, vcc_lo, v153, v127
	v_add_co_ci_u32_e32 v154, vcc_lo, v180, v128, vcc_lo
	v_add_co_u32 v155, vcc_lo, v181, v127
	s_waitcnt vmcnt(0)
	v_add_co_ci_u32_e32 v156, vcc_lo, v131, v128, vcc_lo
	global_load_b32 v153, v[153:154], off
	global_load_b32 v154, v[155:156], off
.LBB153_192:                            ;   in Loop: Header=BB153_145 Depth=1
	s_or_b32 exec_lo, exec_lo, s9
	v_add_co_u32 v155, vcc_lo, v129, 22
	v_add_co_ci_u32_e32 v156, vcc_lo, 0, v130, vcc_lo
	s_delay_alu instid0(VALU_DEP_1)
	v_cmp_gt_i64_e32 vcc_lo, s[16:17], v[155:156]
	v_mov_b32_e32 v155, 0
	s_and_saveexec_b32 s9, vcc_lo
	s_cbranch_execz .LBB153_194
; %bb.193:                              ;   in Loop: Header=BB153_145 Depth=1
	scratch_load_b32 v152, off, off offset:148 ; 4-byte Folded Reload
	s_waitcnt vmcnt(0)
	v_add_co_u32 v155, vcc_lo, v152, v127
	scratch_load_b32 v152, off, off offset:152 ; 4-byte Folded Reload
	s_waitcnt vmcnt(0)
	v_add_co_ci_u32_e32 v156, vcc_lo, v152, v128, vcc_lo
	scratch_load_b32 v152, off, off offset:156 ; 4-byte Folded Reload
	s_waitcnt vmcnt(0)
	v_add_co_u32 v157, vcc_lo, v152, v127
	scratch_load_b32 v152, off, off offset:160 ; 4-byte Folded Reload
	s_waitcnt vmcnt(0)
	v_add_co_ci_u32_e32 v158, vcc_lo, v152, v128, vcc_lo
	global_load_b32 v152, v[155:156], off
	global_load_b32 v155, v[157:158], off
.LBB153_194:                            ;   in Loop: Header=BB153_145 Depth=1
	s_or_b32 exec_lo, exec_lo, s9
	v_add_co_u32 v157, vcc_lo, v129, 23
	v_add_co_ci_u32_e32 v158, vcc_lo, 0, v130, vcc_lo
	v_mov_b32_e32 v156, 0
	s_delay_alu instid0(VALU_DEP_2)
	v_cmp_gt_i64_e32 vcc_lo, s[16:17], v[157:158]
	v_dual_mov_b32 v157, 0 :: v_dual_mov_b32 v158, 0
	s_and_saveexec_b32 s9, vcc_lo
	s_cbranch_execz .LBB153_196
; %bb.195:                              ;   in Loop: Header=BB153_145 Depth=1
	s_clause 0x3
	scratch_load_b32 v157, off, off offset:132
	scratch_load_b32 v158, off, off offset:136
	scratch_load_b32 v159, off, off offset:140
	scratch_load_b32 v160, off, off offset:144
	s_waitcnt vmcnt(3)
	v_add_co_u32 v157, vcc_lo, v157, v127
	s_waitcnt vmcnt(2)
	v_add_co_ci_u32_e32 v158, vcc_lo, v158, v128, vcc_lo
	s_waitcnt vmcnt(1)
	v_add_co_u32 v159, vcc_lo, v159, v127
	s_waitcnt vmcnt(0)
	v_add_co_ci_u32_e32 v160, vcc_lo, v160, v128, vcc_lo
	global_load_b32 v157, v[157:158], off
	global_load_b32 v158, v[159:160], off
.LBB153_196:                            ;   in Loop: Header=BB153_145 Depth=1
	s_or_b32 exec_lo, exec_lo, s9
	v_add_co_u32 v159, vcc_lo, v129, 24
	v_add_co_ci_u32_e32 v160, vcc_lo, 0, v130, vcc_lo
	s_delay_alu instid0(VALU_DEP_1)
	v_cmp_gt_i64_e32 vcc_lo, s[16:17], v[159:160]
	v_mov_b32_e32 v159, 0
	s_and_saveexec_b32 s9, vcc_lo
	s_cbranch_execz .LBB153_198
; %bb.197:                              ;   in Loop: Header=BB153_145 Depth=1
	scratch_load_b32 v156, off, off offset:116 ; 4-byte Folded Reload
	s_waitcnt vmcnt(0)
	v_add_co_u32 v159, vcc_lo, v156, v127
	scratch_load_b32 v156, off, off offset:120 ; 4-byte Folded Reload
	s_waitcnt vmcnt(0)
	v_add_co_ci_u32_e32 v160, vcc_lo, v156, v128, vcc_lo
	scratch_load_b32 v156, off, off offset:124 ; 4-byte Folded Reload
	s_waitcnt vmcnt(0)
	v_add_co_u32 v161, vcc_lo, v156, v127
	scratch_load_b32 v156, off, off offset:128 ; 4-byte Folded Reload
	s_waitcnt vmcnt(0)
	v_add_co_ci_u32_e32 v162, vcc_lo, v156, v128, vcc_lo
	global_load_b32 v156, v[159:160], off
	global_load_b32 v159, v[161:162], off
.LBB153_198:                            ;   in Loop: Header=BB153_145 Depth=1
	s_or_b32 exec_lo, exec_lo, s9
	v_add_co_u32 v161, vcc_lo, v129, 25
	v_add_co_ci_u32_e32 v162, vcc_lo, 0, v130, vcc_lo
	v_mov_b32_e32 v160, 0
	s_delay_alu instid0(VALU_DEP_2)
	v_cmp_gt_i64_e32 vcc_lo, s[16:17], v[161:162]
	v_dual_mov_b32 v161, 0 :: v_dual_mov_b32 v162, 0
	s_and_saveexec_b32 s9, vcc_lo
	s_cbranch_execz .LBB153_200
; %bb.199:                              ;   in Loop: Header=BB153_145 Depth=1
	s_clause 0x3
	scratch_load_b32 v161, off, off offset:100
	scratch_load_b32 v162, off, off offset:104
	scratch_load_b32 v163, off, off offset:108
	scratch_load_b32 v164, off, off offset:112
	s_waitcnt vmcnt(3)
	v_add_co_u32 v161, vcc_lo, v161, v127
	s_waitcnt vmcnt(2)
	v_add_co_ci_u32_e32 v162, vcc_lo, v162, v128, vcc_lo
	s_waitcnt vmcnt(1)
	v_add_co_u32 v163, vcc_lo, v163, v127
	s_waitcnt vmcnt(0)
	v_add_co_ci_u32_e32 v164, vcc_lo, v164, v128, vcc_lo
	global_load_b32 v161, v[161:162], off
	global_load_b32 v162, v[163:164], off
.LBB153_200:                            ;   in Loop: Header=BB153_145 Depth=1
	;; [unrolled: 50-line block ×4, first 2 shown]
	s_or_b32 exec_lo, exec_lo, s9
	v_add_co_u32 v171, vcc_lo, v129, 30
	v_add_co_ci_u32_e32 v172, vcc_lo, 0, v130, vcc_lo
	s_delay_alu instid0(VALU_DEP_1)
	v_cmp_gt_i64_e32 vcc_lo, s[16:17], v[171:172]
	v_mov_b32_e32 v171, 0
	s_and_saveexec_b32 s9, vcc_lo
	s_cbranch_execz .LBB153_210
; %bb.209:                              ;   in Loop: Header=BB153_145 Depth=1
	scratch_load_b32 v168, off, off offset:20 ; 4-byte Folded Reload
	s_waitcnt vmcnt(0)
	v_add_co_u32 v171, vcc_lo, v168, v127
	scratch_load_b32 v168, off, off offset:24 ; 4-byte Folded Reload
	s_waitcnt vmcnt(0)
	v_add_co_ci_u32_e32 v172, vcc_lo, v168, v128, vcc_lo
	scratch_load_b32 v168, off, off offset:28 ; 4-byte Folded Reload
	s_waitcnt vmcnt(0)
	v_add_co_u32 v173, vcc_lo, v168, v127
	scratch_load_b32 v168, off, off offset:32 ; 4-byte Folded Reload
	s_waitcnt vmcnt(0)
	v_add_co_ci_u32_e32 v174, vcc_lo, v168, v128, vcc_lo
	global_load_b32 v168, v[171:172], off
	global_load_b32 v171, v[173:174], off
.LBB153_210:                            ;   in Loop: Header=BB153_145 Depth=1
	s_or_b32 exec_lo, exec_lo, s9
	v_add_co_u32 v172, vcc_lo, v129, 31
	v_add_co_ci_u32_e32 v173, vcc_lo, 0, v130, vcc_lo
	s_delay_alu instid0(VALU_DEP_1)
	v_cmp_gt_i64_e32 vcc_lo, s[16:17], v[172:173]
	v_mov_b32_e32 v172, 0
	s_and_saveexec_b32 s9, vcc_lo
	s_cbranch_execz .LBB153_212
; %bb.211:                              ;   in Loop: Header=BB153_145 Depth=1
	s_clause 0x2
	scratch_load_b32 v172, off, off offset:4
	scratch_load_b32 v173, off, off offset:8
	;; [unrolled: 1-line block ×3, first 2 shown]
	v_mov_b32_e32 v131, v181
	v_mov_b32_e32 v181, v180
	s_waitcnt vmcnt(3)
	v_mov_b32_e32 v180, v144
	v_dual_mov_b32 v144, v179 :: v_dual_mov_b32 v179, v178
	v_dual_mov_b32 v178, v177 :: v_dual_mov_b32 v177, v176
	v_mov_b32_e32 v176, v175
	scratch_load_b32 v175, off, off offset:16 ; 4-byte Folded Reload
	s_waitcnt vmcnt(3)
	v_add_co_u32 v172, vcc_lo, v172, v127
	s_waitcnt vmcnt(2)
	v_add_co_ci_u32_e32 v173, vcc_lo, v173, v128, vcc_lo
	s_waitcnt vmcnt(1)
	v_add_co_u32 v174, vcc_lo, v174, v127
	s_waitcnt vmcnt(0)
	v_add_co_ci_u32_e32 v175, vcc_lo, v175, v128, vcc_lo
	global_load_b32 v172, v[172:173], off
	global_load_b32 v173, v[174:175], off
	v_dual_mov_b32 v175, v176 :: v_dual_mov_b32 v176, v177
	v_dual_mov_b32 v177, v178 :: v_dual_mov_b32 v178, v179
	v_mov_b32_e32 v179, v144
	v_mov_b32_e32 v144, v180
	v_dual_mov_b32 v180, v181 :: v_dual_mov_b32 v181, v131
	s_waitcnt vmcnt(0)
	v_mul_f32_e32 v172, v172, v173
.LBB153_212:                            ;   in Loop: Header=BB153_145 Depth=1
	s_or_b32 exec_lo, exec_lo, s9
	scratch_load_b32 v131, off, off offset:176 ; 4-byte Folded Reload
	s_waitcnt vmcnt(1)
	v_dual_mul_f32 v173, v176, v177 :: v_dual_mul_f32 v174, v179, v144
	ds_bpermute_b32 v144, v126, v125
	ds_bpermute_b32 v176, v126, v125 offset:60
	ds_bpermute_b32 v179, v126, v125 offset:72
	v_mul_f32_e32 v132, v132, v146
	ds_bpermute_b32 v146, v126, v125 offset:80
	s_waitcnt lgkmcnt(3)
	v_fma_f32 v144, v173, v144, v145
	ds_bpermute_b32 v173, v126, v125 offset:4
	s_waitcnt lgkmcnt(0)
	v_fmac_f32_e32 v144, v174, v173
	ds_bpermute_b32 v174, v126, v125 offset:8
	v_mul_f32_e32 v173, v178, v175
	ds_bpermute_b32 v178, v126, v125 offset:64
	s_waitcnt lgkmcnt(1)
	v_fmac_f32_e32 v144, v173, v174
	ds_bpermute_b32 v174, v126, v125 offset:12
	s_waitcnt vmcnt(0)
	v_mul_f32_e32 v173, v183, v131
	scratch_load_b32 v131, off, off offset:180 ; 4-byte Folded Reload
	s_waitcnt lgkmcnt(0)
	v_fmac_f32_e32 v144, v173, v174
	ds_bpermute_b32 v174, v126, v125 offset:16
	s_waitcnt vmcnt(0)
	v_mul_f32_e32 v173, v182, v131
	s_waitcnt lgkmcnt(0)
	s_delay_alu instid0(VALU_DEP_1)
	v_fmac_f32_e32 v144, v173, v174
	s_clause 0x1
	scratch_load_b32 v131, off, off offset:188
	scratch_load_b32 v173, off, off offset:192
	ds_bpermute_b32 v174, v126, v125 offset:20
	s_waitcnt vmcnt(0)
	v_mul_f32_e32 v173, v131, v173
	s_waitcnt lgkmcnt(0)
	s_delay_alu instid0(VALU_DEP_1)
	v_fmac_f32_e32 v144, v173, v174
	s_clause 0x1
	scratch_load_b32 v131, off, off offset:184
	scratch_load_b32 v173, off, off offset:196
	;; [unrolled: 9-line block ×8, first 2 shown]
	ds_bpermute_b32 v174, v126, v125 offset:48
	s_waitcnt vmcnt(0)
	v_mul_f32_e32 v173, v131, v173
	s_clause 0x1
	scratch_load_b32 v131, off, off offset:252
	scratch_load_b32 v175, off, off offset:256
	s_waitcnt vmcnt(0)
	v_mul_f32_e32 v175, v131, v175
	s_clause 0x1
	scratch_load_b32 v131, off, off offset:244
	scratch_load_b32 v177, off, off offset:260
	s_waitcnt lgkmcnt(0)
	v_fmac_f32_e32 v144, v173, v174
	ds_bpermute_b32 v173, v126, v125 offset:52
	ds_bpermute_b32 v174, v126, v125 offset:56
	s_waitcnt vmcnt(0)
	v_mul_f32_e32 v177, v131, v177
	s_waitcnt lgkmcnt(1)
	v_fmac_f32_e32 v144, v175, v173
	s_clause 0x1
	scratch_load_b32 v131, off, off offset:268
	scratch_load_b32 v175, off, off offset:272
	ds_bpermute_b32 v173, v126, v125 offset:68
	s_waitcnt lgkmcnt(1)
	v_fmac_f32_e32 v144, v177, v174
	ds_bpermute_b32 v177, v126, v125 offset:76
	s_waitcnt vmcnt(0)
	v_mul_f32_e32 v175, v131, v175
	s_clause 0x1
	scratch_load_b32 v131, off, off offset:264
	scratch_load_b32 v174, off, off offset:276
	v_fmac_f32_e32 v144, v175, v176
	s_waitcnt vmcnt(0)
	v_mul_f32_e32 v174, v131, v174
	scratch_load_b32 v131, off, off offset:280 ; 4-byte Folded Reload
	s_waitcnt vmcnt(0)
	v_dual_fmac_f32 v144, v174, v178 :: v_dual_mul_f32 v131, v131, v147
	ds_bpermute_b32 v147, v126, v125 offset:84
	s_waitcnt lgkmcnt(2)
	v_fmac_f32_e32 v144, v132, v173
	v_mul_f32_e32 v132, v149, v150
	ds_bpermute_b32 v149, v126, v125 offset:88
	ds_bpermute_b32 v150, v126, v125 offset:96
	v_fmac_f32_e32 v144, v131, v179
	v_mul_f32_e32 v131, v148, v151
	ds_bpermute_b32 v148, v126, v125 offset:92
	s_waitcnt lgkmcnt(4)
	v_fmac_f32_e32 v144, v132, v177
	v_mul_f32_e32 v132, v153, v154
	s_delay_alu instid0(VALU_DEP_2)
	v_dual_fmac_f32 v144, v131, v146 :: v_dual_mul_f32 v131, v152, v155
	ds_bpermute_b32 v146, v126, v125 offset:100
	s_waitcnt lgkmcnt(4)
	v_fmac_f32_e32 v144, v132, v147
	v_mul_f32_e32 v132, v157, v158
	ds_bpermute_b32 v147, v126, v125 offset:104
	s_waitcnt lgkmcnt(4)
	v_dual_fmac_f32 v144, v131, v149 :: v_dual_mul_f32 v131, v156, v159
	ds_bpermute_b32 v149, v126, v125 offset:108
	s_waitcnt lgkmcnt(3)
	v_fmac_f32_e32 v144, v132, v148
	v_mul_f32_e32 v132, v161, v162
	ds_bpermute_b32 v148, v126, v125 offset:112
	v_dual_fmac_f32 v144, v131, v150 :: v_dual_mul_f32 v131, v160, v163
	ds_bpermute_b32 v150, v126, v125 offset:116
	s_waitcnt lgkmcnt(4)
	v_fmac_f32_e32 v144, v132, v146
	v_mul_f32_e32 v132, v165, v166
	v_mul_f32_e32 v146, v164, v167
	s_waitcnt lgkmcnt(3)
	s_delay_alu instid0(VALU_DEP_3)
	v_fmac_f32_e32 v144, v131, v147
	ds_bpermute_b32 v131, v126, v125 offset:120
	ds_bpermute_b32 v125, v126, v125 offset:124
	s_waitcnt lgkmcnt(4)
	v_fmac_f32_e32 v144, v132, v149
	v_mul_f32_e32 v132, v169, v170
	s_waitcnt lgkmcnt(3)
	s_delay_alu instid0(VALU_DEP_2) | instskip(SKIP_1) | instid1(VALU_DEP_1)
	v_fmac_f32_e32 v144, v146, v148
	s_waitcnt lgkmcnt(2)
	v_fmac_f32_e32 v144, v132, v150
	v_mul_f32_e32 v132, v168, v171
	s_waitcnt lgkmcnt(1)
	s_delay_alu instid0(VALU_DEP_1) | instskip(SKIP_1) | instid1(VALU_DEP_1)
	v_fmac_f32_e32 v144, v132, v131
	s_waitcnt lgkmcnt(0)
	v_fmac_f32_e32 v144, v172, v125
	s_branch .LBB153_217
.LBB153_213:                            ;   in Loop: Header=BB153_145 Depth=1
                                        ; implicit-def: $vgpr144
	s_cbranch_execz .LBB153_217
; %bb.214:                              ;   in Loop: Header=BB153_145 Depth=1
	s_load_b32 s9, s[10:11], 0x0
	s_waitcnt lgkmcnt(0)
	s_cmp_lt_u32 s14, s9
	s_cselect_b32 s9, 12, 18
	s_delay_alu instid0(SALU_CYCLE_1)
	s_add_u32 s24, s10, s9
	s_addc_u32 s25, s11, 0
	s_mov_b32 s9, exec_lo
	global_load_u16 v125, v126, s[24:25]
	s_clause 0x1
	scratch_load_b32 v131, off, off offset:284
	scratch_load_b32 v132, off, off offset:288
	s_waitcnt vmcnt(0)
	v_mad_u32_u24 v125, v131, v125, v132
	s_delay_alu instid0(VALU_DEP_1) | instskip(NEXT) | instid1(VALU_DEP_1)
	v_and_b32_e32 v125, 31, v125
	v_add_co_u32 v129, vcc_lo, v129, v125
	v_add_co_ci_u32_e32 v130, vcc_lo, 0, v130, vcc_lo
	v_mov_b32_e32 v125, 0
	s_delay_alu instid0(VALU_DEP_2)
	v_cmpx_gt_i64_e64 s[16:17], v[129:130]
	s_cbranch_execz .LBB153_216
; %bb.215:                              ;   in Loop: Header=BB153_145 Depth=1
	v_lshlrev_b64 v[129:130], 2, v[129:130]
	s_delay_alu instid0(VALU_DEP_1) | instskip(NEXT) | instid1(VALU_DEP_2)
	v_add_co_u32 v129, vcc_lo, s6, v129
	v_add_co_ci_u32_e32 v130, vcc_lo, s7, v130, vcc_lo
	global_load_b32 v125, v[129:130], off
.LBB153_216:                            ;   in Loop: Header=BB153_145 Depth=1
	s_or_b32 exec_lo, exec_lo, s9
	v_add_co_u32 v129, vcc_lo, v135, v127
	v_add_co_ci_u32_e32 v130, vcc_lo, v136, v128, vcc_lo
	global_load_b32 v131, v[129:130], off
	v_add_co_u32 v129, vcc_lo, v137, v127
	v_add_co_ci_u32_e32 v130, vcc_lo, v138, v128, vcc_lo
	global_load_b32 v129, v[129:130], off
	s_waitcnt vmcnt(2)
	ds_bpermute_b32 v130, v126, v125
	s_waitcnt vmcnt(0)
	v_mul_f32_e32 v129, v131, v129
	s_waitcnt lgkmcnt(0)
	s_delay_alu instid0(VALU_DEP_1)
	v_fmac_f32_e32 v145, v129, v130
	v_add_co_u32 v129, vcc_lo, v1, v127
	v_add_co_ci_u32_e32 v130, vcc_lo, v2, v128, vcc_lo
	global_load_b32 v131, v[129:130], off
	v_add_co_u32 v129, vcc_lo, v9, v127
	v_add_co_ci_u32_e32 v130, vcc_lo, v10, v128, vcc_lo
	global_load_b32 v129, v[129:130], off
	ds_bpermute_b32 v130, v126, v125 offset:4
	s_waitcnt vmcnt(0)
	v_mul_f32_e32 v129, v131, v129
	s_waitcnt lgkmcnt(0)
	s_delay_alu instid0(VALU_DEP_1)
	v_fmac_f32_e32 v145, v129, v130
	v_add_co_u32 v129, vcc_lo, v3, v127
	v_add_co_ci_u32_e32 v130, vcc_lo, v4, v128, vcc_lo
	global_load_b32 v131, v[129:130], off
	v_add_co_u32 v129, vcc_lo, v13, v127
	v_add_co_ci_u32_e32 v130, vcc_lo, v14, v128, vcc_lo
	global_load_b32 v129, v[129:130], off
	ds_bpermute_b32 v130, v126, v125 offset:8
	;; [unrolled: 12-line block ×30, first 2 shown]
	ds_bpermute_b32 v125, v126, v125 offset:124
	s_waitcnt vmcnt(0)
	v_mul_f32_e32 v129, v131, v129
	s_waitcnt lgkmcnt(1)
	s_delay_alu instid0(VALU_DEP_1)
	v_fmac_f32_e32 v145, v129, v130
	v_add_co_u32 v129, vcc_lo, v121, v127
	v_add_co_ci_u32_e32 v130, vcc_lo, v122, v128, vcc_lo
	global_load_b32 v131, v[129:130], off
	v_add_co_u32 v129, vcc_lo, v123, v127
	v_add_co_ci_u32_e32 v130, vcc_lo, v124, v128, vcc_lo
	global_load_b32 v129, v[129:130], off
	s_waitcnt vmcnt(0)
	v_mul_f32_e32 v129, v131, v129
	s_waitcnt lgkmcnt(0)
	s_delay_alu instid0(VALU_DEP_1) | instskip(NEXT) | instid1(VALU_DEP_1)
	v_fmac_f32_e32 v145, v129, v125
	v_mov_b32_e32 v144, v145
.LBB153_217:                            ;   in Loop: Header=BB153_145 Depth=1
	scratch_load_b32 v125, off, off         ; 4-byte Folded Reload
	v_add_co_u32 v1, vcc_lo, v1, s12
	v_add_co_ci_u32_e32 v2, vcc_lo, s13, v2, vcc_lo
	v_add_co_u32 v3, vcc_lo, v3, s12
	v_add_co_ci_u32_e32 v4, vcc_lo, s13, v4, vcc_lo
	;; [unrolled: 2-line block ×64, first 2 shown]
	s_add_u32 s22, s22, s3
	s_addc_u32 s23, s23, 0
	s_add_u32 s20, s20, s3
	v_cmp_ge_i64_e64 s9, s[22:23], s[16:17]
	s_addc_u32 s21, s21, 0
	s_waitcnt vmcnt(0)
	v_add_co_u32 v125, vcc_lo, v125, s3
	v_add_co_ci_u32_e32 v143, vcc_lo, 0, v143, vcc_lo
	scratch_store_b32 off, v125, off        ; 4-byte Folded Spill
	scratch_load_b32 v125, off, off offset:4 ; 4-byte Folded Reload
	s_waitcnt vmcnt(0)
	v_add_co_u32 v125, vcc_lo, v125, s12
	scratch_store_b32 off, v125, off offset:4 ; 4-byte Folded Spill
	scratch_load_b32 v125, off, off offset:8 ; 4-byte Folded Reload
	s_waitcnt vmcnt(0)
	v_add_co_ci_u32_e32 v125, vcc_lo, s13, v125, vcc_lo
	scratch_store_b32 off, v125, off offset:8 ; 4-byte Folded Spill
	scratch_load_b32 v125, off, off offset:12 ; 4-byte Folded Reload
	s_waitcnt vmcnt(0)
	v_add_co_u32 v125, vcc_lo, v125, s12
	scratch_store_b32 off, v125, off offset:12 ; 4-byte Folded Spill
	scratch_load_b32 v125, off, off offset:16 ; 4-byte Folded Reload
	s_waitcnt vmcnt(0)
	v_add_co_ci_u32_e32 v125, vcc_lo, s13, v125, vcc_lo
	scratch_store_b32 off, v125, off offset:16 ; 4-byte Folded Spill
	scratch_load_b32 v125, off, off offset:20 ; 4-byte Folded Reload
	s_waitcnt vmcnt(0)
	v_add_co_u32 v125, vcc_lo, v125, s12
	scratch_store_b32 off, v125, off offset:20 ; 4-byte Folded Spill
	scratch_load_b32 v125, off, off offset:24 ; 4-byte Folded Reload
	s_waitcnt vmcnt(0)
	v_add_co_ci_u32_e32 v125, vcc_lo, s13, v125, vcc_lo
	scratch_store_b32 off, v125, off offset:24 ; 4-byte Folded Spill
	scratch_load_b32 v125, off, off offset:28 ; 4-byte Folded Reload
	s_waitcnt vmcnt(0)
	v_add_co_u32 v125, vcc_lo, v125, s12
	scratch_store_b32 off, v125, off offset:28 ; 4-byte Folded Spill
	scratch_load_b32 v125, off, off offset:32 ; 4-byte Folded Reload
	s_waitcnt vmcnt(0)
	v_add_co_ci_u32_e32 v125, vcc_lo, s13, v125, vcc_lo
	scratch_store_b32 off, v125, off offset:32 ; 4-byte Folded Spill
	scratch_load_b32 v125, off, off offset:36 ; 4-byte Folded Reload
	s_waitcnt vmcnt(0)
	v_add_co_u32 v125, vcc_lo, v125, s12
	scratch_store_b32 off, v125, off offset:36 ; 4-byte Folded Spill
	scratch_load_b32 v125, off, off offset:40 ; 4-byte Folded Reload
	s_waitcnt vmcnt(0)
	v_add_co_ci_u32_e32 v125, vcc_lo, s13, v125, vcc_lo
	scratch_store_b32 off, v125, off offset:40 ; 4-byte Folded Spill
	scratch_load_b32 v125, off, off offset:44 ; 4-byte Folded Reload
	s_waitcnt vmcnt(0)
	v_add_co_u32 v125, vcc_lo, v125, s12
	scratch_store_b32 off, v125, off offset:44 ; 4-byte Folded Spill
	scratch_load_b32 v125, off, off offset:48 ; 4-byte Folded Reload
	s_waitcnt vmcnt(0)
	v_add_co_ci_u32_e32 v125, vcc_lo, s13, v125, vcc_lo
	scratch_store_b32 off, v125, off offset:48 ; 4-byte Folded Spill
	scratch_load_b32 v125, off, off offset:52 ; 4-byte Folded Reload
	s_waitcnt vmcnt(0)
	v_add_co_u32 v125, vcc_lo, v125, s12
	scratch_store_b32 off, v125, off offset:52 ; 4-byte Folded Spill
	scratch_load_b32 v125, off, off offset:56 ; 4-byte Folded Reload
	s_waitcnt vmcnt(0)
	v_add_co_ci_u32_e32 v125, vcc_lo, s13, v125, vcc_lo
	scratch_store_b32 off, v125, off offset:56 ; 4-byte Folded Spill
	scratch_load_b32 v125, off, off offset:60 ; 4-byte Folded Reload
	s_waitcnt vmcnt(0)
	v_add_co_u32 v125, vcc_lo, v125, s12
	scratch_store_b32 off, v125, off offset:60 ; 4-byte Folded Spill
	scratch_load_b32 v125, off, off offset:64 ; 4-byte Folded Reload
	s_waitcnt vmcnt(0)
	v_add_co_ci_u32_e32 v125, vcc_lo, s13, v125, vcc_lo
	scratch_store_b32 off, v125, off offset:64 ; 4-byte Folded Spill
	scratch_load_b32 v125, off, off offset:68 ; 4-byte Folded Reload
	s_waitcnt vmcnt(0)
	v_add_co_u32 v125, vcc_lo, v125, s12
	scratch_store_b32 off, v125, off offset:68 ; 4-byte Folded Spill
	scratch_load_b32 v125, off, off offset:72 ; 4-byte Folded Reload
	s_waitcnt vmcnt(0)
	v_add_co_ci_u32_e32 v125, vcc_lo, s13, v125, vcc_lo
	scratch_store_b32 off, v125, off offset:72 ; 4-byte Folded Spill
	scratch_load_b32 v125, off, off offset:76 ; 4-byte Folded Reload
	s_waitcnt vmcnt(0)
	v_add_co_u32 v125, vcc_lo, v125, s12
	scratch_store_b32 off, v125, off offset:76 ; 4-byte Folded Spill
	scratch_load_b32 v125, off, off offset:80 ; 4-byte Folded Reload
	s_waitcnt vmcnt(0)
	v_add_co_ci_u32_e32 v125, vcc_lo, s13, v125, vcc_lo
	scratch_store_b32 off, v125, off offset:80 ; 4-byte Folded Spill
	scratch_load_b32 v125, off, off offset:84 ; 4-byte Folded Reload
	s_waitcnt vmcnt(0)
	v_add_co_u32 v125, vcc_lo, v125, s12
	scratch_store_b32 off, v125, off offset:84 ; 4-byte Folded Spill
	scratch_load_b32 v125, off, off offset:88 ; 4-byte Folded Reload
	s_waitcnt vmcnt(0)
	v_add_co_ci_u32_e32 v125, vcc_lo, s13, v125, vcc_lo
	scratch_store_b32 off, v125, off offset:88 ; 4-byte Folded Spill
	scratch_load_b32 v125, off, off offset:92 ; 4-byte Folded Reload
	s_waitcnt vmcnt(0)
	v_add_co_u32 v125, vcc_lo, v125, s12
	scratch_store_b32 off, v125, off offset:92 ; 4-byte Folded Spill
	scratch_load_b32 v125, off, off offset:96 ; 4-byte Folded Reload
	s_waitcnt vmcnt(0)
	v_add_co_ci_u32_e32 v125, vcc_lo, s13, v125, vcc_lo
	scratch_store_b32 off, v125, off offset:96 ; 4-byte Folded Spill
	scratch_load_b32 v125, off, off offset:100 ; 4-byte Folded Reload
	s_waitcnt vmcnt(0)
	v_add_co_u32 v125, vcc_lo, v125, s12
	scratch_store_b32 off, v125, off offset:100 ; 4-byte Folded Spill
	scratch_load_b32 v125, off, off offset:104 ; 4-byte Folded Reload
	s_waitcnt vmcnt(0)
	v_add_co_ci_u32_e32 v125, vcc_lo, s13, v125, vcc_lo
	scratch_store_b32 off, v125, off offset:104 ; 4-byte Folded Spill
	scratch_load_b32 v125, off, off offset:108 ; 4-byte Folded Reload
	s_waitcnt vmcnt(0)
	v_add_co_u32 v125, vcc_lo, v125, s12
	scratch_store_b32 off, v125, off offset:108 ; 4-byte Folded Spill
	scratch_load_b32 v125, off, off offset:112 ; 4-byte Folded Reload
	s_waitcnt vmcnt(0)
	v_add_co_ci_u32_e32 v125, vcc_lo, s13, v125, vcc_lo
	scratch_store_b32 off, v125, off offset:112 ; 4-byte Folded Spill
	scratch_load_b32 v125, off, off offset:116 ; 4-byte Folded Reload
	s_waitcnt vmcnt(0)
	v_add_co_u32 v125, vcc_lo, v125, s12
	scratch_store_b32 off, v125, off offset:116 ; 4-byte Folded Spill
	scratch_load_b32 v125, off, off offset:120 ; 4-byte Folded Reload
	s_waitcnt vmcnt(0)
	v_add_co_ci_u32_e32 v125, vcc_lo, s13, v125, vcc_lo
	scratch_store_b32 off, v125, off offset:120 ; 4-byte Folded Spill
	scratch_load_b32 v125, off, off offset:124 ; 4-byte Folded Reload
	s_waitcnt vmcnt(0)
	v_add_co_u32 v125, vcc_lo, v125, s12
	scratch_store_b32 off, v125, off offset:124 ; 4-byte Folded Spill
	scratch_load_b32 v125, off, off offset:128 ; 4-byte Folded Reload
	s_waitcnt vmcnt(0)
	v_add_co_ci_u32_e32 v125, vcc_lo, s13, v125, vcc_lo
	scratch_store_b32 off, v125, off offset:128 ; 4-byte Folded Spill
	scratch_load_b32 v125, off, off offset:132 ; 4-byte Folded Reload
	s_waitcnt vmcnt(0)
	v_add_co_u32 v125, vcc_lo, v125, s12
	scratch_store_b32 off, v125, off offset:132 ; 4-byte Folded Spill
	scratch_load_b32 v125, off, off offset:136 ; 4-byte Folded Reload
	s_waitcnt vmcnt(0)
	v_add_co_ci_u32_e32 v125, vcc_lo, s13, v125, vcc_lo
	scratch_store_b32 off, v125, off offset:136 ; 4-byte Folded Spill
	scratch_load_b32 v125, off, off offset:140 ; 4-byte Folded Reload
	s_waitcnt vmcnt(0)
	v_add_co_u32 v125, vcc_lo, v125, s12
	scratch_store_b32 off, v125, off offset:140 ; 4-byte Folded Spill
	scratch_load_b32 v125, off, off offset:144 ; 4-byte Folded Reload
	s_waitcnt vmcnt(0)
	v_add_co_ci_u32_e32 v125, vcc_lo, s13, v125, vcc_lo
	scratch_store_b32 off, v125, off offset:144 ; 4-byte Folded Spill
	scratch_load_b32 v125, off, off offset:148 ; 4-byte Folded Reload
	s_waitcnt vmcnt(0)
	v_add_co_u32 v125, vcc_lo, v125, s12
	scratch_store_b32 off, v125, off offset:148 ; 4-byte Folded Spill
	scratch_load_b32 v125, off, off offset:152 ; 4-byte Folded Reload
	s_waitcnt vmcnt(0)
	v_add_co_ci_u32_e32 v125, vcc_lo, s13, v125, vcc_lo
	scratch_store_b32 off, v125, off offset:152 ; 4-byte Folded Spill
	scratch_load_b32 v125, off, off offset:156 ; 4-byte Folded Reload
	s_waitcnt vmcnt(0)
	v_add_co_u32 v125, vcc_lo, v125, s12
	scratch_store_b32 off, v125, off offset:156 ; 4-byte Folded Spill
	scratch_load_b32 v125, off, off offset:160 ; 4-byte Folded Reload
	s_waitcnt vmcnt(0)
	v_add_co_ci_u32_e32 v125, vcc_lo, s13, v125, vcc_lo
	scratch_store_b32 off, v125, off offset:160 ; 4-byte Folded Spill
	scratch_load_b32 v125, off, off offset:164 ; 4-byte Folded Reload
	s_waitcnt vmcnt(0)
	v_add_co_u32 v125, vcc_lo, v125, s12
	v_add_co_ci_u32_e32 v180, vcc_lo, s13, v180, vcc_lo
	v_add_co_u32 v181, vcc_lo, v181, s12
	scratch_store_b32 off, v125, off offset:164 ; 4-byte Folded Spill
	scratch_load_b32 v125, off, off offset:168 ; 4-byte Folded Reload
	s_waitcnt vmcnt(0)
	v_add_co_ci_u32_e32 v125, vcc_lo, s13, v125, vcc_lo
	scratch_store_b32 off, v125, off offset:168 ; 4-byte Folded Spill
	scratch_load_b32 v125, off, off offset:172 ; 4-byte Folded Reload
	s_waitcnt vmcnt(0)
	v_add_co_u32 v125, vcc_lo, v125, s12
	v_add_co_ci_u32_e32 v184, vcc_lo, s13, v184, vcc_lo
	v_add_co_u32 v185, vcc_lo, v185, s12
	v_add_co_ci_u32_e32 v186, vcc_lo, s13, v186, vcc_lo
	;; [unrolled: 2-line block ×40, first 2 shown]
	s_and_b32 vcc_lo, exec_lo, s9
	scratch_store_b32 off, v125, off offset:172 ; 4-byte Folded Spill
	s_cbranch_vccnz .LBB153_219
; %bb.218:                              ;   in Loop: Header=BB153_145 Depth=1
	v_mov_b32_e32 v145, v144
	s_branch .LBB153_145
.LBB153_219:
	scratch_load_b32 v207, off, off offset:292 ; 4-byte Folded Reload
.LBB153_220:
	s_waitcnt vmcnt(0)
	v_and_b32_e32 v0, 0x3ff, v207
	s_mov_b32 s15, 0
	s_delay_alu instid0(SALU_CYCLE_1)
	s_lshl_b64 s[6:7], s[14:15], 5
	s_waitcnt lgkmcnt(0)
	s_cmp_lg_u64 s[4:5], 0
	v_or_b32_e32 v1, s6, v0
	v_mov_b32_e32 v2, s7
	s_cselect_b32 s3, -1, 0
	s_delay_alu instid0(VALU_DEP_1) | instskip(SKIP_1) | instid1(SALU_CYCLE_1)
	v_cmp_gt_i64_e32 vcc_lo, s[18:19], v[1:2]
	s_and_b32 s3, vcc_lo, s3
	s_and_saveexec_b32 s6, s3
	s_cbranch_execz .LBB153_222
; %bb.221:
	s_load_b32 s0, s[0:1], 0x4c
	v_bfe_u32 v3, v207, 10, 10
	v_mov_b32_e32 v4, 0
	s_waitcnt lgkmcnt(0)
	s_lshr_b32 s0, s0, 16
	s_delay_alu instid0(VALU_DEP_1) | instid1(SALU_CYCLE_1)
	v_mad_u64_u32 v[5:6], null, s0, s2, v[3:4]
	s_delay_alu instid0(VALU_DEP_1) | instskip(NEXT) | instid1(VALU_DEP_2)
	v_mul_lo_u32 v0, v6, s18
	v_mul_lo_u32 v6, v5, s19
	v_mad_u64_u32 v[3:4], null, v5, s18, 0
	s_delay_alu instid0(VALU_DEP_1) | instskip(SKIP_1) | instid1(VALU_DEP_2)
	v_add3_u32 v4, v4, v6, v0
	v_lshlrev_b64 v[0:1], 2, v[1:2]
	v_lshlrev_b64 v[3:4], 2, v[3:4]
	s_delay_alu instid0(VALU_DEP_1) | instskip(NEXT) | instid1(VALU_DEP_2)
	v_add_co_u32 v2, vcc_lo, s4, v3
	v_add_co_ci_u32_e32 v3, vcc_lo, s5, v4, vcc_lo
	s_delay_alu instid0(VALU_DEP_2) | instskip(NEXT) | instid1(VALU_DEP_2)
	v_add_co_u32 v0, vcc_lo, v2, v0
	v_add_co_ci_u32_e32 v1, vcc_lo, v3, v1, vcc_lo
	global_store_b32 v[0:1], v144, off
.LBB153_222:
	s_endpgm
	.section	.rodata,"a",@progbits
	.p2align	6, 0x0
	.amdhsa_kernel _ZN2at6native12_GLOBAL__N_135GammaBetaBackwardCUDAKernelTemplateIffLj32ELj1ELj32ELb1ELb0ELb1EEEvllPKT_S5_PKT0_S8_PS3_S9_
		.amdhsa_group_segment_fixed_size 0
		.amdhsa_private_segment_fixed_size 300
		.amdhsa_kernarg_size 320
		.amdhsa_user_sgpr_count 14
		.amdhsa_user_sgpr_dispatch_ptr 0
		.amdhsa_user_sgpr_queue_ptr 0
		.amdhsa_user_sgpr_kernarg_segment_ptr 1
		.amdhsa_user_sgpr_dispatch_id 0
		.amdhsa_user_sgpr_private_segment_size 0
		.amdhsa_wavefront_size32 1
		.amdhsa_uses_dynamic_stack 0
		.amdhsa_enable_private_segment 1
		.amdhsa_system_sgpr_workgroup_id_x 1
		.amdhsa_system_sgpr_workgroup_id_y 1
		.amdhsa_system_sgpr_workgroup_id_z 0
		.amdhsa_system_sgpr_workgroup_info 0
		.amdhsa_system_vgpr_workitem_id 1
		.amdhsa_next_free_vgpr 256
		.amdhsa_next_free_sgpr 30
		.amdhsa_reserve_vcc 1
		.amdhsa_float_round_mode_32 0
		.amdhsa_float_round_mode_16_64 0
		.amdhsa_float_denorm_mode_32 3
		.amdhsa_float_denorm_mode_16_64 3
		.amdhsa_dx10_clamp 1
		.amdhsa_ieee_mode 1
		.amdhsa_fp16_overflow 0
		.amdhsa_workgroup_processor_mode 1
		.amdhsa_memory_ordered 1
		.amdhsa_forward_progress 0
		.amdhsa_shared_vgpr_count 0
		.amdhsa_exception_fp_ieee_invalid_op 0
		.amdhsa_exception_fp_denorm_src 0
		.amdhsa_exception_fp_ieee_div_zero 0
		.amdhsa_exception_fp_ieee_overflow 0
		.amdhsa_exception_fp_ieee_underflow 0
		.amdhsa_exception_fp_ieee_inexact 0
		.amdhsa_exception_int_div_zero 0
	.end_amdhsa_kernel
	.section	.text._ZN2at6native12_GLOBAL__N_135GammaBetaBackwardCUDAKernelTemplateIffLj32ELj1ELj32ELb1ELb0ELb1EEEvllPKT_S5_PKT0_S8_PS3_S9_,"axG",@progbits,_ZN2at6native12_GLOBAL__N_135GammaBetaBackwardCUDAKernelTemplateIffLj32ELj1ELj32ELb1ELb0ELb1EEEvllPKT_S5_PKT0_S8_PS3_S9_,comdat
.Lfunc_end153:
	.size	_ZN2at6native12_GLOBAL__N_135GammaBetaBackwardCUDAKernelTemplateIffLj32ELj1ELj32ELb1ELb0ELb1EEEvllPKT_S5_PKT0_S8_PS3_S9_, .Lfunc_end153-_ZN2at6native12_GLOBAL__N_135GammaBetaBackwardCUDAKernelTemplateIffLj32ELj1ELj32ELb1ELb0ELb1EEEvllPKT_S5_PKT0_S8_PS3_S9_
                                        ; -- End function
	.section	.AMDGPU.csdata,"",@progbits
; Kernel info:
; codeLenInByte = 24912
; NumSgprs: 32
; NumVgprs: 256
; ScratchSize: 300
; MemoryBound: 0
; FloatMode: 240
; IeeeMode: 1
; LDSByteSize: 0 bytes/workgroup (compile time only)
; SGPRBlocks: 3
; VGPRBlocks: 31
; NumSGPRsForWavesPerEU: 32
; NumVGPRsForWavesPerEU: 256
; Occupancy: 5
; WaveLimiterHint : 0
; COMPUTE_PGM_RSRC2:SCRATCH_EN: 1
; COMPUTE_PGM_RSRC2:USER_SGPR: 14
; COMPUTE_PGM_RSRC2:TRAP_HANDLER: 0
; COMPUTE_PGM_RSRC2:TGID_X_EN: 1
; COMPUTE_PGM_RSRC2:TGID_Y_EN: 1
; COMPUTE_PGM_RSRC2:TGID_Z_EN: 0
; COMPUTE_PGM_RSRC2:TIDIG_COMP_CNT: 1
	.section	.text._ZN2at6native12_GLOBAL__N_135GammaBetaBackwardCUDAKernelTemplateIffLj32ELj1ELj8ELb1ELb1ELb1EEEvllPKT_S5_PKT0_S8_PS3_S9_,"axG",@progbits,_ZN2at6native12_GLOBAL__N_135GammaBetaBackwardCUDAKernelTemplateIffLj32ELj1ELj8ELb1ELb1ELb1EEEvllPKT_S5_PKT0_S8_PS3_S9_,comdat
	.globl	_ZN2at6native12_GLOBAL__N_135GammaBetaBackwardCUDAKernelTemplateIffLj32ELj1ELj8ELb1ELb1ELb1EEEvllPKT_S5_PKT0_S8_PS3_S9_ ; -- Begin function _ZN2at6native12_GLOBAL__N_135GammaBetaBackwardCUDAKernelTemplateIffLj32ELj1ELj8ELb1ELb1ELb1EEEvllPKT_S5_PKT0_S8_PS3_S9_
	.p2align	8
	.type	_ZN2at6native12_GLOBAL__N_135GammaBetaBackwardCUDAKernelTemplateIffLj32ELj1ELj8ELb1ELb1ELb1EEEvllPKT_S5_PKT0_S8_PS3_S9_,@function
_ZN2at6native12_GLOBAL__N_135GammaBetaBackwardCUDAKernelTemplateIffLj32ELj1ELj8ELb1ELb1ELb1EEEvllPKT_S5_PKT0_S8_PS3_S9_: ; @_ZN2at6native12_GLOBAL__N_135GammaBetaBackwardCUDAKernelTemplateIffLj32ELj1ELj8ELb1ELb1ELb1EEEvllPKT_S5_PKT0_S8_PS3_S9_
; %bb.0:
	s_clause 0x1
	s_load_b128 s[4:7], s[0:1], 0x0
	s_load_b64 s[12:13], s[0:1], 0x30
	s_mov_b32 s17, 0
	s_lshl_b32 s16, s15, 3
	v_mov_b32_e32 v12, 0
	v_bfe_u32 v1, v0, 10, 10
	v_and_b32_e32 v0, 0x3ff, v0
	s_waitcnt lgkmcnt(0)
	v_cmp_ge_i64_e64 s2, s[16:17], s[4:5]
	s_delay_alu instid0(VALU_DEP_1)
	s_and_b32 vcc_lo, exec_lo, s2
	s_cbranch_vccnz .LBB154_7
; %bb.1:
	s_clause 0x3
	s_load_b32 s2, s[0:1], 0x4c
	s_load_b32 s3, s[0:1], 0x44
	s_load_b128 s[8:11], s[0:1], 0x10
	s_load_b64 s[20:21], s[0:1], 0x28
	v_dual_mov_b32 v9, 4 :: v_dual_lshlrev_b32 v4, 3, v1
	v_dual_mov_b32 v8, 8 :: v_dual_mov_b32 v3, 0
	v_lshl_or_b32 v2, s14, 5, v0
	s_delay_alu instid0(VALU_DEP_3) | instskip(NEXT) | instid1(VALU_DEP_1)
	v_add_co_u32 v4, s18, v4, s16
	v_add_co_ci_u32_e64 v5, null, 0, 0, s18
	s_delay_alu instid0(VALU_DEP_3) | instskip(NEXT) | instid1(VALU_DEP_3)
	v_lshlrev_b64 v[16:17], 2, v[2:3]
	v_mul_lo_u32 v12, s7, v4
	v_dual_mov_b32 v10, 12 :: v_dual_mov_b32 v11, 16
	s_delay_alu instid0(VALU_DEP_4)
	v_mul_lo_u32 v18, s6, v5
	v_dual_mov_b32 v13, 20 :: v_dual_mov_b32 v14, 24
	s_waitcnt lgkmcnt(0)
	s_and_b32 s2, s2, 0xffff
	s_lshl_b32 s18, s3, 3
	v_mad_u32_u24 v6, v1, s2, v0
	s_mul_i32 s3, s7, s18
	s_mul_hi_u32 s22, s6, s18
	s_mov_b32 s19, s17
	s_add_i32 s23, s22, s3
	v_dual_mov_b32 v15, 28 :: v_dual_and_b32 v22, 31, v6
	v_mad_u64_u32 v[6:7], null, s6, v4, 0
	s_mul_i32 s22, s6, s18
	s_delay_alu instid0(VALU_DEP_2) | instskip(SKIP_2) | instid1(VALU_DEP_4)
	v_add_co_u32 v4, vcc_lo, v4, v22
	v_add_co_ci_u32_e32 v5, vcc_lo, 0, v5, vcc_lo
	v_cmp_gt_u32_e64 s2, 8, v22
	v_add3_u32 v7, v7, v18, v12
	v_mov_b32_e32 v12, 0
	s_delay_alu instid0(VALU_DEP_4) | instskip(SKIP_3) | instid1(VALU_DEP_2)
	v_lshlrev_b64 v[18:19], 2, v[4:5]
	s_lshl_b64 s[22:23], s[22:23], 2
	s_lshl_b64 s[24:25], s[6:7], 2
	v_lshlrev_b64 v[20:21], 2, v[6:7]
	v_add_co_u32 v6, vcc_lo, s20, v18
	s_delay_alu instid0(VALU_DEP_3) | instskip(NEXT) | instid1(VALU_DEP_3)
	v_add_co_ci_u32_e32 v7, vcc_lo, s21, v19, vcc_lo
	v_add_co_u32 v2, vcc_lo, v20, v16
	s_delay_alu instid0(VALU_DEP_4)
	v_add_co_ci_u32_e32 v16, vcc_lo, v21, v17, vcc_lo
	s_lshl_b64 s[20:21], s[18:19], 2
	s_branch .LBB154_4
.LBB154_2:                              ;   in Loop: Header=BB154_4 Depth=1
	s_or_b32 exec_lo, exec_lo, s19
.LBB154_3:                              ;   in Loop: Header=BB154_4 Depth=1
	s_delay_alu instid0(SALU_CYCLE_1) | instskip(SKIP_4) | instid1(VALU_DEP_4)
	s_or_b32 exec_lo, exec_lo, s3
	v_add_co_u32 v18, vcc_lo, s8, v2
	v_add_co_ci_u32_e32 v19, vcc_lo, s9, v16, vcc_lo
	v_add_co_u32 v20, vcc_lo, s10, v2
	v_add_co_ci_u32_e32 v21, vcc_lo, s11, v16, vcc_lo
	v_add_co_u32 v22, vcc_lo, v18, s24
	s_delay_alu instid0(VALU_DEP_4) | instskip(NEXT) | instid1(VALU_DEP_4)
	v_add_co_ci_u32_e32 v23, vcc_lo, s25, v19, vcc_lo
	v_add_co_u32 v24, vcc_lo, v20, s24
	s_delay_alu instid0(VALU_DEP_4) | instskip(NEXT) | instid1(VALU_DEP_4)
	v_add_co_ci_u32_e32 v25, vcc_lo, s25, v21, vcc_lo
	v_add_co_u32 v26, vcc_lo, v22, s24
	s_delay_alu instid0(VALU_DEP_4)
	v_add_co_ci_u32_e32 v27, vcc_lo, s25, v23, vcc_lo
	global_load_b32 v28, v[18:19], off
	global_load_b32 v29, v[20:21], off
	;; [unrolled: 1-line block ×5, first 2 shown]
	v_add_co_u32 v18, vcc_lo, v24, s24
	v_add_co_ci_u32_e32 v19, vcc_lo, s25, v25, vcc_lo
	v_add_co_u32 v20, vcc_lo, v26, s24
	v_add_co_ci_u32_e32 v21, vcc_lo, s25, v27, vcc_lo
	s_delay_alu instid0(VALU_DEP_4) | instskip(NEXT) | instid1(VALU_DEP_4)
	v_add_co_u32 v22, vcc_lo, v18, s24
	v_add_co_ci_u32_e32 v23, vcc_lo, s25, v19, vcc_lo
	s_delay_alu instid0(VALU_DEP_4) | instskip(NEXT) | instid1(VALU_DEP_4)
	;; [unrolled: 3-line block ×3, first 2 shown]
	v_add_co_u32 v26, vcc_lo, v22, s24
	v_add_co_ci_u32_e32 v27, vcc_lo, s25, v23, vcc_lo
	global_load_b32 v33, v[18:19], off
	global_load_b32 v34, v[20:21], off
	;; [unrolled: 1-line block ×5, first 2 shown]
	v_add_co_u32 v18, vcc_lo, v24, s24
	v_add_co_ci_u32_e32 v19, vcc_lo, s25, v25, vcc_lo
	v_add_co_u32 v20, vcc_lo, v26, s24
	v_add_co_ci_u32_e32 v21, vcc_lo, s25, v27, vcc_lo
	s_delay_alu instid0(VALU_DEP_4) | instskip(NEXT) | instid1(VALU_DEP_4)
	v_add_co_u32 v22, vcc_lo, v18, s24
	v_add_co_ci_u32_e32 v23, vcc_lo, s25, v19, vcc_lo
	s_delay_alu instid0(VALU_DEP_4) | instskip(NEXT) | instid1(VALU_DEP_4)
	v_add_co_u32 v24, vcc_lo, v20, s24
	v_add_co_ci_u32_e32 v25, vcc_lo, s25, v21, vcc_lo
	global_load_b32 v26, v[18:19], off
	global_load_b32 v27, v[20:21], off
	;; [unrolled: 1-line block ×4, first 2 shown]
	v_add_co_u32 v18, vcc_lo, v22, s24
	v_add_co_ci_u32_e32 v19, vcc_lo, s25, v23, vcc_lo
	v_add_co_u32 v20, vcc_lo, v24, s24
	v_add_co_ci_u32_e32 v21, vcc_lo, s25, v25, vcc_lo
	global_load_b32 v18, v[18:19], off
	global_load_b32 v19, v[20:21], off
	s_waitcnt vmcnt(16)
	ds_bpermute_b32 v20, v3, v17
	ds_bpermute_b32 v21, v9, v17
	;; [unrolled: 1-line block ×4, first 2 shown]
	v_add_co_u32 v6, vcc_lo, v6, s20
	s_add_u32 s16, s16, s18
	v_add_co_ci_u32_e32 v7, vcc_lo, s21, v7, vcc_lo
	s_addc_u32 s17, s17, 0
	v_add_co_u32 v4, vcc_lo, v4, s18
	v_add_co_ci_u32_e32 v5, vcc_lo, 0, v5, vcc_lo
	v_cmp_lt_i64_e64 s3, s[16:17], s[4:5]
	v_add_co_u32 v2, vcc_lo, v2, s22
	v_add_co_ci_u32_e32 v16, vcc_lo, s23, v16, vcc_lo
	s_delay_alu instid0(VALU_DEP_3) | instskip(SKIP_3) | instid1(VALU_DEP_1)
	s_and_b32 vcc_lo, exec_lo, s3
	s_waitcnt vmcnt(14)
	v_mul_f32_e32 v23, v28, v29
	s_waitcnt lgkmcnt(3)
	v_fmac_f32_e32 v12, v23, v20
	s_waitcnt vmcnt(12)
	v_mul_f32_e32 v20, v30, v31
	ds_bpermute_b32 v23, v11, v17
	s_waitcnt lgkmcnt(3)
	v_fmac_f32_e32 v12, v20, v21
	ds_bpermute_b32 v21, v13, v17
	s_waitcnt vmcnt(10)
	v_mul_f32_e32 v20, v32, v33
	s_waitcnt lgkmcnt(3)
	s_delay_alu instid0(VALU_DEP_1)
	v_fmac_f32_e32 v12, v20, v22
	s_waitcnt vmcnt(8)
	v_mul_f32_e32 v20, v34, v35
	ds_bpermute_b32 v22, v14, v17
	ds_bpermute_b32 v17, v15, v17
	s_waitcnt lgkmcnt(4)
	v_fmac_f32_e32 v12, v20, v24
	s_waitcnt vmcnt(6)
	v_mul_f32_e32 v20, v36, v37
	s_waitcnt lgkmcnt(3)
	s_delay_alu instid0(VALU_DEP_1) | instskip(SKIP_3) | instid1(VALU_DEP_1)
	v_fmac_f32_e32 v12, v20, v23
	s_waitcnt vmcnt(4)
	v_mul_f32_e32 v20, v26, v27
	s_waitcnt lgkmcnt(2)
	v_fmac_f32_e32 v12, v20, v21
	s_waitcnt vmcnt(2)
	v_mul_f32_e32 v20, v38, v39
	s_waitcnt lgkmcnt(1)
	s_delay_alu instid0(VALU_DEP_1) | instskip(SKIP_3) | instid1(VALU_DEP_1)
	v_fmac_f32_e32 v12, v20, v22
	s_waitcnt vmcnt(0)
	v_mul_f32_e32 v18, v18, v19
	s_waitcnt lgkmcnt(0)
	v_fmac_f32_e32 v12, v18, v17
	s_cbranch_vccz .LBB154_7
.LBB154_4:                              ; =>This Inner Loop Header: Depth=1
	v_mov_b32_e32 v17, 0
	s_and_saveexec_b32 s3, s2
	s_cbranch_execz .LBB154_3
; %bb.5:                                ;   in Loop: Header=BB154_4 Depth=1
	v_mov_b32_e32 v17, 0
	s_mov_b32 s19, exec_lo
	v_cmpx_gt_i64_e64 s[4:5], v[4:5]
	s_cbranch_execz .LBB154_2
; %bb.6:                                ;   in Loop: Header=BB154_4 Depth=1
	global_load_b32 v17, v[6:7], off
	s_branch .LBB154_2
.LBB154_7:
	s_cmp_eq_u64 s[12:13], 0
	s_cbranch_scc1 .LBB154_9
; %bb.8:
	s_load_b32 s0, s[0:1], 0x4c
	v_mov_b32_e32 v2, 0
	v_lshlrev_b32_e32 v0, 2, v0
	s_waitcnt lgkmcnt(0)
	s_lshr_b32 s0, s0, 16
	s_delay_alu instid0(VALU_DEP_2) | instid1(SALU_CYCLE_1)
	v_mad_u64_u32 v[3:4], null, s0, s15, v[1:2]
	s_mov_b32 s15, 0
	s_delay_alu instid0(SALU_CYCLE_1) | instskip(NEXT) | instid1(SALU_CYCLE_1)
	s_lshl_b64 s[0:1], s[14:15], 7
	s_add_u32 s0, s0, s12
	s_addc_u32 s1, s1, s13
	s_delay_alu instid0(VALU_DEP_1) | instskip(NEXT) | instid1(VALU_DEP_2)
	v_mul_lo_u32 v4, v4, s6
	v_mul_lo_u32 v5, v3, s7
	v_mad_u64_u32 v[1:2], null, v3, s6, 0
	s_delay_alu instid0(VALU_DEP_1) | instskip(NEXT) | instid1(VALU_DEP_1)
	v_add3_u32 v2, v2, v5, v4
	v_lshlrev_b64 v[1:2], 2, v[1:2]
	s_delay_alu instid0(VALU_DEP_1) | instskip(NEXT) | instid1(VALU_DEP_2)
	v_add_co_u32 v1, vcc_lo, s0, v1
	v_add_co_ci_u32_e32 v2, vcc_lo, s1, v2, vcc_lo
	s_delay_alu instid0(VALU_DEP_2) | instskip(NEXT) | instid1(VALU_DEP_2)
	v_add_co_u32 v0, vcc_lo, v1, v0
	v_add_co_ci_u32_e32 v1, vcc_lo, 0, v2, vcc_lo
	global_store_b32 v[0:1], v12, off
.LBB154_9:
	s_nop 0
	s_sendmsg sendmsg(MSG_DEALLOC_VGPRS)
	s_endpgm
	.section	.rodata,"a",@progbits
	.p2align	6, 0x0
	.amdhsa_kernel _ZN2at6native12_GLOBAL__N_135GammaBetaBackwardCUDAKernelTemplateIffLj32ELj1ELj8ELb1ELb1ELb1EEEvllPKT_S5_PKT0_S8_PS3_S9_
		.amdhsa_group_segment_fixed_size 0
		.amdhsa_private_segment_fixed_size 0
		.amdhsa_kernarg_size 320
		.amdhsa_user_sgpr_count 14
		.amdhsa_user_sgpr_dispatch_ptr 0
		.amdhsa_user_sgpr_queue_ptr 0
		.amdhsa_user_sgpr_kernarg_segment_ptr 1
		.amdhsa_user_sgpr_dispatch_id 0
		.amdhsa_user_sgpr_private_segment_size 0
		.amdhsa_wavefront_size32 1
		.amdhsa_uses_dynamic_stack 0
		.amdhsa_enable_private_segment 0
		.amdhsa_system_sgpr_workgroup_id_x 1
		.amdhsa_system_sgpr_workgroup_id_y 1
		.amdhsa_system_sgpr_workgroup_id_z 0
		.amdhsa_system_sgpr_workgroup_info 0
		.amdhsa_system_vgpr_workitem_id 1
		.amdhsa_next_free_vgpr 40
		.amdhsa_next_free_sgpr 26
		.amdhsa_reserve_vcc 1
		.amdhsa_float_round_mode_32 0
		.amdhsa_float_round_mode_16_64 0
		.amdhsa_float_denorm_mode_32 3
		.amdhsa_float_denorm_mode_16_64 3
		.amdhsa_dx10_clamp 1
		.amdhsa_ieee_mode 1
		.amdhsa_fp16_overflow 0
		.amdhsa_workgroup_processor_mode 1
		.amdhsa_memory_ordered 1
		.amdhsa_forward_progress 0
		.amdhsa_shared_vgpr_count 0
		.amdhsa_exception_fp_ieee_invalid_op 0
		.amdhsa_exception_fp_denorm_src 0
		.amdhsa_exception_fp_ieee_div_zero 0
		.amdhsa_exception_fp_ieee_overflow 0
		.amdhsa_exception_fp_ieee_underflow 0
		.amdhsa_exception_fp_ieee_inexact 0
		.amdhsa_exception_int_div_zero 0
	.end_amdhsa_kernel
	.section	.text._ZN2at6native12_GLOBAL__N_135GammaBetaBackwardCUDAKernelTemplateIffLj32ELj1ELj8ELb1ELb1ELb1EEEvllPKT_S5_PKT0_S8_PS3_S9_,"axG",@progbits,_ZN2at6native12_GLOBAL__N_135GammaBetaBackwardCUDAKernelTemplateIffLj32ELj1ELj8ELb1ELb1ELb1EEEvllPKT_S5_PKT0_S8_PS3_S9_,comdat
.Lfunc_end154:
	.size	_ZN2at6native12_GLOBAL__N_135GammaBetaBackwardCUDAKernelTemplateIffLj32ELj1ELj8ELb1ELb1ELb1EEEvllPKT_S5_PKT0_S8_PS3_S9_, .Lfunc_end154-_ZN2at6native12_GLOBAL__N_135GammaBetaBackwardCUDAKernelTemplateIffLj32ELj1ELj8ELb1ELb1ELb1EEEvllPKT_S5_PKT0_S8_PS3_S9_
                                        ; -- End function
	.section	.AMDGPU.csdata,"",@progbits
; Kernel info:
; codeLenInByte = 1208
; NumSgprs: 28
; NumVgprs: 40
; ScratchSize: 0
; MemoryBound: 0
; FloatMode: 240
; IeeeMode: 1
; LDSByteSize: 0 bytes/workgroup (compile time only)
; SGPRBlocks: 3
; VGPRBlocks: 4
; NumSGPRsForWavesPerEU: 28
; NumVGPRsForWavesPerEU: 40
; Occupancy: 16
; WaveLimiterHint : 0
; COMPUTE_PGM_RSRC2:SCRATCH_EN: 0
; COMPUTE_PGM_RSRC2:USER_SGPR: 14
; COMPUTE_PGM_RSRC2:TRAP_HANDLER: 0
; COMPUTE_PGM_RSRC2:TGID_X_EN: 1
; COMPUTE_PGM_RSRC2:TGID_Y_EN: 1
; COMPUTE_PGM_RSRC2:TGID_Z_EN: 0
; COMPUTE_PGM_RSRC2:TIDIG_COMP_CNT: 1
	.section	.text._ZN2at6native12_GLOBAL__N_135GammaBetaBackwardCUDAKernelTemplateIffLj32ELj1ELj8ELb1ELb0ELb1EEEvllPKT_S5_PKT0_S8_PS3_S9_,"axG",@progbits,_ZN2at6native12_GLOBAL__N_135GammaBetaBackwardCUDAKernelTemplateIffLj32ELj1ELj8ELb1ELb0ELb1EEEvllPKT_S5_PKT0_S8_PS3_S9_,comdat
	.globl	_ZN2at6native12_GLOBAL__N_135GammaBetaBackwardCUDAKernelTemplateIffLj32ELj1ELj8ELb1ELb0ELb1EEEvllPKT_S5_PKT0_S8_PS3_S9_ ; -- Begin function _ZN2at6native12_GLOBAL__N_135GammaBetaBackwardCUDAKernelTemplateIffLj32ELj1ELj8ELb1ELb0ELb1EEEvllPKT_S5_PKT0_S8_PS3_S9_
	.p2align	8
	.type	_ZN2at6native12_GLOBAL__N_135GammaBetaBackwardCUDAKernelTemplateIffLj32ELj1ELj8ELb1ELb0ELb1EEEvllPKT_S5_PKT0_S8_PS3_S9_,@function
_ZN2at6native12_GLOBAL__N_135GammaBetaBackwardCUDAKernelTemplateIffLj32ELj1ELj8ELb1ELb0ELb1EEEvllPKT_S5_PKT0_S8_PS3_S9_: ; @_ZN2at6native12_GLOBAL__N_135GammaBetaBackwardCUDAKernelTemplateIffLj32ELj1ELj8ELb1ELb0ELb1EEEvllPKT_S5_PKT0_S8_PS3_S9_
; %bb.0:
	s_clause 0x1
	s_load_b256 s[16:23], s[0:1], 0x0
	s_load_b64 s[12:13], s[0:1], 0x28
	s_mov_b32 s2, s15
	s_lshl_b32 s15, s14, 5
	s_mov_b32 s35, 0
	s_or_b32 s34, s15, 31
	s_waitcnt lgkmcnt(0)
	v_cmp_ge_i64_e64 s3, s[34:35], s[18:19]
	s_lshl_b32 s34, s2, 3
	s_delay_alu instid0(SALU_CYCLE_1) | instskip(NEXT) | instid1(VALU_DEP_2)
	v_cmp_lt_i64_e64 s33, s[34:35], s[16:17]
	s_and_b32 vcc_lo, exec_lo, s3
	s_delay_alu instid0(VALU_DEP_1) | instskip(NEXT) | instid1(VALU_DEP_1)
	v_cndmask_b32_e64 v1, 0, 1, s33
	v_cmp_ne_u32_e64 s3, 1, v1
	s_cbranch_vccz .LBB155_49
; %bb.1:
	v_mov_b32_e32 v3, 0
	s_delay_alu instid0(VALU_DEP_2)
	s_and_b32 vcc_lo, exec_lo, s3
	s_cbranch_vccnz .LBB155_50
; %bb.2:
	v_bfe_u32 v29, v0, 10, 10
	s_load_b32 s4, s[0:1], 0x44
	v_dual_mov_b32 v2, 0 :: v_dual_and_b32 v31, 0x3ff, v0
	s_add_u32 s6, s0, 64
	s_delay_alu instid0(VALU_DEP_2) | instskip(NEXT) | instid1(VALU_DEP_2)
	v_dual_mov_b32 v65, 0 :: v_dual_lshlrev_b32 v30, 3, v29
	v_dual_mov_b32 v32, v2 :: v_dual_add_nc_u32 v1, s15, v31
	s_addc_u32 s7, s1, 0
	s_delay_alu instid0(VALU_DEP_2) | instskip(NEXT) | instid1(VALU_DEP_1)
	v_add_co_u32 v9, s3, v30, s34
	v_add_co_ci_u32_e64 v10, null, 0, 0, s3
	s_delay_alu instid0(VALU_DEP_3) | instskip(NEXT) | instid1(VALU_DEP_3)
	v_cmp_gt_i64_e64 s3, s[18:19], v[1:2]
	v_add_co_u32 v5, vcc_lo, v9, 7
	s_delay_alu instid0(VALU_DEP_3) | instskip(SKIP_1) | instid1(VALU_DEP_3)
	v_add_co_ci_u32_e32 v3, vcc_lo, 0, v10, vcc_lo
	v_add_co_u32 v8, vcc_lo, v9, 6
	v_mul_lo_u32 v6, s19, v5
	s_delay_alu instid0(VALU_DEP_3)
	v_mul_lo_u32 v7, s18, v3
	v_mad_u64_u32 v[3:4], null, s18, v5, 0
	v_add_co_ci_u32_e32 v5, vcc_lo, 0, v10, vcc_lo
	v_lshlrev_b64 v[25:26], 2, v[1:2]
	v_mul_lo_u32 v1, s19, v8
	s_waitcnt lgkmcnt(0)
	s_lshl_b32 s36, s4, 3
	s_mov_b32 s24, 0
	s_delay_alu instid0(VALU_DEP_4) | instskip(SKIP_3) | instid1(VALU_DEP_3)
	v_add3_u32 v4, v4, v7, v6
	v_mul_lo_u32 v7, s18, v5
	v_mad_u64_u32 v[5:6], null, s18, v8, 0
	s_mul_i32 s4, s19, s36
	v_lshlrev_b64 v[3:4], 2, v[3:4]
	s_mul_hi_u32 s5, s18, s36
	s_mul_i32 s8, s18, s36
	s_add_i32 s9, s5, s4
	s_mov_b64 s[10:11], s[34:35]
	s_delay_alu instid0(VALU_DEP_2) | instskip(SKIP_4) | instid1(VALU_DEP_1)
	v_add3_u32 v6, v6, v7, v1
	v_add_co_u32 v33, vcc_lo, s20, v3
	v_add_co_ci_u32_e32 v34, vcc_lo, s21, v4, vcc_lo
	v_add_co_u32 v1, vcc_lo, v9, 5
	v_add_co_u32 v35, s4, s22, v3
	v_add_co_ci_u32_e64 v36, s4, s23, v4, s4
	v_lshlrev_b64 v[3:4], 2, v[5:6]
	v_add_co_ci_u32_e32 v5, vcc_lo, 0, v10, vcc_lo
	v_add_co_u32 v12, vcc_lo, v9, 4
	v_mul_lo_u32 v11, s19, v1
	s_delay_alu instid0(VALU_DEP_3) | instskip(SKIP_4) | instid1(VALU_DEP_3)
	v_mul_lo_u32 v13, s18, v5
	v_mad_u64_u32 v[5:6], null, s18, v1, 0
	v_add_co_ci_u32_e32 v7, vcc_lo, 0, v10, vcc_lo
	v_mul_lo_u32 v1, s19, v12
	v_add_co_u32 v37, vcc_lo, s20, v3
	v_mul_lo_u32 v14, s18, v7
	v_mad_u64_u32 v[7:8], null, s18, v12, 0
	v_add3_u32 v6, v6, v13, v11
	v_add_co_ci_u32_e32 v38, vcc_lo, s21, v4, vcc_lo
	v_add_co_u32 v39, vcc_lo, s22, v3
	v_add_co_ci_u32_e32 v40, vcc_lo, s23, v4, vcc_lo
	s_delay_alu instid0(VALU_DEP_4) | instskip(SKIP_3) | instid1(VALU_DEP_4)
	v_lshlrev_b64 v[3:4], 2, v[5:6]
	v_add3_u32 v8, v8, v14, v1
	v_add_co_u32 v1, vcc_lo, v9, 3
	v_add_co_ci_u32_e32 v11, vcc_lo, 0, v10, vcc_lo
	v_add_co_u32 v41, vcc_lo, s20, v3
	s_delay_alu instid0(VALU_DEP_4)
	v_lshlrev_b64 v[5:6], 2, v[7:8]
	v_add_co_ci_u32_e32 v42, vcc_lo, s21, v4, vcc_lo
	v_mul_lo_u32 v12, s19, v1
	v_mul_lo_u32 v11, s18, v11
	v_mad_u64_u32 v[7:8], null, s18, v1, 0
	v_add_co_u32 v43, vcc_lo, s22, v3
	v_add_co_ci_u32_e32 v44, vcc_lo, s23, v4, vcc_lo
	v_add_co_u32 v45, vcc_lo, s20, v5
	v_add_co_ci_u32_e32 v46, vcc_lo, s21, v6, vcc_lo
	v_add_co_u32 v1, vcc_lo, v9, 2
	v_add3_u32 v8, v8, v11, v12
	v_add_co_ci_u32_e32 v11, vcc_lo, 0, v10, vcc_lo
	v_add_co_u32 v47, vcc_lo, s22, v5
	v_add_co_ci_u32_e32 v48, vcc_lo, s23, v6, vcc_lo
	v_mul_lo_u32 v12, s19, v1
	s_delay_alu instid0(VALU_DEP_4)
	v_mul_lo_u32 v11, s18, v11
	v_mad_u64_u32 v[5:6], null, s18, v1, 0
	v_lshlrev_b64 v[3:4], 2, v[7:8]
	v_mul_lo_u32 v1, s19, v9
	v_mul_lo_u32 v10, s18, v10
	v_mad_u64_u32 v[7:8], null, s18, v9, 0
	s_mov_b64 s[4:5], 7
	s_delay_alu instid0(VALU_DEP_4)
	v_add_co_u32 v49, vcc_lo, s20, v3
	v_add3_u32 v6, v6, v11, v12
	v_add_co_ci_u32_e32 v50, vcc_lo, s21, v4, vcc_lo
	v_add_co_u32 v51, vcc_lo, s22, v3
	v_add3_u32 v8, v8, v10, v1
	v_add_co_ci_u32_e32 v52, vcc_lo, s23, v4, vcc_lo
	v_lshlrev_b64 v[3:4], 2, v[5:6]
	v_add_co_u32 v5, vcc_lo, v7, s18
	s_delay_alu instid0(VALU_DEP_4) | instskip(SKIP_1) | instid1(VALU_DEP_3)
	v_add_co_ci_u32_e32 v6, vcc_lo, s19, v8, vcc_lo
	s_lshl_b64 s[8:9], s[8:9], 2
	v_add_co_u32 v53, vcc_lo, s20, v3
	s_delay_alu instid0(VALU_DEP_2) | instskip(SKIP_3) | instid1(VALU_DEP_4)
	v_lshlrev_b64 v[5:6], 2, v[5:6]
	v_add_co_ci_u32_e32 v54, vcc_lo, s21, v4, vcc_lo
	v_add_co_u32 v55, vcc_lo, s22, v3
	v_add_co_ci_u32_e32 v56, vcc_lo, s23, v4, vcc_lo
	v_add_co_u32 v57, vcc_lo, s20, v5
	v_lshlrev_b64 v[3:4], 2, v[7:8]
	v_add_co_ci_u32_e32 v58, vcc_lo, s21, v6, vcc_lo
	v_add_co_u32 v59, vcc_lo, s22, v5
	v_add_co_ci_u32_e32 v60, vcc_lo, s23, v6, vcc_lo
	s_delay_alu instid0(VALU_DEP_4)
	v_add_co_u32 v61, vcc_lo, s20, v3
	v_add_co_ci_u32_e32 v62, vcc_lo, s21, v4, vcc_lo
	v_add_co_u32 v63, vcc_lo, s22, v3
	v_add_co_ci_u32_e32 v64, vcc_lo, s23, v4, vcc_lo
.LBB155_3:                              ; =>This Inner Loop Header: Depth=1
	s_add_u32 s26, s34, s4
	s_addc_u32 s27, 0, s5
	v_add_co_u32 v27, vcc_lo, s34, v30
	v_cmp_ge_i64_e64 s25, s[26:27], s[16:17]
	v_add_co_ci_u32_e32 v28, vcc_lo, 0, v32, vcc_lo
	s_delay_alu instid0(VALU_DEP_2)
	s_and_b32 vcc_lo, exec_lo, s25
	s_cbranch_vccz .LBB155_25
; %bb.4:                                ;   in Loop: Header=BB155_3 Depth=1
	s_load_b32 s25, s[6:7], 0xc
	v_mov_b32_e32 v66, 0
	s_waitcnt lgkmcnt(0)
	s_and_b32 s25, s25, 0xffff
	s_delay_alu instid0(SALU_CYCLE_1) | instskip(SKIP_1) | instid1(VALU_DEP_1)
	v_mad_u32_u24 v1, v29, s25, v31
	s_mov_b32 s25, exec_lo
	v_and_b32_e32 v1, 31, v1
	s_delay_alu instid0(VALU_DEP_1)
	v_cmpx_gt_u32_e32 8, v1
	s_cbranch_execz .LBB155_8
; %bb.5:                                ;   in Loop: Header=BB155_3 Depth=1
	v_add_co_u32 v3, vcc_lo, v27, v1
	v_add_co_ci_u32_e32 v4, vcc_lo, 0, v28, vcc_lo
	v_mov_b32_e32 v66, 0
	s_mov_b32 s26, exec_lo
	s_delay_alu instid0(VALU_DEP_2)
	v_cmpx_gt_i64_e64 s[16:17], v[3:4]
	s_cbranch_execz .LBB155_7
; %bb.6:                                ;   in Loop: Header=BB155_3 Depth=1
	v_lshlrev_b64 v[3:4], 2, v[3:4]
	s_delay_alu instid0(VALU_DEP_1) | instskip(NEXT) | instid1(VALU_DEP_2)
	v_add_co_u32 v3, vcc_lo, s12, v3
	v_add_co_ci_u32_e32 v4, vcc_lo, s13, v4, vcc_lo
	global_load_b32 v66, v[3:4], off
.LBB155_7:                              ;   in Loop: Header=BB155_3 Depth=1
	s_or_b32 exec_lo, exec_lo, s26
.LBB155_8:                              ;   in Loop: Header=BB155_3 Depth=1
	s_delay_alu instid0(SALU_CYCLE_1)
	s_or_b32 exec_lo, exec_lo, s25
	s_mov_b32 s30, s24
	s_mov_b32 s31, s24
	;; [unrolled: 1-line block ×7, first 2 shown]
	v_dual_mov_b32 v9, s24 :: v_dual_mov_b32 v10, s25
	v_dual_mov_b32 v15, s30 :: v_dual_mov_b32 v16, s31
	;; [unrolled: 1-line block ×4, first 2 shown]
	v_cmp_gt_i64_e32 vcc_lo, s[16:17], v[27:28]
	s_delay_alu instid0(VALU_DEP_4) | instskip(NEXT) | instid1(VALU_DEP_3)
	v_dual_mov_b32 v24, v16 :: v_dual_mov_b32 v23, v15
	v_dual_mov_b32 v21, v13 :: v_dual_mov_b32 v22, v14
	;; [unrolled: 1-line block ×4, first 2 shown]
	s_and_b32 s26, s3, vcc_lo
	s_delay_alu instid0(SALU_CYCLE_1)
	s_and_saveexec_b32 s25, s26
	s_cbranch_execz .LBB155_10
; %bb.9:                                ;   in Loop: Header=BB155_3 Depth=1
	v_add_co_u32 v3, vcc_lo, v61, v25
	v_add_co_ci_u32_e32 v4, vcc_lo, v62, v26, vcc_lo
	v_mov_b32_e32 v8, v2
	v_mov_b32_e32 v5, v2
	;; [unrolled: 1-line block ×3, first 2 shown]
	global_load_b32 v1, v[3:4], off
	v_add_co_u32 v3, vcc_lo, v63, v25
	v_add_co_ci_u32_e32 v4, vcc_lo, v64, v26, vcc_lo
	v_mov_b32_e32 v7, v2
	v_mov_b32_e32 v15, v2
	global_load_b32 v9, v[3:4], off
	v_mov_b32_e32 v3, v2
	v_mov_b32_e32 v4, v2
	s_waitcnt vmcnt(1)
	v_dual_mov_b32 v11, v2 :: v_dual_mov_b32 v24, v8
	v_dual_mov_b32 v10, v2 :: v_dual_mov_b32 v23, v7
	;; [unrolled: 1-line block ×5, first 2 shown]
	v_mov_b32_e32 v16, v2
	v_mov_b32_e32 v22, v6
	v_dual_mov_b32 v18, v2 :: v_dual_mov_b32 v17, v1
.LBB155_10:                             ;   in Loop: Header=BB155_3 Depth=1
	s_or_b32 exec_lo, exec_lo, s25
	v_add_co_u32 v3, vcc_lo, v27, 1
	v_add_co_ci_u32_e32 v4, vcc_lo, 0, v28, vcc_lo
	s_delay_alu instid0(VALU_DEP_1) | instskip(SKIP_1) | instid1(SALU_CYCLE_1)
	v_cmp_gt_i64_e32 vcc_lo, s[16:17], v[3:4]
	s_and_b32 s26, s3, vcc_lo
	s_and_saveexec_b32 s25, s26
	s_cbranch_execz .LBB155_12
; %bb.11:                               ;   in Loop: Header=BB155_3 Depth=1
	v_add_co_u32 v3, vcc_lo, v57, v25
	v_add_co_ci_u32_e32 v4, vcc_lo, v58, v26, vcc_lo
	v_add_co_u32 v5, vcc_lo, v59, v25
	v_add_co_ci_u32_e32 v6, vcc_lo, v60, v26, vcc_lo
	global_load_b32 v18, v[3:4], off
	global_load_b32 v10, v[5:6], off
.LBB155_12:                             ;   in Loop: Header=BB155_3 Depth=1
	s_or_b32 exec_lo, exec_lo, s25
	v_add_co_u32 v3, vcc_lo, v27, 2
	v_add_co_ci_u32_e32 v4, vcc_lo, 0, v28, vcc_lo
	s_delay_alu instid0(VALU_DEP_1) | instskip(SKIP_1) | instid1(SALU_CYCLE_1)
	v_cmp_gt_i64_e32 vcc_lo, s[16:17], v[3:4]
	s_and_b32 s26, s3, vcc_lo
	s_and_saveexec_b32 s25, s26
	s_cbranch_execz .LBB155_14
; %bb.13:                               ;   in Loop: Header=BB155_3 Depth=1
	v_add_co_u32 v3, vcc_lo, v53, v25
	v_add_co_ci_u32_e32 v4, vcc_lo, v54, v26, vcc_lo
	v_add_co_u32 v5, vcc_lo, v55, v25
	v_add_co_ci_u32_e32 v6, vcc_lo, v56, v26, vcc_lo
	global_load_b32 v19, v[3:4], off
	global_load_b32 v11, v[5:6], off
.LBB155_14:                             ;   in Loop: Header=BB155_3 Depth=1
	;; [unrolled: 16-line block ×7, first 2 shown]
	s_or_b32 exec_lo, exec_lo, s25
	s_waitcnt vmcnt(0)
	ds_bpermute_b32 v1, v2, v66
	ds_bpermute_b32 v4, v2, v66 offset:4
	ds_bpermute_b32 v5, v2, v66 offset:8
	v_mul_f32_e32 v3, v9, v17
	ds_bpermute_b32 v6, v2, v66 offset:12
	v_mul_f32_e32 v7, v10, v18
	ds_bpermute_b32 v8, v2, v66 offset:16
	ds_bpermute_b32 v9, v2, v66 offset:20
	s_waitcnt lgkmcnt(5)
	v_fma_f32 v3, v3, v1, v65
	v_mul_f32_e32 v1, v11, v19
	s_waitcnt lgkmcnt(4)
	s_delay_alu instid0(VALU_DEP_2) | instskip(SKIP_2) | instid1(VALU_DEP_2)
	v_fmac_f32_e32 v3, v7, v4
	v_dual_mul_f32 v4, v12, v20 :: v_dual_mul_f32 v7, v13, v21
	s_waitcnt lgkmcnt(3)
	v_fmac_f32_e32 v3, v1, v5
	ds_bpermute_b32 v5, v2, v66 offset:24
	ds_bpermute_b32 v1, v2, v66 offset:28
	s_waitcnt lgkmcnt(4)
	v_fmac_f32_e32 v3, v4, v6
	s_waitcnt lgkmcnt(3)
	s_delay_alu instid0(VALU_DEP_1) | instskip(SKIP_1) | instid1(VALU_DEP_1)
	v_dual_mul_f32 v4, v14, v22 :: v_dual_fmac_f32 v3, v7, v8
	s_waitcnt lgkmcnt(2)
	v_dual_fmac_f32 v3, v4, v9 :: v_dual_mul_f32 v4, v15, v23
	s_waitcnt lgkmcnt(1)
	s_delay_alu instid0(VALU_DEP_1)
	v_fmac_f32_e32 v3, v4, v5
	s_branch .LBB155_40
.LBB155_25:                             ;   in Loop: Header=BB155_3 Depth=1
                                        ; implicit-def: $vgpr3
                                        ; implicit-def: $vgpr9_vgpr10_vgpr11_vgpr12_vgpr13_vgpr14_vgpr15_vgpr16
                                        ; implicit-def: $vgpr17_vgpr18_vgpr19_vgpr20_vgpr21_vgpr22_vgpr23_vgpr24
                                        ; implicit-def: $vgpr1
	s_cbranch_execz .LBB155_40
; %bb.26:                               ;   in Loop: Header=BB155_3 Depth=1
	s_load_b32 s25, s[6:7], 0x0
	v_mov_b32_e32 v66, 0
	s_waitcnt lgkmcnt(0)
	s_cmp_lt_u32 s14, s25
	s_cselect_b32 s25, 12, 18
	s_delay_alu instid0(SALU_CYCLE_1)
	s_add_u32 s26, s6, s25
	s_addc_u32 s27, s7, 0
	s_mov_b32 s25, exec_lo
	global_load_u16 v1, v2, s[26:27]
	s_waitcnt vmcnt(0)
	v_mad_u32_u24 v1, v29, v1, v31
	s_delay_alu instid0(VALU_DEP_1) | instskip(NEXT) | instid1(VALU_DEP_1)
	v_and_b32_e32 v1, 31, v1
	v_cmpx_gt_u32_e32 8, v1
	s_cbranch_execz .LBB155_30
; %bb.27:                               ;   in Loop: Header=BB155_3 Depth=1
	v_add_co_u32 v3, vcc_lo, v27, v1
	v_add_co_ci_u32_e32 v4, vcc_lo, 0, v28, vcc_lo
	v_mov_b32_e32 v66, 0
	s_mov_b32 s26, exec_lo
	s_delay_alu instid0(VALU_DEP_2)
	v_cmpx_gt_i64_e64 s[16:17], v[3:4]
	s_cbranch_execz .LBB155_29
; %bb.28:                               ;   in Loop: Header=BB155_3 Depth=1
	v_lshlrev_b64 v[3:4], 2, v[3:4]
	s_delay_alu instid0(VALU_DEP_1) | instskip(NEXT) | instid1(VALU_DEP_2)
	v_add_co_u32 v3, vcc_lo, s12, v3
	v_add_co_ci_u32_e32 v4, vcc_lo, s13, v4, vcc_lo
	global_load_b32 v66, v[3:4], off
.LBB155_29:                             ;   in Loop: Header=BB155_3 Depth=1
	s_or_b32 exec_lo, exec_lo, s26
.LBB155_30:                             ;   in Loop: Header=BB155_3 Depth=1
	s_delay_alu instid0(SALU_CYCLE_1)
	s_or_b32 exec_lo, exec_lo, s25
	s_mov_b32 s30, s24
	s_mov_b32 s31, s24
	;; [unrolled: 1-line block ×7, first 2 shown]
	v_dual_mov_b32 v9, s24 :: v_dual_mov_b32 v10, s25
	v_dual_mov_b32 v15, s30 :: v_dual_mov_b32 v16, s31
	;; [unrolled: 1-line block ×4, first 2 shown]
	s_delay_alu instid0(VALU_DEP_3) | instskip(NEXT) | instid1(VALU_DEP_3)
	v_dual_mov_b32 v24, v16 :: v_dual_mov_b32 v23, v15
	v_dual_mov_b32 v20, v12 :: v_dual_mov_b32 v19, v11
	s_delay_alu instid0(VALU_DEP_3)
	v_dual_mov_b32 v22, v14 :: v_dual_mov_b32 v21, v13
	v_dual_mov_b32 v18, v10 :: v_dual_mov_b32 v17, v9
	s_and_saveexec_b32 s25, s3
	s_cbranch_execnz .LBB155_42
; %bb.31:                               ;   in Loop: Header=BB155_3 Depth=1
	s_or_b32 exec_lo, exec_lo, s25
	s_and_saveexec_b32 s25, s3
	s_cbranch_execnz .LBB155_43
.LBB155_32:                             ;   in Loop: Header=BB155_3 Depth=1
	s_or_b32 exec_lo, exec_lo, s25
	s_and_saveexec_b32 s25, s3
	s_cbranch_execnz .LBB155_44
.LBB155_33:                             ;   in Loop: Header=BB155_3 Depth=1
	s_or_b32 exec_lo, exec_lo, s25
	s_and_saveexec_b32 s25, s3
	s_cbranch_execnz .LBB155_45
.LBB155_34:                             ;   in Loop: Header=BB155_3 Depth=1
	s_or_b32 exec_lo, exec_lo, s25
	s_and_saveexec_b32 s25, s3
	s_cbranch_execnz .LBB155_46
.LBB155_35:                             ;   in Loop: Header=BB155_3 Depth=1
	s_or_b32 exec_lo, exec_lo, s25
	s_and_saveexec_b32 s25, s3
	s_cbranch_execnz .LBB155_47
.LBB155_36:                             ;   in Loop: Header=BB155_3 Depth=1
	s_or_b32 exec_lo, exec_lo, s25
	s_and_saveexec_b32 s25, s3
	s_cbranch_execnz .LBB155_48
.LBB155_37:                             ;   in Loop: Header=BB155_3 Depth=1
	s_or_b32 exec_lo, exec_lo, s25
	s_and_saveexec_b32 s25, s3
	s_cbranch_execz .LBB155_39
.LBB155_38:                             ;   in Loop: Header=BB155_3 Depth=1
	v_add_co_u32 v3, vcc_lo, v33, v25
	v_add_co_ci_u32_e32 v4, vcc_lo, v34, v26, vcc_lo
	v_add_co_u32 v5, vcc_lo, v35, v25
	v_add_co_ci_u32_e32 v6, vcc_lo, v36, v26, vcc_lo
	global_load_b32 v24, v[3:4], off
	global_load_b32 v16, v[5:6], off
.LBB155_39:                             ;   in Loop: Header=BB155_3 Depth=1
	s_or_b32 exec_lo, exec_lo, s25
	s_waitcnt vmcnt(0)
	ds_bpermute_b32 v1, v2, v66
	ds_bpermute_b32 v3, v2, v66 offset:4
	ds_bpermute_b32 v4, v2, v66 offset:8
	v_mul_f32_e32 v5, v9, v17
	ds_bpermute_b32 v6, v2, v66 offset:12
	v_mul_f32_e32 v7, v10, v18
	ds_bpermute_b32 v8, v2, v66 offset:16
	s_waitcnt lgkmcnt(4)
	v_fmac_f32_e32 v65, v5, v1
	v_mul_f32_e32 v1, v11, v19
	ds_bpermute_b32 v5, v2, v66 offset:20
	s_waitcnt lgkmcnt(4)
	v_fmac_f32_e32 v65, v7, v3
	v_mul_f32_e32 v3, v12, v20
	s_waitcnt lgkmcnt(3)
	s_delay_alu instid0(VALU_DEP_2)
	v_fmac_f32_e32 v65, v1, v4
	ds_bpermute_b32 v4, v2, v66 offset:24
	v_mul_f32_e32 v1, v13, v21
	s_waitcnt lgkmcnt(3)
	v_fmac_f32_e32 v65, v3, v6
	v_mul_f32_e32 v3, v14, v22
	s_waitcnt lgkmcnt(2)
	s_delay_alu instid0(VALU_DEP_2)
	v_fmac_f32_e32 v65, v1, v8
	ds_bpermute_b32 v1, v2, v66 offset:28
	s_waitcnt lgkmcnt(2)
	v_fmac_f32_e32 v65, v3, v5
	v_mul_f32_e32 v3, v15, v23
	s_waitcnt lgkmcnt(1)
	s_delay_alu instid0(VALU_DEP_1) | instskip(NEXT) | instid1(VALU_DEP_1)
	v_fmac_f32_e32 v65, v3, v4
	v_mov_b32_e32 v3, v65
.LBB155_40:                             ;   in Loop: Header=BB155_3 Depth=1
	v_add_co_u32 v33, vcc_lo, v33, s8
	v_add_co_ci_u32_e32 v34, vcc_lo, s9, v34, vcc_lo
	v_add_co_u32 v35, vcc_lo, v35, s8
	v_add_co_ci_u32_e32 v36, vcc_lo, s9, v36, vcc_lo
	;; [unrolled: 2-line block ×14, first 2 shown]
	v_add_co_u32 v30, vcc_lo, v30, s36
	s_add_u32 s10, s10, s36
	v_add_co_ci_u32_e32 v32, vcc_lo, 0, v32, vcc_lo
	v_mul_f32_e32 v4, v24, v16
	s_addc_u32 s11, s11, 0
	v_add_co_u32 v61, vcc_lo, v61, s8
	v_add_co_ci_u32_e32 v62, vcc_lo, s9, v62, vcc_lo
	v_cmp_lt_i64_e64 s25, s[10:11], s[16:17]
	v_add_co_u32 v63, vcc_lo, v63, s8
	s_waitcnt lgkmcnt(0)
	v_fmac_f32_e32 v3, v4, v1
	v_add_co_ci_u32_e32 v64, vcc_lo, s9, v64, vcc_lo
	s_add_u32 s4, s4, s36
	s_addc_u32 s5, s5, 0
	s_and_b32 vcc_lo, exec_lo, s25
	s_cbranch_vccz .LBB155_50
; %bb.41:                               ;   in Loop: Header=BB155_3 Depth=1
	v_mov_b32_e32 v65, v3
	s_branch .LBB155_3
.LBB155_42:                             ;   in Loop: Header=BB155_3 Depth=1
	v_add_co_u32 v3, vcc_lo, v61, v25
	v_add_co_ci_u32_e32 v4, vcc_lo, v62, v26, vcc_lo
	v_mov_b32_e32 v8, v2
	v_mov_b32_e32 v5, v2
	;; [unrolled: 1-line block ×3, first 2 shown]
	global_load_b32 v1, v[3:4], off
	v_add_co_u32 v3, vcc_lo, v63, v25
	v_add_co_ci_u32_e32 v4, vcc_lo, v64, v26, vcc_lo
	v_mov_b32_e32 v7, v2
	v_mov_b32_e32 v15, v2
	global_load_b32 v9, v[3:4], off
	v_mov_b32_e32 v3, v2
	v_mov_b32_e32 v4, v2
	s_waitcnt vmcnt(1)
	v_dual_mov_b32 v11, v2 :: v_dual_mov_b32 v24, v8
	v_dual_mov_b32 v10, v2 :: v_dual_mov_b32 v23, v7
	;; [unrolled: 1-line block ×5, first 2 shown]
	v_mov_b32_e32 v16, v2
	v_mov_b32_e32 v22, v6
	v_dual_mov_b32 v18, v2 :: v_dual_mov_b32 v17, v1
	s_or_b32 exec_lo, exec_lo, s25
	s_and_saveexec_b32 s25, s3
	s_cbranch_execz .LBB155_32
.LBB155_43:                             ;   in Loop: Header=BB155_3 Depth=1
	v_add_co_u32 v3, vcc_lo, v57, v25
	v_add_co_ci_u32_e32 v4, vcc_lo, v58, v26, vcc_lo
	v_add_co_u32 v5, vcc_lo, v59, v25
	v_add_co_ci_u32_e32 v6, vcc_lo, v60, v26, vcc_lo
	global_load_b32 v18, v[3:4], off
	global_load_b32 v10, v[5:6], off
	s_or_b32 exec_lo, exec_lo, s25
	s_and_saveexec_b32 s25, s3
	s_cbranch_execz .LBB155_33
.LBB155_44:                             ;   in Loop: Header=BB155_3 Depth=1
	v_add_co_u32 v3, vcc_lo, v53, v25
	v_add_co_ci_u32_e32 v4, vcc_lo, v54, v26, vcc_lo
	v_add_co_u32 v5, vcc_lo, v55, v25
	v_add_co_ci_u32_e32 v6, vcc_lo, v56, v26, vcc_lo
	global_load_b32 v19, v[3:4], off
	global_load_b32 v11, v[5:6], off
	s_or_b32 exec_lo, exec_lo, s25
	s_and_saveexec_b32 s25, s3
	s_cbranch_execz .LBB155_34
.LBB155_45:                             ;   in Loop: Header=BB155_3 Depth=1
	v_add_co_u32 v3, vcc_lo, v49, v25
	v_add_co_ci_u32_e32 v4, vcc_lo, v50, v26, vcc_lo
	v_add_co_u32 v5, vcc_lo, v51, v25
	v_add_co_ci_u32_e32 v6, vcc_lo, v52, v26, vcc_lo
	global_load_b32 v20, v[3:4], off
	global_load_b32 v12, v[5:6], off
	s_or_b32 exec_lo, exec_lo, s25
	s_and_saveexec_b32 s25, s3
	s_cbranch_execz .LBB155_35
.LBB155_46:                             ;   in Loop: Header=BB155_3 Depth=1
	v_add_co_u32 v3, vcc_lo, v45, v25
	v_add_co_ci_u32_e32 v4, vcc_lo, v46, v26, vcc_lo
	v_add_co_u32 v5, vcc_lo, v47, v25
	v_add_co_ci_u32_e32 v6, vcc_lo, v48, v26, vcc_lo
	global_load_b32 v21, v[3:4], off
	global_load_b32 v13, v[5:6], off
	s_or_b32 exec_lo, exec_lo, s25
	s_and_saveexec_b32 s25, s3
	s_cbranch_execz .LBB155_36
.LBB155_47:                             ;   in Loop: Header=BB155_3 Depth=1
	v_add_co_u32 v3, vcc_lo, v41, v25
	v_add_co_ci_u32_e32 v4, vcc_lo, v42, v26, vcc_lo
	v_add_co_u32 v5, vcc_lo, v43, v25
	v_add_co_ci_u32_e32 v6, vcc_lo, v44, v26, vcc_lo
	global_load_b32 v22, v[3:4], off
	global_load_b32 v14, v[5:6], off
	s_or_b32 exec_lo, exec_lo, s25
	s_and_saveexec_b32 s25, s3
	s_cbranch_execz .LBB155_37
.LBB155_48:                             ;   in Loop: Header=BB155_3 Depth=1
	v_add_co_u32 v3, vcc_lo, v37, v25
	v_add_co_ci_u32_e32 v4, vcc_lo, v38, v26, vcc_lo
	v_add_co_u32 v5, vcc_lo, v39, v25
	v_add_co_ci_u32_e32 v6, vcc_lo, v40, v26, vcc_lo
	global_load_b32 v23, v[3:4], off
	global_load_b32 v15, v[5:6], off
	s_or_b32 exec_lo, exec_lo, s25
	s_and_saveexec_b32 s25, s3
	s_cbranch_execnz .LBB155_38
	s_branch .LBB155_39
.LBB155_49:
                                        ; implicit-def: $vgpr3
	s_load_b64 s[24:25], s[0:1], 0x30
	s_branch .LBB155_51
.LBB155_50:
	s_load_b64 s[24:25], s[0:1], 0x30
	s_cbranch_execnz .LBB155_83
.LBB155_51:
	v_mov_b32_e32 v3, 0
	s_and_not1_b32 vcc_lo, exec_lo, s33
	s_cbranch_vccnz .LBB155_83
; %bb.52:
	v_bfe_u32 v57, v0, 10, 10
	v_mov_b32_e32 v2, 0
	s_add_u32 s26, s0, 64
	s_addc_u32 s27, s1, 0
	s_lshl_b64 s[6:7], s[34:35], 2
	v_lshlrev_b32_e32 v3, 5, v57
	s_load_b32 s3, s[0:1], 0x44
	v_dual_mov_b32 v93, 0 :: v_dual_and_b32 v58, 0x3ff, v0
	v_mov_b32_e32 v60, v2
	s_delay_alu instid0(VALU_DEP_3) | instskip(NEXT) | instid1(VALU_DEP_1)
	v_add_co_u32 v3, s5, v3, s6
	v_add_co_ci_u32_e64 v4, null, 0, s7, s5
	s_delay_alu instid0(VALU_DEP_4) | instskip(NEXT) | instid1(VALU_DEP_3)
	v_add_nc_u32_e32 v1, s15, v58
	v_add_co_u32 v7, vcc_lo, v3, 4
	s_delay_alu instid0(VALU_DEP_3) | instskip(NEXT) | instid1(VALU_DEP_3)
	v_add_co_ci_u32_e32 v5, vcc_lo, 0, v4, vcc_lo
	v_lshlrev_b64 v[27:28], 2, v[1:2]
	v_add_co_u32 v1, vcc_lo, v3, 8
	s_delay_alu instid0(VALU_DEP_3) | instskip(SKIP_3) | instid1(VALU_DEP_3)
	v_mul_lo_u32 v8, s18, v5
	v_add_co_ci_u32_e32 v5, vcc_lo, 0, v4, vcc_lo
	v_add_co_u32 v11, vcc_lo, v3, 12
	v_lshlrev_b32_e32 v59, 3, v57
	v_mul_lo_u32 v10, s18, v5
	v_add_co_ci_u32_e32 v5, vcc_lo, 0, v4, vcc_lo
	v_add_co_u32 v13, vcc_lo, v3, 16
	s_waitcnt lgkmcnt(0)
	s_lshl_b32 s15, s3, 3
	v_add_co_ci_u32_e32 v6, vcc_lo, 0, v4, vcc_lo
	v_add_co_u32 v17, vcc_lo, v3, 20
	s_mul_i32 s3, s19, s15
	s_mul_hi_u32 s5, s18, s15
	v_mul_lo_u32 v14, s18, v5
	v_add_co_ci_u32_e32 v5, vcc_lo, 0, v4, vcc_lo
	s_add_i32 s7, s5, s3
	v_add_co_u32 v19, vcc_lo, v3, 24
	v_add_co_u32 v24, s3, v59, s34
	v_mul_lo_u32 v16, s18, v6
	v_add_co_ci_u32_e32 v6, vcc_lo, 0, v4, vcc_lo
	v_add_co_ci_u32_e64 v55, null, 0, 0, s3
	v_add_co_u32 v56, vcc_lo, v3, 28
	v_mul_lo_u32 v20, s18, v5
	s_delay_alu instid0(VALU_DEP_4) | instskip(SKIP_4) | instid1(VALU_DEP_4)
	v_mul_lo_u32 v22, s18, v6
	v_add_co_ci_u32_e32 v5, vcc_lo, 0, v4, vcc_lo
	v_mul_lo_u32 v6, s19, v24
	v_mul_lo_u32 v41, s18, v55
	v_mad_u64_u32 v[3:4], null, s18, v24, 0
	v_mul_lo_u32 v63, s18, v5
	v_mad_u64_u32 v[25:26], null, s18, v7, s[20:21]
	;; [unrolled: 2-line block ×3, first 2 shown]
	v_add3_u32 v4, v4, v41, v6
	v_mul_lo_u32 v12, s19, v1
	v_mad_u64_u32 v[41:42], null, s18, v7, s[22:23]
	v_mad_u64_u32 v[43:44], null, s18, v1, s[22:23]
	s_delay_alu instid0(VALU_DEP_4) | instskip(SKIP_3) | instid1(VALU_DEP_4)
	v_lshlrev_b64 v[5:6], 2, v[3:4]
	v_mad_u64_u32 v[31:32], null, s18, v11, s[20:21]
	v_mul_lo_u32 v15, s19, v11
	v_mad_u64_u32 v[45:46], null, s18, v11, s[22:23]
	v_add_co_u32 v61, vcc_lo, s20, v5
	v_add_co_ci_u32_e32 v62, vcc_lo, s21, v6, vcc_lo
	v_add_co_u32 v1, vcc_lo, v24, 7
	v_add_co_ci_u32_e32 v7, vcc_lo, 0, v55, vcc_lo
	v_mad_u64_u32 v[33:34], null, s18, v13, s[20:21]
	v_mul_lo_u32 v18, s19, v13
	v_mad_u64_u32 v[47:48], null, s18, v13, s[22:23]
	v_add_co_u32 v13, vcc_lo, v24, 6
	v_add3_u32 v26, v9, v26, v8
	v_add3_u32 v30, v12, v30, v10
	;; [unrolled: 1-line block ×4, first 2 shown]
	v_mul_lo_u32 v11, s19, v1
	v_mul_lo_u32 v12, s18, v7
	v_mad_u64_u32 v[7:8], null, s18, v1, 0
	v_add_co_ci_u32_e32 v9, vcc_lo, 0, v55, vcc_lo
	v_mad_u64_u32 v[39:40], null, s18, v56, s[20:21]
	v_mul_lo_u32 v64, s19, v56
	v_mad_u64_u32 v[53:54], null, s18, v56, s[22:23]
	v_add3_u32 v32, v15, v32, v14
	v_add3_u32 v46, v15, v46, v14
	v_mul_lo_u32 v1, s19, v13
	v_mul_lo_u32 v14, s18, v9
	v_mad_u64_u32 v[9:10], null, s18, v13, 0
	v_add3_u32 v8, v8, v12, v11
	v_add3_u32 v40, v64, v40, v63
	;; [unrolled: 1-line block ×3, first 2 shown]
	v_add_co_u32 v63, vcc_lo, s22, v5
	v_add_co_ci_u32_e32 v64, vcc_lo, s23, v6, vcc_lo
	v_lshlrev_b64 v[5:6], 2, v[7:8]
	v_add3_u32 v10, v10, v14, v1
	v_add_co_u32 v1, vcc_lo, v24, 5
	v_add_co_ci_u32_e32 v11, vcc_lo, 0, v55, vcc_lo
	s_delay_alu instid0(VALU_DEP_4) | instskip(NEXT) | instid1(VALU_DEP_4)
	v_add_co_u32 v65, vcc_lo, s20, v5
	v_lshlrev_b64 v[7:8], 2, v[9:10]
	v_add_co_ci_u32_e32 v66, vcc_lo, s21, v6, vcc_lo
	v_mul_lo_u32 v12, s19, v1
	v_mul_lo_u32 v11, s18, v11
	v_mad_u64_u32 v[9:10], null, s18, v1, 0
	v_add_co_u32 v67, vcc_lo, s22, v5
	v_add_co_ci_u32_e32 v68, vcc_lo, s23, v6, vcc_lo
	v_add_co_u32 v69, vcc_lo, s20, v7
	v_add_co_ci_u32_e32 v70, vcc_lo, s21, v8, vcc_lo
	v_add_co_u32 v1, vcc_lo, v24, 4
	v_add3_u32 v10, v10, v11, v12
	v_add_co_u32 v71, s3, s22, v7
	v_add_co_ci_u32_e32 v7, vcc_lo, 0, v55, vcc_lo
	v_add_co_u32 v12, vcc_lo, v24, 3
	s_delay_alu instid0(VALU_DEP_4)
	v_lshlrev_b64 v[5:6], 2, v[9:10]
	v_add_co_ci_u32_e32 v9, vcc_lo, 0, v55, vcc_lo
	v_add_co_ci_u32_e64 v72, s3, s23, v8, s3
	v_mul_lo_u32 v11, s19, v1
	v_mul_lo_u32 v13, s18, v7
	v_mad_u64_u32 v[7:8], null, s18, v1, 0
	v_mul_lo_u32 v1, s19, v12
	v_mul_lo_u32 v14, s18, v9
	v_mad_u64_u32 v[9:10], null, s18, v12, 0
	v_add_co_u32 v73, vcc_lo, s20, v5
	v_add_co_ci_u32_e32 v74, vcc_lo, s21, v6, vcc_lo
	v_add3_u32 v8, v8, v13, v11
	v_add_co_u32 v75, vcc_lo, s22, v5
	v_add_co_ci_u32_e32 v76, vcc_lo, s23, v6, vcc_lo
	v_add3_u32 v10, v10, v14, v1
	v_add_co_u32 v1, vcc_lo, v24, 2
	v_lshlrev_b64 v[5:6], 2, v[7:8]
	v_add_co_ci_u32_e32 v11, vcc_lo, 0, v55, vcc_lo
	s_delay_alu instid0(VALU_DEP_4) | instskip(NEXT) | instid1(VALU_DEP_4)
	v_lshlrev_b64 v[7:8], 2, v[9:10]
	v_mul_lo_u32 v12, s19, v1
	v_mad_u64_u32 v[9:10], null, s18, v1, 0
	v_add_co_u32 v77, vcc_lo, s20, v5
	v_mul_lo_u32 v11, s18, v11
	v_add_co_ci_u32_e32 v78, vcc_lo, s21, v6, vcc_lo
	v_add_co_u32 v79, vcc_lo, s22, v5
	v_add_co_ci_u32_e32 v80, vcc_lo, s23, v6, vcc_lo
	v_add_co_u32 v81, vcc_lo, s20, v7
	v_add_co_ci_u32_e32 v82, vcc_lo, s21, v8, vcc_lo
	v_add3_u32 v10, v10, v11, v12
	v_add_co_u32 v83, vcc_lo, s22, v7
	v_add_co_ci_u32_e32 v84, vcc_lo, s23, v8, vcc_lo
	v_add_co_u32 v3, vcc_lo, v3, s18
	s_delay_alu instid0(VALU_DEP_4) | instskip(SKIP_3) | instid1(VALU_DEP_4)
	v_lshlrev_b64 v[5:6], 2, v[9:10]
	v_add_co_ci_u32_e32 v4, vcc_lo, s19, v4, vcc_lo
	v_mad_u64_u32 v[35:36], null, s18, v17, s[20:21]
	v_mul_lo_u32 v21, s19, v17
	v_add_co_u32 v85, vcc_lo, s20, v5
	s_delay_alu instid0(VALU_DEP_4)
	v_lshlrev_b64 v[3:4], 2, v[3:4]
	v_add_co_ci_u32_e32 v86, vcc_lo, s21, v6, vcc_lo
	v_mad_u64_u32 v[37:38], null, s18, v19, s[20:21]
	v_mul_lo_u32 v23, s19, v19
	v_mad_u64_u32 v[49:50], null, s18, v17, s[22:23]
	v_mad_u64_u32 v[51:52], null, s18, v19, s[22:23]
	v_add_co_u32 v87, vcc_lo, s22, v5
	v_add_co_ci_u32_e32 v88, vcc_lo, s23, v6, vcc_lo
	v_add_co_u32 v89, vcc_lo, s20, v3
	v_add_co_ci_u32_e32 v90, vcc_lo, s21, v4, vcc_lo
	v_add_co_u32 v91, vcc_lo, s22, v3
	v_add3_u32 v34, v18, v34, v16
	v_add3_u32 v36, v21, v36, v20
	;; [unrolled: 1-line block ×6, first 2 shown]
	v_add_co_ci_u32_e32 v92, vcc_lo, s23, v4, vcc_lo
	s_mul_i32 s6, s18, s15
	s_mov_b32 s4, 0
	s_lshl_b64 s[20:21], s[6:7], 2
	s_mov_b64 s[22:23], 7
	s_mov_b64 s[28:29], s[34:35]
.LBB155_53:                             ; =>This Inner Loop Header: Depth=1
	s_add_u32 s6, s34, s22
	s_addc_u32 s7, 0, s23
	v_add_co_u32 v55, vcc_lo, s34, v59
	v_cmp_ge_i64_e64 s3, s[6:7], s[16:17]
	v_add_co_ci_u32_e32 v56, vcc_lo, 0, v60, vcc_lo
	s_delay_alu instid0(VALU_DEP_2)
	s_and_b32 vcc_lo, exec_lo, s3
	s_cbranch_vccz .LBB155_75
; %bb.54:                               ;   in Loop: Header=BB155_53 Depth=1
	s_load_b32 s3, s[26:27], 0xc
	v_mov_b32_e32 v94, 0
	s_waitcnt lgkmcnt(0)
	s_and_b32 s3, s3, 0xffff
	s_delay_alu instid0(SALU_CYCLE_1) | instskip(SKIP_1) | instid1(VALU_DEP_1)
	v_mad_u32_u24 v1, v57, s3, v58
	s_mov_b32 s3, exec_lo
	v_and_b32_e32 v1, 31, v1
	s_delay_alu instid0(VALU_DEP_1)
	v_cmpx_gt_u32_e32 8, v1
	s_cbranch_execz .LBB155_58
; %bb.55:                               ;   in Loop: Header=BB155_53 Depth=1
	v_add_co_u32 v3, vcc_lo, v55, v1
	v_add_co_ci_u32_e32 v4, vcc_lo, 0, v56, vcc_lo
	v_mov_b32_e32 v94, 0
	s_mov_b32 s5, exec_lo
	s_delay_alu instid0(VALU_DEP_2)
	v_cmpx_gt_i64_e64 s[16:17], v[3:4]
	s_cbranch_execz .LBB155_57
; %bb.56:                               ;   in Loop: Header=BB155_53 Depth=1
	v_lshlrev_b64 v[3:4], 2, v[3:4]
	s_delay_alu instid0(VALU_DEP_1) | instskip(NEXT) | instid1(VALU_DEP_2)
	v_add_co_u32 v3, vcc_lo, s12, v3
	v_add_co_ci_u32_e32 v4, vcc_lo, s13, v4, vcc_lo
	global_load_b32 v94, v[3:4], off
.LBB155_57:                             ;   in Loop: Header=BB155_53 Depth=1
	s_or_b32 exec_lo, exec_lo, s5
.LBB155_58:                             ;   in Loop: Header=BB155_53 Depth=1
	s_delay_alu instid0(SALU_CYCLE_1)
	s_or_b32 exec_lo, exec_lo, s3
	s_mov_b32 s11, s4
	s_mov_b32 s5, s4
	;; [unrolled: 1-line block ×7, first 2 shown]
	s_delay_alu instid0(SALU_CYCLE_1) | instskip(SKIP_3) | instid1(VALU_DEP_4)
	v_dual_mov_b32 v16, s11 :: v_dual_mov_b32 v15, s10
	v_dual_mov_b32 v14, s9 :: v_dual_mov_b32 v13, s8
	v_dual_mov_b32 v12, s7 :: v_dual_mov_b32 v11, s6
	v_dual_mov_b32 v10, s5 :: v_dual_mov_b32 v9, s4
	v_dual_mov_b32 v24, v16 :: v_dual_mov_b32 v23, v15
	s_delay_alu instid0(VALU_DEP_4) | instskip(NEXT) | instid1(VALU_DEP_4)
	v_dual_mov_b32 v22, v14 :: v_dual_mov_b32 v21, v13
	v_dual_mov_b32 v20, v12 :: v_dual_mov_b32 v19, v11
	s_delay_alu instid0(VALU_DEP_4)
	v_dual_mov_b32 v18, v10 :: v_dual_mov_b32 v17, v9
	s_mov_b32 s3, exec_lo
	v_cmpx_gt_i64_e64 s[16:17], v[55:56]
	s_cbranch_execz .LBB155_60
; %bb.59:                               ;   in Loop: Header=BB155_53 Depth=1
	v_add_co_u32 v3, vcc_lo, v61, v27
	v_add_co_ci_u32_e32 v4, vcc_lo, v62, v28, vcc_lo
	v_mov_b32_e32 v8, v2
	v_mov_b32_e32 v5, v2
	;; [unrolled: 1-line block ×3, first 2 shown]
	global_load_b32 v1, v[3:4], off
	v_add_co_u32 v3, vcc_lo, v63, v27
	v_add_co_ci_u32_e32 v4, vcc_lo, v64, v28, vcc_lo
	v_mov_b32_e32 v7, v2
	v_mov_b32_e32 v15, v2
	global_load_b32 v9, v[3:4], off
	v_mov_b32_e32 v3, v2
	v_mov_b32_e32 v4, v2
	s_waitcnt vmcnt(1)
	v_dual_mov_b32 v11, v2 :: v_dual_mov_b32 v24, v8
	v_dual_mov_b32 v10, v2 :: v_dual_mov_b32 v23, v7
	;; [unrolled: 1-line block ×5, first 2 shown]
	v_mov_b32_e32 v16, v2
	v_mov_b32_e32 v22, v6
	v_dual_mov_b32 v18, v2 :: v_dual_mov_b32 v17, v1
.LBB155_60:                             ;   in Loop: Header=BB155_53 Depth=1
	s_or_b32 exec_lo, exec_lo, s3
	v_add_co_u32 v3, vcc_lo, v55, 1
	v_add_co_ci_u32_e32 v4, vcc_lo, 0, v56, vcc_lo
	s_mov_b32 s3, exec_lo
	s_delay_alu instid0(VALU_DEP_1)
	v_cmpx_gt_i64_e64 s[16:17], v[3:4]
	s_cbranch_execz .LBB155_62
; %bb.61:                               ;   in Loop: Header=BB155_53 Depth=1
	v_add_co_u32 v3, vcc_lo, v89, v27
	v_add_co_ci_u32_e32 v4, vcc_lo, v90, v28, vcc_lo
	v_add_co_u32 v5, vcc_lo, v91, v27
	v_add_co_ci_u32_e32 v6, vcc_lo, v92, v28, vcc_lo
	global_load_b32 v18, v[3:4], off
	global_load_b32 v10, v[5:6], off
.LBB155_62:                             ;   in Loop: Header=BB155_53 Depth=1
	s_or_b32 exec_lo, exec_lo, s3
	v_add_co_u32 v3, vcc_lo, v55, 2
	v_add_co_ci_u32_e32 v4, vcc_lo, 0, v56, vcc_lo
	s_mov_b32 s3, exec_lo
	s_delay_alu instid0(VALU_DEP_1)
	v_cmpx_gt_i64_e64 s[16:17], v[3:4]
	s_cbranch_execz .LBB155_64
; %bb.63:                               ;   in Loop: Header=BB155_53 Depth=1
	v_add_co_u32 v3, vcc_lo, v85, v27
	v_add_co_ci_u32_e32 v4, vcc_lo, v86, v28, vcc_lo
	v_add_co_u32 v5, vcc_lo, v87, v27
	v_add_co_ci_u32_e32 v6, vcc_lo, v88, v28, vcc_lo
	global_load_b32 v19, v[3:4], off
	global_load_b32 v11, v[5:6], off
.LBB155_64:                             ;   in Loop: Header=BB155_53 Depth=1
	s_or_b32 exec_lo, exec_lo, s3
	v_add_co_u32 v3, vcc_lo, v55, 3
	v_add_co_ci_u32_e32 v4, vcc_lo, 0, v56, vcc_lo
	s_mov_b32 s3, exec_lo
	s_delay_alu instid0(VALU_DEP_1)
	v_cmpx_gt_i64_e64 s[16:17], v[3:4]
	s_cbranch_execz .LBB155_66
; %bb.65:                               ;   in Loop: Header=BB155_53 Depth=1
	v_add_co_u32 v3, vcc_lo, v81, v27
	v_add_co_ci_u32_e32 v4, vcc_lo, v82, v28, vcc_lo
	v_add_co_u32 v5, vcc_lo, v83, v27
	v_add_co_ci_u32_e32 v6, vcc_lo, v84, v28, vcc_lo
	global_load_b32 v20, v[3:4], off
	global_load_b32 v12, v[5:6], off
.LBB155_66:                             ;   in Loop: Header=BB155_53 Depth=1
	s_or_b32 exec_lo, exec_lo, s3
	v_add_co_u32 v3, vcc_lo, v55, 4
	v_add_co_ci_u32_e32 v4, vcc_lo, 0, v56, vcc_lo
	s_mov_b32 s3, exec_lo
	s_delay_alu instid0(VALU_DEP_1)
	v_cmpx_gt_i64_e64 s[16:17], v[3:4]
	s_cbranch_execz .LBB155_68
; %bb.67:                               ;   in Loop: Header=BB155_53 Depth=1
	v_add_co_u32 v3, vcc_lo, v77, v27
	v_add_co_ci_u32_e32 v4, vcc_lo, v78, v28, vcc_lo
	v_add_co_u32 v5, vcc_lo, v79, v27
	v_add_co_ci_u32_e32 v6, vcc_lo, v80, v28, vcc_lo
	global_load_b32 v21, v[3:4], off
	global_load_b32 v13, v[5:6], off
.LBB155_68:                             ;   in Loop: Header=BB155_53 Depth=1
	s_or_b32 exec_lo, exec_lo, s3
	v_add_co_u32 v3, vcc_lo, v55, 5
	v_add_co_ci_u32_e32 v4, vcc_lo, 0, v56, vcc_lo
	s_mov_b32 s3, exec_lo
	s_delay_alu instid0(VALU_DEP_1)
	v_cmpx_gt_i64_e64 s[16:17], v[3:4]
	s_cbranch_execz .LBB155_70
; %bb.69:                               ;   in Loop: Header=BB155_53 Depth=1
	v_add_co_u32 v3, vcc_lo, v73, v27
	v_add_co_ci_u32_e32 v4, vcc_lo, v74, v28, vcc_lo
	v_add_co_u32 v5, vcc_lo, v75, v27
	v_add_co_ci_u32_e32 v6, vcc_lo, v76, v28, vcc_lo
	global_load_b32 v22, v[3:4], off
	global_load_b32 v14, v[5:6], off
.LBB155_70:                             ;   in Loop: Header=BB155_53 Depth=1
	s_or_b32 exec_lo, exec_lo, s3
	v_add_co_u32 v3, vcc_lo, v55, 6
	v_add_co_ci_u32_e32 v4, vcc_lo, 0, v56, vcc_lo
	s_mov_b32 s3, exec_lo
	s_delay_alu instid0(VALU_DEP_1)
	v_cmpx_gt_i64_e64 s[16:17], v[3:4]
	s_cbranch_execz .LBB155_72
; %bb.71:                               ;   in Loop: Header=BB155_53 Depth=1
	v_add_co_u32 v3, vcc_lo, v69, v27
	v_add_co_ci_u32_e32 v4, vcc_lo, v70, v28, vcc_lo
	v_add_co_u32 v5, vcc_lo, v71, v27
	v_add_co_ci_u32_e32 v6, vcc_lo, v72, v28, vcc_lo
	global_load_b32 v23, v[3:4], off
	global_load_b32 v15, v[5:6], off
.LBB155_72:                             ;   in Loop: Header=BB155_53 Depth=1
	s_or_b32 exec_lo, exec_lo, s3
	v_add_co_u32 v3, vcc_lo, v55, 7
	v_add_co_ci_u32_e32 v4, vcc_lo, 0, v56, vcc_lo
	s_mov_b32 s3, exec_lo
	s_delay_alu instid0(VALU_DEP_1)
	v_cmpx_gt_i64_e64 s[16:17], v[3:4]
	s_cbranch_execz .LBB155_74
; %bb.73:                               ;   in Loop: Header=BB155_53 Depth=1
	v_add_co_u32 v3, vcc_lo, v65, v27
	v_add_co_ci_u32_e32 v4, vcc_lo, v66, v28, vcc_lo
	v_add_co_u32 v5, vcc_lo, v67, v27
	v_add_co_ci_u32_e32 v6, vcc_lo, v68, v28, vcc_lo
	global_load_b32 v24, v[3:4], off
	global_load_b32 v16, v[5:6], off
.LBB155_74:                             ;   in Loop: Header=BB155_53 Depth=1
	s_or_b32 exec_lo, exec_lo, s3
	s_waitcnt vmcnt(0)
	ds_bpermute_b32 v1, v2, v94
	ds_bpermute_b32 v4, v2, v94 offset:4
	ds_bpermute_b32 v5, v2, v94 offset:8
	v_mul_f32_e32 v3, v9, v17
	ds_bpermute_b32 v6, v2, v94 offset:12
	v_mul_f32_e32 v7, v10, v18
	ds_bpermute_b32 v8, v2, v94 offset:16
	ds_bpermute_b32 v9, v2, v94 offset:20
	s_waitcnt lgkmcnt(5)
	v_fma_f32 v3, v3, v1, v93
	v_mul_f32_e32 v1, v11, v19
	s_waitcnt lgkmcnt(4)
	s_delay_alu instid0(VALU_DEP_2)
	v_fmac_f32_e32 v3, v7, v4
	v_mul_f32_e32 v4, v12, v20
	ds_bpermute_b32 v7, v2, v94 offset:24
	s_waitcnt lgkmcnt(4)
	v_fmac_f32_e32 v3, v1, v5
	v_mul_f32_e32 v1, v13, v21
	v_mul_f32_e32 v5, v14, v22
	s_waitcnt lgkmcnt(3)
	s_delay_alu instid0(VALU_DEP_3)
	v_fmac_f32_e32 v3, v4, v6
	ds_bpermute_b32 v4, v2, v94 offset:28
	s_waitcnt lgkmcnt(3)
	v_fmac_f32_e32 v3, v1, v8
	v_mul_f32_e32 v1, v15, v23
	s_waitcnt lgkmcnt(2)
	s_delay_alu instid0(VALU_DEP_2) | instskip(SKIP_1) | instid1(VALU_DEP_1)
	v_fmac_f32_e32 v3, v5, v9
	s_waitcnt lgkmcnt(1)
	v_fmac_f32_e32 v3, v1, v7
	v_mul_f32_e32 v1, v16, v24
	s_waitcnt lgkmcnt(0)
	s_delay_alu instid0(VALU_DEP_1)
	v_fmac_f32_e32 v3, v1, v4
	s_branch .LBB155_81
.LBB155_75:                             ;   in Loop: Header=BB155_53 Depth=1
                                        ; implicit-def: $vgpr3
	s_cbranch_execz .LBB155_81
; %bb.76:                               ;   in Loop: Header=BB155_53 Depth=1
	s_load_b32 s3, s[26:27], 0x0
	s_waitcnt lgkmcnt(0)
	s_cmp_lt_u32 s14, s3
	s_cselect_b32 s3, 12, 18
	s_delay_alu instid0(SALU_CYCLE_1)
	s_add_u32 s6, s26, s3
	s_addc_u32 s7, s27, 0
	s_mov_b32 s3, exec_lo
	global_load_u16 v1, v2, s[6:7]
	s_waitcnt vmcnt(0)
	v_mad_u32_u24 v1, v57, v1, v58
	s_delay_alu instid0(VALU_DEP_1) | instskip(SKIP_1) | instid1(VALU_DEP_2)
	v_and_b32_e32 v3, 31, v1
	v_mov_b32_e32 v1, 0
	v_cmpx_gt_u32_e32 8, v3
	s_cbranch_execz .LBB155_80
; %bb.77:                               ;   in Loop: Header=BB155_53 Depth=1
	v_add_co_u32 v3, vcc_lo, v55, v3
	v_add_co_ci_u32_e32 v4, vcc_lo, 0, v56, vcc_lo
	v_mov_b32_e32 v1, 0
	s_mov_b32 s5, exec_lo
	s_delay_alu instid0(VALU_DEP_2)
	v_cmpx_gt_i64_e64 s[16:17], v[3:4]
	s_cbranch_execz .LBB155_79
; %bb.78:                               ;   in Loop: Header=BB155_53 Depth=1
	v_lshlrev_b64 v[3:4], 2, v[3:4]
	s_delay_alu instid0(VALU_DEP_1) | instskip(NEXT) | instid1(VALU_DEP_2)
	v_add_co_u32 v3, vcc_lo, s12, v3
	v_add_co_ci_u32_e32 v4, vcc_lo, s13, v4, vcc_lo
	global_load_b32 v1, v[3:4], off
.LBB155_79:                             ;   in Loop: Header=BB155_53 Depth=1
	s_or_b32 exec_lo, exec_lo, s5
.LBB155_80:                             ;   in Loop: Header=BB155_53 Depth=1
	s_delay_alu instid0(SALU_CYCLE_1)
	s_or_b32 exec_lo, exec_lo, s3
	v_add_co_u32 v3, vcc_lo, v61, v27
	v_add_co_ci_u32_e32 v4, vcc_lo, v62, v28, vcc_lo
	v_add_co_u32 v5, vcc_lo, v63, v27
	v_add_co_ci_u32_e32 v6, vcc_lo, v64, v28, vcc_lo
	;; [unrolled: 2-line block ×4, first 2 shown]
	global_load_b32 v13, v[3:4], off
	global_load_b32 v14, v[5:6], off
	;; [unrolled: 1-line block ×4, first 2 shown]
	v_add_co_u32 v3, vcc_lo, v29, v27
	v_add_co_ci_u32_e32 v4, vcc_lo, v30, v28, vcc_lo
	v_add_co_u32 v5, vcc_lo, v43, v27
	v_add_co_ci_u32_e32 v6, vcc_lo, v44, v28, vcc_lo
	;; [unrolled: 2-line block ×5, first 2 shown]
	global_load_b32 v17, v[3:4], off
	global_load_b32 v18, v[5:6], off
	;; [unrolled: 1-line block ×5, first 2 shown]
	v_add_co_u32 v3, vcc_lo, v47, v27
	v_add_co_ci_u32_e32 v4, vcc_lo, v48, v28, vcc_lo
	v_add_co_u32 v5, vcc_lo, v35, v27
	v_add_co_ci_u32_e32 v6, vcc_lo, v36, v28, vcc_lo
	;; [unrolled: 2-line block ×5, first 2 shown]
	global_load_b32 v22, v[3:4], off
	global_load_b32 v23, v[5:6], off
	;; [unrolled: 1-line block ×5, first 2 shown]
	v_add_co_u32 v3, vcc_lo, v39, v27
	v_add_co_ci_u32_e32 v4, vcc_lo, v40, v28, vcc_lo
	v_add_co_u32 v5, vcc_lo, v53, v27
	v_add_co_ci_u32_e32 v6, vcc_lo, v54, v28, vcc_lo
	global_load_b32 v3, v[3:4], off
	global_load_b32 v4, v[5:6], off
	s_waitcnt vmcnt(16)
	ds_bpermute_b32 v5, v2, v1
	ds_bpermute_b32 v6, v2, v1 offset:4
	ds_bpermute_b32 v10, v2, v1 offset:8
	;; [unrolled: 1-line block ×3, first 2 shown]
	s_waitcnt vmcnt(14)
	v_mul_f32_e32 v12, v13, v14
	ds_bpermute_b32 v13, v2, v1 offset:16
	s_waitcnt vmcnt(12) lgkmcnt(4)
	v_dual_mul_f32 v14, v15, v16 :: v_dual_fmac_f32 v93, v12, v5
	ds_bpermute_b32 v5, v2, v1 offset:20
	s_waitcnt lgkmcnt(4)
	v_fmac_f32_e32 v93, v14, v6
	ds_bpermute_b32 v6, v2, v1 offset:24
	ds_bpermute_b32 v1, v2, v1 offset:28
	s_waitcnt vmcnt(10)
	v_mul_f32_e32 v12, v17, v18
	s_waitcnt vmcnt(8)
	v_mul_f32_e32 v14, v19, v20
	;; [unrolled: 2-line block ×3, first 2 shown]
	s_waitcnt lgkmcnt(5)
	v_fmac_f32_e32 v93, v12, v10
	v_mul_f32_e32 v10, v21, v22
	s_waitcnt vmcnt(2) lgkmcnt(4)
	s_delay_alu instid0(VALU_DEP_2) | instskip(SKIP_1) | instid1(VALU_DEP_1)
	v_dual_mul_f32 v8, v8, v9 :: v_dual_fmac_f32 v93, v14, v11
	s_waitcnt lgkmcnt(3)
	v_fmac_f32_e32 v93, v10, v13
	s_waitcnt vmcnt(0)
	v_mul_f32_e32 v3, v3, v4
	s_waitcnt lgkmcnt(2)
	s_delay_alu instid0(VALU_DEP_2) | instskip(SKIP_1) | instid1(VALU_DEP_1)
	v_fmac_f32_e32 v93, v7, v5
	s_waitcnt lgkmcnt(1)
	v_fmac_f32_e32 v93, v8, v6
	s_waitcnt lgkmcnt(0)
	s_delay_alu instid0(VALU_DEP_1) | instskip(NEXT) | instid1(VALU_DEP_1)
	v_fmac_f32_e32 v93, v3, v1
	v_mov_b32_e32 v3, v93
.LBB155_81:                             ;   in Loop: Header=BB155_53 Depth=1
	v_add_co_u32 v59, vcc_lo, v59, s15
	v_add_co_ci_u32_e32 v60, vcc_lo, 0, v60, vcc_lo
	v_add_co_u32 v25, vcc_lo, v25, s20
	v_add_co_ci_u32_e32 v26, vcc_lo, s21, v26, vcc_lo
	;; [unrolled: 2-line block ×28, first 2 shown]
	v_add_co_u32 v87, vcc_lo, v87, s20
	s_add_u32 s28, s28, s15
	v_add_co_ci_u32_e32 v88, vcc_lo, s21, v88, vcc_lo
	s_addc_u32 s29, s29, 0
	v_add_co_u32 v89, vcc_lo, v89, s20
	v_add_co_ci_u32_e32 v90, vcc_lo, s21, v90, vcc_lo
	v_cmp_ge_i64_e64 s3, s[28:29], s[16:17]
	v_add_co_u32 v91, vcc_lo, v91, s20
	v_add_co_ci_u32_e32 v92, vcc_lo, s21, v92, vcc_lo
	s_add_u32 s22, s22, s15
	s_addc_u32 s23, s23, 0
	s_delay_alu instid0(VALU_DEP_3)
	s_and_b32 vcc_lo, exec_lo, s3
	s_cbranch_vccnz .LBB155_83
; %bb.82:                               ;   in Loop: Header=BB155_53 Depth=1
	v_mov_b32_e32 v93, v3
	s_branch .LBB155_53
.LBB155_83:
	s_mov_b32 s15, 0
	s_delay_alu instid0(SALU_CYCLE_1) | instskip(NEXT) | instid1(SALU_CYCLE_1)
	s_lshl_b64 s[4:5], s[14:15], 5
	v_dual_mov_b32 v2, s5 :: v_dual_and_b32 v1, 0x3ff, v0
	s_waitcnt lgkmcnt(0)
	s_cmp_lg_u64 s[24:25], 0
	s_cselect_b32 s3, -1, 0
	s_delay_alu instid0(VALU_DEP_1) | instskip(NEXT) | instid1(VALU_DEP_1)
	v_or_b32_e32 v1, s4, v1
	v_cmp_gt_i64_e32 vcc_lo, s[18:19], v[1:2]
	s_and_b32 s3, vcc_lo, s3
	s_delay_alu instid0(SALU_CYCLE_1)
	s_and_saveexec_b32 s4, s3
	s_cbranch_execz .LBB155_85
; %bb.84:
	s_load_b32 s0, s[0:1], 0x4c
	v_bfe_u32 v4, v0, 10, 10
	v_mov_b32_e32 v5, 0
	s_waitcnt lgkmcnt(0)
	s_lshr_b32 s0, s0, 16
	s_delay_alu instid0(VALU_DEP_1) | instid1(SALU_CYCLE_1)
	v_mad_u64_u32 v[6:7], null, s0, s2, v[4:5]
	s_delay_alu instid0(VALU_DEP_1) | instskip(NEXT) | instid1(VALU_DEP_2)
	v_mul_lo_u32 v0, v7, s18
	v_mul_lo_u32 v7, v6, s19
	v_mad_u64_u32 v[4:5], null, v6, s18, 0
	s_delay_alu instid0(VALU_DEP_1) | instskip(SKIP_1) | instid1(VALU_DEP_2)
	v_add3_u32 v5, v5, v7, v0
	v_lshlrev_b64 v[0:1], 2, v[1:2]
	v_lshlrev_b64 v[4:5], 2, v[4:5]
	s_delay_alu instid0(VALU_DEP_1) | instskip(NEXT) | instid1(VALU_DEP_2)
	v_add_co_u32 v2, vcc_lo, s24, v4
	v_add_co_ci_u32_e32 v4, vcc_lo, s25, v5, vcc_lo
	s_delay_alu instid0(VALU_DEP_2) | instskip(NEXT) | instid1(VALU_DEP_2)
	v_add_co_u32 v0, vcc_lo, v2, v0
	v_add_co_ci_u32_e32 v1, vcc_lo, v4, v1, vcc_lo
	global_store_b32 v[0:1], v3, off
.LBB155_85:
	s_nop 0
	s_sendmsg sendmsg(MSG_DEALLOC_VGPRS)
	s_endpgm
	.section	.rodata,"a",@progbits
	.p2align	6, 0x0
	.amdhsa_kernel _ZN2at6native12_GLOBAL__N_135GammaBetaBackwardCUDAKernelTemplateIffLj32ELj1ELj8ELb1ELb0ELb1EEEvllPKT_S5_PKT0_S8_PS3_S9_
		.amdhsa_group_segment_fixed_size 0
		.amdhsa_private_segment_fixed_size 0
		.amdhsa_kernarg_size 320
		.amdhsa_user_sgpr_count 14
		.amdhsa_user_sgpr_dispatch_ptr 0
		.amdhsa_user_sgpr_queue_ptr 0
		.amdhsa_user_sgpr_kernarg_segment_ptr 1
		.amdhsa_user_sgpr_dispatch_id 0
		.amdhsa_user_sgpr_private_segment_size 0
		.amdhsa_wavefront_size32 1
		.amdhsa_uses_dynamic_stack 0
		.amdhsa_enable_private_segment 0
		.amdhsa_system_sgpr_workgroup_id_x 1
		.amdhsa_system_sgpr_workgroup_id_y 1
		.amdhsa_system_sgpr_workgroup_id_z 0
		.amdhsa_system_sgpr_workgroup_info 0
		.amdhsa_system_vgpr_workitem_id 1
		.amdhsa_next_free_vgpr 95
		.amdhsa_next_free_sgpr 37
		.amdhsa_reserve_vcc 1
		.amdhsa_float_round_mode_32 0
		.amdhsa_float_round_mode_16_64 0
		.amdhsa_float_denorm_mode_32 3
		.amdhsa_float_denorm_mode_16_64 3
		.amdhsa_dx10_clamp 1
		.amdhsa_ieee_mode 1
		.amdhsa_fp16_overflow 0
		.amdhsa_workgroup_processor_mode 1
		.amdhsa_memory_ordered 1
		.amdhsa_forward_progress 0
		.amdhsa_shared_vgpr_count 0
		.amdhsa_exception_fp_ieee_invalid_op 0
		.amdhsa_exception_fp_denorm_src 0
		.amdhsa_exception_fp_ieee_div_zero 0
		.amdhsa_exception_fp_ieee_overflow 0
		.amdhsa_exception_fp_ieee_underflow 0
		.amdhsa_exception_fp_ieee_inexact 0
		.amdhsa_exception_int_div_zero 0
	.end_amdhsa_kernel
	.section	.text._ZN2at6native12_GLOBAL__N_135GammaBetaBackwardCUDAKernelTemplateIffLj32ELj1ELj8ELb1ELb0ELb1EEEvllPKT_S5_PKT0_S8_PS3_S9_,"axG",@progbits,_ZN2at6native12_GLOBAL__N_135GammaBetaBackwardCUDAKernelTemplateIffLj32ELj1ELj8ELb1ELb0ELb1EEEvllPKT_S5_PKT0_S8_PS3_S9_,comdat
.Lfunc_end155:
	.size	_ZN2at6native12_GLOBAL__N_135GammaBetaBackwardCUDAKernelTemplateIffLj32ELj1ELj8ELb1ELb0ELb1EEEvllPKT_S5_PKT0_S8_PS3_S9_, .Lfunc_end155-_ZN2at6native12_GLOBAL__N_135GammaBetaBackwardCUDAKernelTemplateIffLj32ELj1ELj8ELb1ELb0ELb1EEEvllPKT_S5_PKT0_S8_PS3_S9_
                                        ; -- End function
	.section	.AMDGPU.csdata,"",@progbits
; Kernel info:
; codeLenInByte = 6928
; NumSgprs: 39
; NumVgprs: 95
; ScratchSize: 0
; MemoryBound: 0
; FloatMode: 240
; IeeeMode: 1
; LDSByteSize: 0 bytes/workgroup (compile time only)
; SGPRBlocks: 4
; VGPRBlocks: 11
; NumSGPRsForWavesPerEU: 39
; NumVGPRsForWavesPerEU: 95
; Occupancy: 16
; WaveLimiterHint : 0
; COMPUTE_PGM_RSRC2:SCRATCH_EN: 0
; COMPUTE_PGM_RSRC2:USER_SGPR: 14
; COMPUTE_PGM_RSRC2:TRAP_HANDLER: 0
; COMPUTE_PGM_RSRC2:TGID_X_EN: 1
; COMPUTE_PGM_RSRC2:TGID_Y_EN: 1
; COMPUTE_PGM_RSRC2:TGID_Z_EN: 0
; COMPUTE_PGM_RSRC2:TIDIG_COMP_CNT: 1
	.section	.text._ZN2at6native12_GLOBAL__N_135GammaBetaBackwardCUDAKernelTemplateIffLj32ELj8ELj64ELb0ELb1ELb1EEEvllPKT_S5_PKT0_S8_PS3_S9_,"axG",@progbits,_ZN2at6native12_GLOBAL__N_135GammaBetaBackwardCUDAKernelTemplateIffLj32ELj8ELj64ELb0ELb1ELb1EEEvllPKT_S5_PKT0_S8_PS3_S9_,comdat
	.globl	_ZN2at6native12_GLOBAL__N_135GammaBetaBackwardCUDAKernelTemplateIffLj32ELj8ELj64ELb0ELb1ELb1EEEvllPKT_S5_PKT0_S8_PS3_S9_ ; -- Begin function _ZN2at6native12_GLOBAL__N_135GammaBetaBackwardCUDAKernelTemplateIffLj32ELj8ELj64ELb0ELb1ELb1EEEvllPKT_S5_PKT0_S8_PS3_S9_
	.p2align	8
	.type	_ZN2at6native12_GLOBAL__N_135GammaBetaBackwardCUDAKernelTemplateIffLj32ELj8ELj64ELb0ELb1ELb1EEEvllPKT_S5_PKT0_S8_PS3_S9_,@function
_ZN2at6native12_GLOBAL__N_135GammaBetaBackwardCUDAKernelTemplateIffLj32ELj8ELj64ELb0ELb1ELb1EEEvllPKT_S5_PKT0_S8_PS3_S9_: ; @_ZN2at6native12_GLOBAL__N_135GammaBetaBackwardCUDAKernelTemplateIffLj32ELj8ELj64ELb0ELb1ELb1EEEvllPKT_S5_PKT0_S8_PS3_S9_
; %bb.0:
	s_load_b128 s[4:7], s[0:1], 0x0
	s_mov_b32 s13, 0
	s_lshl_b32 s12, s15, 6
	v_bfe_u32 v7, v0, 10, 10
	s_waitcnt lgkmcnt(0)
	v_cmp_lt_i64_e64 s2, s[12:13], s[4:5]
	s_delay_alu instid0(VALU_DEP_1)
	s_and_b32 vcc_lo, exec_lo, s2
	s_cbranch_vccnz .LBB156_2
; %bb.1:
	v_bfe_u32 v1, v0, 10, 10
	s_mov_b32 s8, 0
	s_mov_b32 s9, s13
	s_branch .LBB156_3
.LBB156_2:
	s_mov_b32 s9, -1
                                        ; implicit-def: $sgpr8
                                        ; implicit-def: $vgpr1
.LBB156_3:
	s_load_b64 s[2:3], s[0:1], 0x30
	v_and_b32_e32 v6, 0x3ff, v0
	v_mov_b32_e32 v0, s8
	s_and_not1_b32 vcc_lo, exec_lo, s9
	s_cbranch_vccnz .LBB156_11
; %bb.4:
	s_clause 0x3
	s_load_b32 s15, s[0:1], 0x4c
	s_load_b32 s16, s[0:1], 0x44
	s_load_b128 s[8:11], s[0:1], 0x10
	s_load_b64 s[18:19], s[0:1], 0x28
	v_dual_mov_b32 v9, 4 :: v_dual_lshlrev_b32 v2, 3, v7
	v_dual_mov_b32 v8, 8 :: v_dual_mov_b32 v1, 0
	v_lshl_add_u32 v0, s14, 5, v6
	s_delay_alu instid0(VALU_DEP_3) | instskip(NEXT) | instid1(VALU_DEP_1)
	v_add_co_u32 v2, s1, v2, s12
	v_add_co_ci_u32_e64 v3, null, 0, 0, s1
	s_delay_alu instid0(VALU_DEP_3) | instskip(NEXT) | instid1(VALU_DEP_3)
	v_lshlrev_b64 v[15:16], 2, v[0:1]
	v_mul_lo_u32 v17, s7, v2
	v_dual_mov_b32 v10, 12 :: v_dual_mov_b32 v11, 16
	s_delay_alu instid0(VALU_DEP_4)
	v_mul_lo_u32 v18, s6, v3
	v_dual_mov_b32 v13, 24 :: v_dual_mov_b32 v14, 28
	s_waitcnt lgkmcnt(0)
	s_and_b32 s0, s15, 0xffff
	s_lshl_b32 s16, s16, 6
	v_mad_u32_u24 v4, v7, s0, v6
	v_mov_b32_e32 v12, 20
	s_mul_i32 s1, s7, s16
	s_mul_hi_u32 s15, s6, s16
	s_delay_alu instid0(VALU_DEP_2) | instskip(SKIP_3) | instid1(VALU_DEP_2)
	v_dual_mov_b32 v0, 0 :: v_dual_and_b32 v21, 31, v4
	v_mad_u64_u32 v[4:5], null, s6, v2, 0
	s_mov_b32 s17, 0
	s_add_i32 s21, s15, s1
	v_add_co_u32 v2, vcc_lo, v2, v21
	v_add_co_ci_u32_e32 v3, vcc_lo, 0, v3, vcc_lo
	s_delay_alu instid0(VALU_DEP_3) | instskip(SKIP_2) | instid1(VALU_DEP_3)
	v_add3_u32 v5, v5, v18, v17
	v_cmp_gt_u32_e64 s0, 8, v21
	s_mul_i32 s20, s6, s16
	v_lshlrev_b64 v[17:18], 2, v[2:3]
	s_lshl_b64 s[20:21], s[20:21], 2
	v_lshlrev_b64 v[19:20], 2, v[4:5]
	s_lshl_b64 s[6:7], s[6:7], 2
	s_delay_alu instid0(VALU_DEP_2) | instskip(NEXT) | instid1(VALU_DEP_3)
	v_add_co_u32 v4, vcc_lo, s18, v17
	v_add_co_ci_u32_e32 v5, vcc_lo, s19, v18, vcc_lo
	s_delay_alu instid0(VALU_DEP_3) | instskip(NEXT) | instid1(VALU_DEP_4)
	v_add_co_u32 v15, vcc_lo, v19, v15
	v_add_co_ci_u32_e32 v16, vcc_lo, v20, v16, vcc_lo
	s_lshl_b64 s[18:19], s[16:17], 2
	s_branch .LBB156_7
.LBB156_5:                              ;   in Loop: Header=BB156_7 Depth=1
	s_or_b32 exec_lo, exec_lo, s15
.LBB156_6:                              ;   in Loop: Header=BB156_7 Depth=1
	s_delay_alu instid0(SALU_CYCLE_1) | instskip(SKIP_4) | instid1(VALU_DEP_4)
	s_or_b32 exec_lo, exec_lo, s1
	v_add_co_u32 v18, vcc_lo, s8, v15
	v_add_co_ci_u32_e32 v19, vcc_lo, s9, v16, vcc_lo
	v_add_co_u32 v20, vcc_lo, s10, v15
	v_add_co_ci_u32_e32 v21, vcc_lo, s11, v16, vcc_lo
	v_add_co_u32 v22, vcc_lo, v18, s6
	s_delay_alu instid0(VALU_DEP_4) | instskip(NEXT) | instid1(VALU_DEP_4)
	v_add_co_ci_u32_e32 v23, vcc_lo, s7, v19, vcc_lo
	v_add_co_u32 v24, vcc_lo, v20, s6
	s_delay_alu instid0(VALU_DEP_4) | instskip(NEXT) | instid1(VALU_DEP_4)
	v_add_co_ci_u32_e32 v25, vcc_lo, s7, v21, vcc_lo
	v_add_co_u32 v26, vcc_lo, v22, s6
	s_delay_alu instid0(VALU_DEP_4)
	v_add_co_ci_u32_e32 v27, vcc_lo, s7, v23, vcc_lo
	global_load_b32 v28, v[18:19], off
	global_load_b32 v29, v[20:21], off
	global_load_b32 v30, v[22:23], off
	global_load_b32 v31, v[24:25], off
	global_load_b32 v32, v[26:27], off
	v_add_co_u32 v18, vcc_lo, v24, s6
	v_add_co_ci_u32_e32 v19, vcc_lo, s7, v25, vcc_lo
	v_add_co_u32 v20, vcc_lo, v26, s6
	v_add_co_ci_u32_e32 v21, vcc_lo, s7, v27, vcc_lo
	s_delay_alu instid0(VALU_DEP_4) | instskip(NEXT) | instid1(VALU_DEP_4)
	v_add_co_u32 v22, vcc_lo, v18, s6
	v_add_co_ci_u32_e32 v23, vcc_lo, s7, v19, vcc_lo
	s_delay_alu instid0(VALU_DEP_4) | instskip(NEXT) | instid1(VALU_DEP_4)
	;; [unrolled: 3-line block ×3, first 2 shown]
	v_add_co_u32 v26, vcc_lo, v22, s6
	v_add_co_ci_u32_e32 v27, vcc_lo, s7, v23, vcc_lo
	global_load_b32 v33, v[18:19], off
	global_load_b32 v34, v[20:21], off
	;; [unrolled: 1-line block ×5, first 2 shown]
	v_add_co_u32 v18, vcc_lo, v24, s6
	v_add_co_ci_u32_e32 v19, vcc_lo, s7, v25, vcc_lo
	v_add_co_u32 v20, vcc_lo, v26, s6
	v_add_co_ci_u32_e32 v21, vcc_lo, s7, v27, vcc_lo
	s_delay_alu instid0(VALU_DEP_4) | instskip(NEXT) | instid1(VALU_DEP_4)
	v_add_co_u32 v22, vcc_lo, v18, s6
	v_add_co_ci_u32_e32 v23, vcc_lo, s7, v19, vcc_lo
	s_delay_alu instid0(VALU_DEP_4) | instskip(NEXT) | instid1(VALU_DEP_4)
	v_add_co_u32 v24, vcc_lo, v20, s6
	v_add_co_ci_u32_e32 v25, vcc_lo, s7, v21, vcc_lo
	global_load_b32 v26, v[18:19], off
	global_load_b32 v27, v[20:21], off
	;; [unrolled: 1-line block ×4, first 2 shown]
	v_add_co_u32 v18, vcc_lo, v22, s6
	v_add_co_ci_u32_e32 v19, vcc_lo, s7, v23, vcc_lo
	v_add_co_u32 v20, vcc_lo, v24, s6
	v_add_co_ci_u32_e32 v21, vcc_lo, s7, v25, vcc_lo
	global_load_b32 v18, v[18:19], off
	global_load_b32 v19, v[20:21], off
	s_waitcnt vmcnt(16)
	ds_bpermute_b32 v20, v1, v17
	ds_bpermute_b32 v21, v9, v17
	;; [unrolled: 1-line block ×4, first 2 shown]
	v_add_co_u32 v4, vcc_lo, v4, s18
	s_add_u32 s12, s12, s16
	v_add_co_ci_u32_e32 v5, vcc_lo, s19, v5, vcc_lo
	s_addc_u32 s13, s13, 0
	v_add_co_u32 v2, vcc_lo, v2, s16
	v_add_co_ci_u32_e32 v3, vcc_lo, 0, v3, vcc_lo
	v_cmp_lt_i64_e64 s1, s[12:13], s[4:5]
	v_add_co_u32 v15, vcc_lo, v15, s20
	v_add_co_ci_u32_e32 v16, vcc_lo, s21, v16, vcc_lo
	s_delay_alu instid0(VALU_DEP_3) | instskip(SKIP_3) | instid1(VALU_DEP_1)
	s_and_b32 vcc_lo, exec_lo, s1
	s_waitcnt vmcnt(14)
	v_mul_f32_e32 v23, v28, v29
	s_waitcnt lgkmcnt(3)
	v_fmac_f32_e32 v0, v23, v20
	s_waitcnt vmcnt(12)
	v_mul_f32_e32 v20, v30, v31
	ds_bpermute_b32 v23, v11, v17
	s_waitcnt lgkmcnt(3)
	v_fmac_f32_e32 v0, v20, v21
	ds_bpermute_b32 v21, v12, v17
	s_waitcnt vmcnt(10)
	v_mul_f32_e32 v20, v32, v33
	s_waitcnt lgkmcnt(3)
	s_delay_alu instid0(VALU_DEP_1)
	v_fmac_f32_e32 v0, v20, v22
	s_waitcnt vmcnt(8)
	v_mul_f32_e32 v20, v34, v35
	ds_bpermute_b32 v22, v13, v17
	ds_bpermute_b32 v17, v14, v17
	s_waitcnt lgkmcnt(4)
	v_fmac_f32_e32 v0, v20, v24
	s_waitcnt vmcnt(6)
	v_mul_f32_e32 v20, v36, v37
	s_waitcnt lgkmcnt(3)
	s_delay_alu instid0(VALU_DEP_1) | instskip(SKIP_3) | instid1(VALU_DEP_1)
	v_fmac_f32_e32 v0, v20, v23
	s_waitcnt vmcnt(4)
	v_mul_f32_e32 v20, v26, v27
	s_waitcnt lgkmcnt(2)
	v_fmac_f32_e32 v0, v20, v21
	s_waitcnt vmcnt(2)
	v_mul_f32_e32 v20, v38, v39
	s_waitcnt lgkmcnt(1)
	s_delay_alu instid0(VALU_DEP_1) | instskip(SKIP_3) | instid1(VALU_DEP_1)
	v_fmac_f32_e32 v0, v20, v22
	s_waitcnt vmcnt(0)
	v_mul_f32_e32 v18, v18, v19
	s_waitcnt lgkmcnt(0)
	v_fmac_f32_e32 v0, v18, v17
	s_cbranch_vccz .LBB156_10
.LBB156_7:                              ; =>This Inner Loop Header: Depth=1
	v_mov_b32_e32 v17, 0
	s_and_saveexec_b32 s1, s0
	s_cbranch_execz .LBB156_6
; %bb.8:                                ;   in Loop: Header=BB156_7 Depth=1
	v_mov_b32_e32 v17, 0
	s_mov_b32 s15, exec_lo
	v_cmpx_gt_i64_e64 s[4:5], v[2:3]
	s_cbranch_execz .LBB156_5
; %bb.9:                                ;   in Loop: Header=BB156_7 Depth=1
	global_load_b32 v17, v[4:5], off
	s_branch .LBB156_5
.LBB156_10:
	v_mov_b32_e32 v1, v7
.LBB156_11:
	s_delay_alu instid0(VALU_DEP_2) | instskip(NEXT) | instid1(VALU_DEP_2)
	v_lshrrev_b32_e32 v3, 5, v6
	v_mad_u32_u24 v2, v1, 33, v6
	s_mov_b32 s15, 0
	s_mov_b32 s0, exec_lo
	s_delay_alu instid0(VALU_DEP_2) | instskip(NEXT) | instid1(VALU_DEP_2)
	v_dual_mov_b32 v4, 0 :: v_dual_add_nc_u32 v7, v3, v1
	v_lshl_add_u32 v2, v2, 2, 0
	ds_store_b32 v2, v0
	ds_store_b32 v2, v4 offset:1056
	s_waitcnt lgkmcnt(0)
	s_barrier
	buffer_gl0_inv
	v_cmpx_gt_u32_e32 32, v7
	s_cbranch_execz .LBB156_18
; %bb.12:
	v_mbcnt_lo_u32_b32 v0, -1, 0
	v_cmp_eq_u32_e64 s0, 0, v6
	s_cmp_lg_u64 s[2:3], 0
	v_and_b32_e32 v2, 31, v6
	s_cselect_b32 s1, -1, 0
	v_xor_b32_e32 v4, 4, v0
	s_and_b32 s4, s0, s1
	v_xor_b32_e32 v5, 2, v0
	v_xor_b32_e32 v6, 1, v0
	v_cmp_gt_u32_e32 vcc_lo, 8, v2
	v_cmp_gt_i32_e64 s0, 32, v4
	v_mul_u32_u24_e32 v8, 0x84, v2
	s_delay_alu instid0(VALU_DEP_2) | instskip(SKIP_1) | instid1(VALU_DEP_2)
	v_cndmask_b32_e64 v4, v0, v4, s0
	v_cmp_gt_i32_e64 s0, 32, v5
	v_lshlrev_b32_e32 v2, 2, v4
	s_delay_alu instid0(VALU_DEP_2) | instskip(SKIP_1) | instid1(VALU_DEP_1)
	v_cndmask_b32_e64 v5, v0, v5, s0
	v_cmp_gt_i32_e64 s0, 32, v6
	v_cndmask_b32_e64 v4, v0, v6, s0
	v_add_co_u32 v0, s0, v3, v1
	s_delay_alu instid0(VALU_DEP_1) | instskip(SKIP_3) | instid1(VALU_DEP_2)
	v_add_co_ci_u32_e64 v1, null, 0, 0, s0
	s_lshl_b64 s[0:1], s[14:15], 7
	v_lshlrev_b32_e32 v6, 2, v7
	s_add_u32 s0, s2, s0
	v_lshlrev_b64 v[0:1], 2, v[0:1]
	s_addc_u32 s1, s3, s1
	v_lshlrev_b32_e32 v3, 2, v5
	v_lshlrev_b32_e32 v4, 2, v4
	v_add3_u32 v5, v8, v6, 0
	v_add_nc_u32_e32 v6, -8, v7
	v_add_co_u32 v0, s0, s0, v0
	s_delay_alu instid0(VALU_DEP_1)
	v_add_co_ci_u32_e64 v1, s0, s1, v1, s0
                                        ; implicit-def: $vgpr7
	s_set_inst_prefetch_distance 0x1
	s_branch .LBB156_14
	.p2align	6
.LBB156_13:                             ;   in Loop: Header=BB156_14 Depth=1
	s_or_b32 exec_lo, exec_lo, s0
	v_add_nc_u32_e32 v6, 8, v6
	v_add_co_u32 v0, s1, v0, 32
	v_add_nc_u32_e32 v5, 32, v5
	v_add_co_ci_u32_e64 v1, s1, 0, v1, s1
	s_delay_alu instid0(VALU_DEP_4) | instskip(NEXT) | instid1(VALU_DEP_1)
	v_cmp_lt_u32_e64 s0, 23, v6
	s_or_b32 s15, s0, s15
	s_delay_alu instid0(SALU_CYCLE_1)
	s_and_not1_b32 exec_lo, exec_lo, s15
	s_cbranch_execz .LBB156_18
.LBB156_14:                             ; =>This Inner Loop Header: Depth=1
	s_and_saveexec_b32 s0, vcc_lo
	s_cbranch_execz .LBB156_16
; %bb.15:                               ;   in Loop: Header=BB156_14 Depth=1
	ds_load_b32 v7, v5
.LBB156_16:                             ;   in Loop: Header=BB156_14 Depth=1
	s_or_b32 exec_lo, exec_lo, s0
	s_waitcnt lgkmcnt(0)
	ds_bpermute_b32 v8, v2, v7
	s_waitcnt lgkmcnt(0)
	v_add_f32_e32 v7, v7, v8
	ds_bpermute_b32 v8, v3, v7
	s_waitcnt lgkmcnt(0)
	v_add_f32_e32 v7, v7, v8
	;; [unrolled: 3-line block ×3, first 2 shown]
	s_and_saveexec_b32 s0, s4
	s_cbranch_execz .LBB156_13
; %bb.17:                               ;   in Loop: Header=BB156_14 Depth=1
	global_store_b32 v[0:1], v7, off
	s_branch .LBB156_13
.LBB156_18:
	s_set_inst_prefetch_distance 0x2
	s_nop 0
	s_sendmsg sendmsg(MSG_DEALLOC_VGPRS)
	s_endpgm
	.section	.rodata,"a",@progbits
	.p2align	6, 0x0
	.amdhsa_kernel _ZN2at6native12_GLOBAL__N_135GammaBetaBackwardCUDAKernelTemplateIffLj32ELj8ELj64ELb0ELb1ELb1EEEvllPKT_S5_PKT0_S8_PS3_S9_
		.amdhsa_group_segment_fixed_size 0
		.amdhsa_private_segment_fixed_size 0
		.amdhsa_kernarg_size 320
		.amdhsa_user_sgpr_count 14
		.amdhsa_user_sgpr_dispatch_ptr 0
		.amdhsa_user_sgpr_queue_ptr 0
		.amdhsa_user_sgpr_kernarg_segment_ptr 1
		.amdhsa_user_sgpr_dispatch_id 0
		.amdhsa_user_sgpr_private_segment_size 0
		.amdhsa_wavefront_size32 1
		.amdhsa_uses_dynamic_stack 0
		.amdhsa_enable_private_segment 0
		.amdhsa_system_sgpr_workgroup_id_x 1
		.amdhsa_system_sgpr_workgroup_id_y 1
		.amdhsa_system_sgpr_workgroup_id_z 0
		.amdhsa_system_sgpr_workgroup_info 0
		.amdhsa_system_vgpr_workitem_id 1
		.amdhsa_next_free_vgpr 40
		.amdhsa_next_free_sgpr 22
		.amdhsa_reserve_vcc 1
		.amdhsa_float_round_mode_32 0
		.amdhsa_float_round_mode_16_64 0
		.amdhsa_float_denorm_mode_32 3
		.amdhsa_float_denorm_mode_16_64 3
		.amdhsa_dx10_clamp 1
		.amdhsa_ieee_mode 1
		.amdhsa_fp16_overflow 0
		.amdhsa_workgroup_processor_mode 1
		.amdhsa_memory_ordered 1
		.amdhsa_forward_progress 0
		.amdhsa_shared_vgpr_count 0
		.amdhsa_exception_fp_ieee_invalid_op 0
		.amdhsa_exception_fp_denorm_src 0
		.amdhsa_exception_fp_ieee_div_zero 0
		.amdhsa_exception_fp_ieee_overflow 0
		.amdhsa_exception_fp_ieee_underflow 0
		.amdhsa_exception_fp_ieee_inexact 0
		.amdhsa_exception_int_div_zero 0
	.end_amdhsa_kernel
	.section	.text._ZN2at6native12_GLOBAL__N_135GammaBetaBackwardCUDAKernelTemplateIffLj32ELj8ELj64ELb0ELb1ELb1EEEvllPKT_S5_PKT0_S8_PS3_S9_,"axG",@progbits,_ZN2at6native12_GLOBAL__N_135GammaBetaBackwardCUDAKernelTemplateIffLj32ELj8ELj64ELb0ELb1ELb1EEEvllPKT_S5_PKT0_S8_PS3_S9_,comdat
.Lfunc_end156:
	.size	_ZN2at6native12_GLOBAL__N_135GammaBetaBackwardCUDAKernelTemplateIffLj32ELj8ELj64ELb0ELb1ELb1EEEvllPKT_S5_PKT0_S8_PS3_S9_, .Lfunc_end156-_ZN2at6native12_GLOBAL__N_135GammaBetaBackwardCUDAKernelTemplateIffLj32ELj8ELj64ELb0ELb1ELb1EEEvllPKT_S5_PKT0_S8_PS3_S9_
                                        ; -- End function
	.section	.AMDGPU.csdata,"",@progbits
; Kernel info:
; codeLenInByte = 1532
; NumSgprs: 24
; NumVgprs: 40
; ScratchSize: 0
; MemoryBound: 0
; FloatMode: 240
; IeeeMode: 1
; LDSByteSize: 0 bytes/workgroup (compile time only)
; SGPRBlocks: 2
; VGPRBlocks: 4
; NumSGPRsForWavesPerEU: 24
; NumVGPRsForWavesPerEU: 40
; Occupancy: 16
; WaveLimiterHint : 0
; COMPUTE_PGM_RSRC2:SCRATCH_EN: 0
; COMPUTE_PGM_RSRC2:USER_SGPR: 14
; COMPUTE_PGM_RSRC2:TRAP_HANDLER: 0
; COMPUTE_PGM_RSRC2:TGID_X_EN: 1
; COMPUTE_PGM_RSRC2:TGID_Y_EN: 1
; COMPUTE_PGM_RSRC2:TGID_Z_EN: 0
; COMPUTE_PGM_RSRC2:TIDIG_COMP_CNT: 1
	.section	.text._ZN2at6native12_GLOBAL__N_135GammaBetaBackwardCUDAKernelTemplateIffLj32ELj8ELj64ELb0ELb0ELb1EEEvllPKT_S5_PKT0_S8_PS3_S9_,"axG",@progbits,_ZN2at6native12_GLOBAL__N_135GammaBetaBackwardCUDAKernelTemplateIffLj32ELj8ELj64ELb0ELb0ELb1EEEvllPKT_S5_PKT0_S8_PS3_S9_,comdat
	.globl	_ZN2at6native12_GLOBAL__N_135GammaBetaBackwardCUDAKernelTemplateIffLj32ELj8ELj64ELb0ELb0ELb1EEEvllPKT_S5_PKT0_S8_PS3_S9_ ; -- Begin function _ZN2at6native12_GLOBAL__N_135GammaBetaBackwardCUDAKernelTemplateIffLj32ELj8ELj64ELb0ELb0ELb1EEEvllPKT_S5_PKT0_S8_PS3_S9_
	.p2align	8
	.type	_ZN2at6native12_GLOBAL__N_135GammaBetaBackwardCUDAKernelTemplateIffLj32ELj8ELj64ELb0ELb0ELb1EEEvllPKT_S5_PKT0_S8_PS3_S9_,@function
_ZN2at6native12_GLOBAL__N_135GammaBetaBackwardCUDAKernelTemplateIffLj32ELj8ELj64ELb0ELb0ELb1EEEvllPKT_S5_PKT0_S8_PS3_S9_: ; @_ZN2at6native12_GLOBAL__N_135GammaBetaBackwardCUDAKernelTemplateIffLj32ELj8ELj64ELb0ELb0ELb1EEEvllPKT_S5_PKT0_S8_PS3_S9_
; %bb.0:
	s_clause 0x1
	s_load_b256 s[4:11], s[0:1], 0x0
	s_load_b64 s[12:13], s[0:1], 0x28
	s_lshl_b32 s33, s14, 5
	s_mov_b32 s25, 0
	s_or_b32 s24, s33, 31
	s_waitcnt lgkmcnt(0)
	v_cmp_ge_i64_e64 s2, s[24:25], s[6:7]
	s_lshl_b32 s24, s15, 6
	s_delay_alu instid0(SALU_CYCLE_1) | instskip(NEXT) | instid1(VALU_DEP_2)
	v_cmp_lt_i64_e64 s15, s[24:25], s[4:5]
	s_and_b32 vcc_lo, exec_lo, s2
	s_delay_alu instid0(VALU_DEP_1) | instskip(NEXT) | instid1(VALU_DEP_1)
	v_cndmask_b32_e64 v1, 0, 1, s15
	v_cmp_ne_u32_e64 s2, 1, v1
	s_cbranch_vccz .LBB157_49
; %bb.1:
	v_mov_b32_e32 v1, 0
	s_delay_alu instid0(VALU_DEP_2)
	s_and_b32 vcc_lo, exec_lo, s2
	s_cbranch_vccnz .LBB157_50
; %bb.2:
	v_bfe_u32 v27, v0, 10, 10
	s_load_b32 s3, s[0:1], 0x44
	v_dual_mov_b32 v2, 0 :: v_dual_and_b32 v29, 0x3ff, v0
	s_add_u32 s26, s0, 64
	s_delay_alu instid0(VALU_DEP_2) | instskip(NEXT) | instid1(VALU_DEP_2)
	v_lshlrev_b32_e32 v28, 3, v27
	v_dual_mov_b32 v62, 0 :: v_dual_add_nc_u32 v1, s33, v29
	s_addc_u32 s27, s1, 0
	s_mov_b32 s16, 0
	s_delay_alu instid0(VALU_DEP_2) | instskip(NEXT) | instid1(VALU_DEP_1)
	v_add_co_u32 v9, s2, v28, s24
	v_add_co_ci_u32_e64 v10, null, 0, 0, s2
	v_cmp_gt_i64_e64 s2, s[6:7], v[1:2]
	s_delay_alu instid0(VALU_DEP_3) | instskip(NEXT) | instid1(VALU_DEP_3)
	v_add_co_u32 v5, vcc_lo, v9, 7
	v_add_co_ci_u32_e32 v3, vcc_lo, 0, v10, vcc_lo
	v_add_co_u32 v8, vcc_lo, v9, 6
	s_delay_alu instid0(VALU_DEP_3) | instskip(NEXT) | instid1(VALU_DEP_3)
	v_mul_lo_u32 v6, s7, v5
	v_mul_lo_u32 v7, s6, v3
	v_mad_u64_u32 v[3:4], null, s6, v5, 0
	v_add_co_ci_u32_e32 v5, vcc_lo, 0, v10, vcc_lo
	v_lshlrev_b64 v[25:26], 2, v[1:2]
	v_mul_lo_u32 v1, s7, v8
	s_waitcnt lgkmcnt(0)
	s_lshl_b32 s36, s3, 6
	s_mov_b64 s[34:35], s[24:25]
	s_delay_alu instid0(VALU_DEP_4) | instskip(SKIP_3) | instid1(VALU_DEP_3)
	v_add3_u32 v4, v4, v7, v6
	v_mul_lo_u32 v7, s6, v5
	v_mad_u64_u32 v[5:6], null, s6, v8, 0
	s_mul_i32 s3, s7, s36
	v_lshlrev_b64 v[3:4], 2, v[3:4]
	s_mul_hi_u32 s17, s6, s36
	s_mul_i32 s18, s6, s36
	s_add_i32 s19, s17, s3
	s_delay_alu instid0(VALU_DEP_2) | instskip(NEXT) | instid1(VALU_DEP_2)
	v_add3_u32 v6, v6, v7, v1
	v_add_co_u32 v30, vcc_lo, s8, v3
	v_add_co_ci_u32_e32 v31, vcc_lo, s9, v4, vcc_lo
	v_add_co_u32 v1, vcc_lo, v9, 5
	v_add_co_u32 v32, s3, s10, v3
	s_delay_alu instid0(VALU_DEP_1) | instskip(SKIP_4) | instid1(VALU_DEP_3)
	v_add_co_ci_u32_e64 v33, s3, s11, v4, s3
	v_lshlrev_b64 v[3:4], 2, v[5:6]
	v_add_co_ci_u32_e32 v5, vcc_lo, 0, v10, vcc_lo
	v_add_co_u32 v12, vcc_lo, v9, 4
	v_mul_lo_u32 v11, s7, v1
	v_mul_lo_u32 v13, s6, v5
	v_mad_u64_u32 v[5:6], null, s6, v1, 0
	v_add_co_ci_u32_e32 v7, vcc_lo, 0, v10, vcc_lo
	v_mul_lo_u32 v1, s7, v12
	v_add_co_u32 v34, vcc_lo, s8, v3
	s_delay_alu instid0(VALU_DEP_3)
	v_mul_lo_u32 v14, s6, v7
	v_mad_u64_u32 v[7:8], null, s6, v12, 0
	v_add3_u32 v6, v6, v13, v11
	v_add_co_ci_u32_e32 v35, vcc_lo, s9, v4, vcc_lo
	v_add_co_u32 v36, vcc_lo, s10, v3
	v_add_co_ci_u32_e32 v37, vcc_lo, s11, v4, vcc_lo
	s_delay_alu instid0(VALU_DEP_4) | instskip(SKIP_3) | instid1(VALU_DEP_4)
	v_lshlrev_b64 v[3:4], 2, v[5:6]
	v_add3_u32 v8, v8, v14, v1
	v_add_co_u32 v1, vcc_lo, v9, 3
	v_add_co_ci_u32_e32 v11, vcc_lo, 0, v10, vcc_lo
	v_add_co_u32 v38, vcc_lo, s8, v3
	s_delay_alu instid0(VALU_DEP_4)
	v_lshlrev_b64 v[5:6], 2, v[7:8]
	v_add_co_ci_u32_e32 v39, vcc_lo, s9, v4, vcc_lo
	v_mul_lo_u32 v12, s7, v1
	v_mul_lo_u32 v11, s6, v11
	v_mad_u64_u32 v[7:8], null, s6, v1, 0
	v_add_co_u32 v40, vcc_lo, s10, v3
	v_add_co_ci_u32_e32 v41, vcc_lo, s11, v4, vcc_lo
	v_add_co_u32 v42, vcc_lo, s8, v5
	v_add_co_ci_u32_e32 v43, vcc_lo, s9, v6, vcc_lo
	v_add_co_u32 v1, vcc_lo, v9, 2
	v_add3_u32 v8, v8, v11, v12
	v_add_co_ci_u32_e32 v11, vcc_lo, 0, v10, vcc_lo
	v_add_co_u32 v44, vcc_lo, s10, v5
	v_add_co_ci_u32_e32 v45, vcc_lo, s11, v6, vcc_lo
	v_mul_lo_u32 v12, s7, v1
	s_delay_alu instid0(VALU_DEP_4)
	v_mul_lo_u32 v11, s6, v11
	v_mad_u64_u32 v[5:6], null, s6, v1, 0
	v_lshlrev_b64 v[3:4], 2, v[7:8]
	v_mul_lo_u32 v1, s7, v9
	v_mul_lo_u32 v10, s6, v10
	v_mad_u64_u32 v[7:8], null, s6, v9, 0
	s_lshl_b64 s[28:29], s[18:19], 2
	s_delay_alu instid0(VALU_DEP_4)
	v_add_co_u32 v46, vcc_lo, s8, v3
	v_add3_u32 v6, v6, v11, v12
	v_add_co_ci_u32_e32 v47, vcc_lo, s9, v4, vcc_lo
	v_add_co_u32 v48, vcc_lo, s10, v3
	v_add3_u32 v8, v8, v10, v1
	v_add_co_ci_u32_e32 v49, vcc_lo, s11, v4, vcc_lo
	v_lshlrev_b64 v[3:4], 2, v[5:6]
	v_add_co_u32 v5, vcc_lo, v7, s6
	s_delay_alu instid0(VALU_DEP_4) | instskip(SKIP_1) | instid1(VALU_DEP_3)
	v_add_co_ci_u32_e32 v6, vcc_lo, s7, v8, vcc_lo
	s_add_u32 s30, s24, 63
	v_add_co_u32 v50, vcc_lo, s8, v3
	s_delay_alu instid0(VALU_DEP_2) | instskip(SKIP_3) | instid1(VALU_DEP_4)
	v_lshlrev_b64 v[5:6], 2, v[5:6]
	v_add_co_ci_u32_e32 v51, vcc_lo, s9, v4, vcc_lo
	v_add_co_u32 v52, vcc_lo, s10, v3
	v_add_co_ci_u32_e32 v53, vcc_lo, s11, v4, vcc_lo
	v_add_co_u32 v54, vcc_lo, s8, v5
	v_lshlrev_b64 v[3:4], 2, v[7:8]
	v_add_co_ci_u32_e32 v55, vcc_lo, s9, v6, vcc_lo
	v_add_co_u32 v56, vcc_lo, s10, v5
	v_add_co_ci_u32_e32 v57, vcc_lo, s11, v6, vcc_lo
	s_delay_alu instid0(VALU_DEP_4)
	v_add_co_u32 v58, vcc_lo, s8, v3
	v_add_co_ci_u32_e32 v59, vcc_lo, s9, v4, vcc_lo
	v_add_co_u32 v60, vcc_lo, s10, v3
	v_add_co_ci_u32_e32 v61, vcc_lo, s11, v4, vcc_lo
	s_addc_u32 s31, 0, 0
.LBB157_3:                              ; =>This Inner Loop Header: Depth=1
	s_delay_alu instid0(SALU_CYCLE_1) | instskip(SKIP_1) | instid1(VALU_DEP_1)
	v_cmp_ge_i64_e64 s3, s[30:31], s[4:5]
	v_add_co_u32 v63, s17, v28, s30
	v_add_co_ci_u32_e64 v64, null, 0, s31, s17
	s_delay_alu instid0(VALU_DEP_3)
	s_and_b32 vcc_lo, exec_lo, s3
	s_cbranch_vccz .LBB157_25
; %bb.4:                                ;   in Loop: Header=BB157_3 Depth=1
	s_load_b32 s3, s[26:27], 0xc
	v_mov_b32_e32 v65, 0
	s_waitcnt lgkmcnt(0)
	s_and_b32 s3, s3, 0xffff
	s_delay_alu instid0(SALU_CYCLE_1) | instskip(SKIP_1) | instid1(VALU_DEP_1)
	v_mad_u32_u24 v1, v27, s3, v29
	s_mov_b32 s3, exec_lo
	v_and_b32_e32 v1, 31, v1
	s_delay_alu instid0(VALU_DEP_1)
	v_cmpx_gt_u32_e32 8, v1
	s_cbranch_execz .LBB157_8
; %bb.5:                                ;   in Loop: Header=BB157_3 Depth=1
	v_add_co_u32 v1, vcc_lo, v63, v1
	v_add_co_ci_u32_e32 v4, vcc_lo, 0, v64, vcc_lo
	v_mov_b32_e32 v65, 0
	s_delay_alu instid0(VALU_DEP_3) | instskip(NEXT) | instid1(VALU_DEP_3)
	v_add_co_u32 v3, vcc_lo, 0xffffffc1, v1
	v_add_co_ci_u32_e32 v4, vcc_lo, -1, v4, vcc_lo
	s_mov_b32 s17, exec_lo
	s_delay_alu instid0(VALU_DEP_1)
	v_cmpx_gt_i64_e64 s[4:5], v[3:4]
	s_cbranch_execz .LBB157_7
; %bb.6:                                ;   in Loop: Header=BB157_3 Depth=1
	v_lshlrev_b64 v[3:4], 2, v[3:4]
	s_delay_alu instid0(VALU_DEP_1) | instskip(NEXT) | instid1(VALU_DEP_2)
	v_add_co_u32 v3, vcc_lo, s12, v3
	v_add_co_ci_u32_e32 v4, vcc_lo, s13, v4, vcc_lo
	global_load_b32 v65, v[3:4], off
.LBB157_7:                              ;   in Loop: Header=BB157_3 Depth=1
	s_or_b32 exec_lo, exec_lo, s17
.LBB157_8:                              ;   in Loop: Header=BB157_3 Depth=1
	s_delay_alu instid0(SALU_CYCLE_1)
	s_or_b32 exec_lo, exec_lo, s3
	v_add_co_u32 v3, vcc_lo, 0xffffffc1, v63
	v_add_co_ci_u32_e32 v4, vcc_lo, -1, v64, vcc_lo
	s_mov_b32 s22, s16
	s_mov_b32 s23, s16
	;; [unrolled: 1-line block ×7, first 2 shown]
	v_dual_mov_b32 v9, s16 :: v_dual_mov_b32 v10, s17
	v_dual_mov_b32 v15, s22 :: v_dual_mov_b32 v16, s23
	;; [unrolled: 1-line block ×4, first 2 shown]
	v_cmp_gt_i64_e32 vcc_lo, s[4:5], v[3:4]
	s_delay_alu instid0(VALU_DEP_4) | instskip(NEXT) | instid1(VALU_DEP_3)
	v_dual_mov_b32 v24, v16 :: v_dual_mov_b32 v23, v15
	v_dual_mov_b32 v21, v13 :: v_dual_mov_b32 v22, v14
	;; [unrolled: 1-line block ×4, first 2 shown]
	s_and_b32 s17, s2, vcc_lo
	s_delay_alu instid0(SALU_CYCLE_1)
	s_and_saveexec_b32 s3, s17
	s_cbranch_execz .LBB157_10
; %bb.9:                                ;   in Loop: Header=BB157_3 Depth=1
	v_add_co_u32 v3, vcc_lo, v58, v25
	v_add_co_ci_u32_e32 v4, vcc_lo, v59, v26, vcc_lo
	v_mov_b32_e32 v8, v2
	v_mov_b32_e32 v5, v2
	;; [unrolled: 1-line block ×3, first 2 shown]
	global_load_b32 v1, v[3:4], off
	v_add_co_u32 v3, vcc_lo, v60, v25
	v_add_co_ci_u32_e32 v4, vcc_lo, v61, v26, vcc_lo
	v_mov_b32_e32 v7, v2
	v_mov_b32_e32 v15, v2
	global_load_b32 v9, v[3:4], off
	v_mov_b32_e32 v3, v2
	v_mov_b32_e32 v4, v2
	s_waitcnt vmcnt(1)
	v_dual_mov_b32 v11, v2 :: v_dual_mov_b32 v24, v8
	v_dual_mov_b32 v10, v2 :: v_dual_mov_b32 v23, v7
	;; [unrolled: 1-line block ×5, first 2 shown]
	v_mov_b32_e32 v16, v2
	v_mov_b32_e32 v22, v6
	v_dual_mov_b32 v18, v2 :: v_dual_mov_b32 v17, v1
.LBB157_10:                             ;   in Loop: Header=BB157_3 Depth=1
	s_or_b32 exec_lo, exec_lo, s3
	v_add_co_u32 v3, vcc_lo, 0xffffffc2, v63
	v_add_co_ci_u32_e32 v4, vcc_lo, -1, v64, vcc_lo
	s_delay_alu instid0(VALU_DEP_1) | instskip(SKIP_1) | instid1(SALU_CYCLE_1)
	v_cmp_gt_i64_e32 vcc_lo, s[4:5], v[3:4]
	s_and_b32 s17, s2, vcc_lo
	s_and_saveexec_b32 s3, s17
	s_cbranch_execz .LBB157_12
; %bb.11:                               ;   in Loop: Header=BB157_3 Depth=1
	v_add_co_u32 v3, vcc_lo, v54, v25
	v_add_co_ci_u32_e32 v4, vcc_lo, v55, v26, vcc_lo
	v_add_co_u32 v5, vcc_lo, v56, v25
	v_add_co_ci_u32_e32 v6, vcc_lo, v57, v26, vcc_lo
	global_load_b32 v18, v[3:4], off
	global_load_b32 v10, v[5:6], off
.LBB157_12:                             ;   in Loop: Header=BB157_3 Depth=1
	s_or_b32 exec_lo, exec_lo, s3
	v_add_co_u32 v3, vcc_lo, 0xffffffc3, v63
	v_add_co_ci_u32_e32 v4, vcc_lo, -1, v64, vcc_lo
	s_delay_alu instid0(VALU_DEP_1) | instskip(SKIP_1) | instid1(SALU_CYCLE_1)
	v_cmp_gt_i64_e32 vcc_lo, s[4:5], v[3:4]
	s_and_b32 s17, s2, vcc_lo
	s_and_saveexec_b32 s3, s17
	s_cbranch_execz .LBB157_14
; %bb.13:                               ;   in Loop: Header=BB157_3 Depth=1
	v_add_co_u32 v3, vcc_lo, v50, v25
	v_add_co_ci_u32_e32 v4, vcc_lo, v51, v26, vcc_lo
	v_add_co_u32 v5, vcc_lo, v52, v25
	v_add_co_ci_u32_e32 v6, vcc_lo, v53, v26, vcc_lo
	global_load_b32 v19, v[3:4], off
	global_load_b32 v11, v[5:6], off
.LBB157_14:                             ;   in Loop: Header=BB157_3 Depth=1
	;; [unrolled: 16-line block ×7, first 2 shown]
	s_or_b32 exec_lo, exec_lo, s3
	s_waitcnt vmcnt(0)
	ds_bpermute_b32 v1, v2, v65
	ds_bpermute_b32 v3, v2, v65 offset:4
	ds_bpermute_b32 v4, v2, v65 offset:8
	v_mul_f32_e32 v5, v9, v17
	ds_bpermute_b32 v6, v2, v65 offset:12
	v_mul_f32_e32 v7, v10, v18
	ds_bpermute_b32 v8, v2, v65 offset:16
	ds_bpermute_b32 v9, v2, v65 offset:20
	s_waitcnt lgkmcnt(5)
	v_fma_f32 v1, v5, v1, v62
	v_mul_f32_e32 v5, v11, v19
	s_waitcnt lgkmcnt(4)
	s_delay_alu instid0(VALU_DEP_2) | instskip(SKIP_2) | instid1(VALU_DEP_2)
	v_fmac_f32_e32 v1, v7, v3
	v_mul_f32_e32 v3, v12, v20
	s_waitcnt lgkmcnt(3)
	v_fmac_f32_e32 v1, v5, v4
	ds_bpermute_b32 v4, v2, v65 offset:24
	v_mul_f32_e32 v5, v13, v21
	s_waitcnt lgkmcnt(3)
	v_fmac_f32_e32 v1, v3, v6
	v_mul_f32_e32 v6, v14, v22
	ds_bpermute_b32 v3, v2, v65 offset:28
	s_waitcnt lgkmcnt(3)
	v_fmac_f32_e32 v1, v5, v8
	v_mul_f32_e32 v5, v15, v23
	s_waitcnt lgkmcnt(2)
	s_delay_alu instid0(VALU_DEP_2) | instskip(SKIP_1) | instid1(VALU_DEP_1)
	v_fmac_f32_e32 v1, v6, v9
	s_waitcnt lgkmcnt(1)
	v_fmac_f32_e32 v1, v5, v4
	s_branch .LBB157_40
.LBB157_25:                             ;   in Loop: Header=BB157_3 Depth=1
                                        ; implicit-def: $vgpr1
                                        ; implicit-def: $vgpr9_vgpr10_vgpr11_vgpr12_vgpr13_vgpr14_vgpr15_vgpr16
                                        ; implicit-def: $vgpr17_vgpr18_vgpr19_vgpr20_vgpr21_vgpr22_vgpr23_vgpr24
                                        ; implicit-def: $vgpr3
	s_cbranch_execz .LBB157_40
; %bb.26:                               ;   in Loop: Header=BB157_3 Depth=1
	s_load_b32 s3, s[26:27], 0x0
	v_mov_b32_e32 v65, 0
	s_waitcnt lgkmcnt(0)
	s_cmp_lt_u32 s14, s3
	s_cselect_b32 s3, 12, 18
	s_delay_alu instid0(SALU_CYCLE_1)
	s_add_u32 s18, s26, s3
	s_addc_u32 s19, s27, 0
	s_mov_b32 s3, exec_lo
	global_load_u16 v1, v2, s[18:19]
	s_waitcnt vmcnt(0)
	v_mad_u32_u24 v1, v27, v1, v29
	s_delay_alu instid0(VALU_DEP_1) | instskip(NEXT) | instid1(VALU_DEP_1)
	v_and_b32_e32 v1, 31, v1
	v_cmpx_gt_u32_e32 8, v1
	s_cbranch_execz .LBB157_30
; %bb.27:                               ;   in Loop: Header=BB157_3 Depth=1
	v_add_co_u32 v1, vcc_lo, v63, v1
	v_add_co_ci_u32_e32 v4, vcc_lo, 0, v64, vcc_lo
	v_mov_b32_e32 v65, 0
	s_delay_alu instid0(VALU_DEP_3) | instskip(NEXT) | instid1(VALU_DEP_3)
	v_add_co_u32 v3, vcc_lo, 0xffffffc1, v1
	v_add_co_ci_u32_e32 v4, vcc_lo, -1, v4, vcc_lo
	s_mov_b32 s17, exec_lo
	s_delay_alu instid0(VALU_DEP_1)
	v_cmpx_gt_i64_e64 s[4:5], v[3:4]
	s_cbranch_execz .LBB157_29
; %bb.28:                               ;   in Loop: Header=BB157_3 Depth=1
	v_lshlrev_b64 v[3:4], 2, v[3:4]
	s_delay_alu instid0(VALU_DEP_1) | instskip(NEXT) | instid1(VALU_DEP_2)
	v_add_co_u32 v3, vcc_lo, s12, v3
	v_add_co_ci_u32_e32 v4, vcc_lo, s13, v4, vcc_lo
	global_load_b32 v65, v[3:4], off
.LBB157_29:                             ;   in Loop: Header=BB157_3 Depth=1
	s_or_b32 exec_lo, exec_lo, s17
.LBB157_30:                             ;   in Loop: Header=BB157_3 Depth=1
	s_delay_alu instid0(SALU_CYCLE_1)
	s_or_b32 exec_lo, exec_lo, s3
	s_mov_b32 s22, s16
	s_mov_b32 s23, s16
	;; [unrolled: 1-line block ×7, first 2 shown]
	v_dual_mov_b32 v9, s16 :: v_dual_mov_b32 v10, s17
	v_dual_mov_b32 v15, s22 :: v_dual_mov_b32 v16, s23
	;; [unrolled: 1-line block ×4, first 2 shown]
	s_delay_alu instid0(VALU_DEP_3) | instskip(NEXT) | instid1(VALU_DEP_3)
	v_dual_mov_b32 v24, v16 :: v_dual_mov_b32 v23, v15
	v_dual_mov_b32 v20, v12 :: v_dual_mov_b32 v19, v11
	s_delay_alu instid0(VALU_DEP_3)
	v_dual_mov_b32 v22, v14 :: v_dual_mov_b32 v21, v13
	v_dual_mov_b32 v18, v10 :: v_dual_mov_b32 v17, v9
	s_and_saveexec_b32 s3, s2
	s_cbranch_execnz .LBB157_42
; %bb.31:                               ;   in Loop: Header=BB157_3 Depth=1
	s_or_b32 exec_lo, exec_lo, s3
	s_and_saveexec_b32 s3, s2
	s_cbranch_execnz .LBB157_43
.LBB157_32:                             ;   in Loop: Header=BB157_3 Depth=1
	s_or_b32 exec_lo, exec_lo, s3
	s_and_saveexec_b32 s3, s2
	s_cbranch_execnz .LBB157_44
.LBB157_33:                             ;   in Loop: Header=BB157_3 Depth=1
	s_or_b32 exec_lo, exec_lo, s3
	s_and_saveexec_b32 s3, s2
	s_cbranch_execnz .LBB157_45
.LBB157_34:                             ;   in Loop: Header=BB157_3 Depth=1
	s_or_b32 exec_lo, exec_lo, s3
	s_and_saveexec_b32 s3, s2
	s_cbranch_execnz .LBB157_46
.LBB157_35:                             ;   in Loop: Header=BB157_3 Depth=1
	s_or_b32 exec_lo, exec_lo, s3
	s_and_saveexec_b32 s3, s2
	s_cbranch_execnz .LBB157_47
.LBB157_36:                             ;   in Loop: Header=BB157_3 Depth=1
	s_or_b32 exec_lo, exec_lo, s3
	s_and_saveexec_b32 s3, s2
	s_cbranch_execnz .LBB157_48
.LBB157_37:                             ;   in Loop: Header=BB157_3 Depth=1
	s_or_b32 exec_lo, exec_lo, s3
	s_and_saveexec_b32 s3, s2
	s_cbranch_execz .LBB157_39
.LBB157_38:                             ;   in Loop: Header=BB157_3 Depth=1
	v_add_co_u32 v3, vcc_lo, v30, v25
	v_add_co_ci_u32_e32 v4, vcc_lo, v31, v26, vcc_lo
	v_add_co_u32 v5, vcc_lo, v32, v25
	v_add_co_ci_u32_e32 v6, vcc_lo, v33, v26, vcc_lo
	global_load_b32 v24, v[3:4], off
	global_load_b32 v16, v[5:6], off
.LBB157_39:                             ;   in Loop: Header=BB157_3 Depth=1
	s_or_b32 exec_lo, exec_lo, s3
	s_waitcnt vmcnt(0)
	ds_bpermute_b32 v1, v2, v65
	ds_bpermute_b32 v3, v2, v65 offset:4
	ds_bpermute_b32 v4, v2, v65 offset:8
	;; [unrolled: 1-line block ×3, first 2 shown]
	v_mul_f32_e32 v7, v10, v18
	v_mul_f32_e32 v5, v9, v17
	ds_bpermute_b32 v8, v2, v65 offset:16
	s_waitcnt lgkmcnt(4)
	v_dual_fmac_f32 v62, v5, v1 :: v_dual_mul_f32 v1, v11, v19
	ds_bpermute_b32 v5, v2, v65 offset:20
	s_waitcnt lgkmcnt(4)
	v_dual_fmac_f32 v62, v7, v3 :: v_dual_mul_f32 v3, v12, v20
	s_waitcnt lgkmcnt(3)
	s_delay_alu instid0(VALU_DEP_1)
	v_fmac_f32_e32 v62, v1, v4
	ds_bpermute_b32 v1, v2, v65 offset:24
	v_mul_f32_e32 v4, v13, v21
	s_waitcnt lgkmcnt(3)
	v_fmac_f32_e32 v62, v3, v6
	v_mul_f32_e32 v6, v14, v22
	ds_bpermute_b32 v3, v2, v65 offset:28
	s_waitcnt lgkmcnt(3)
	v_fmac_f32_e32 v62, v4, v8
	v_mul_f32_e32 v4, v15, v23
	s_waitcnt lgkmcnt(2)
	s_delay_alu instid0(VALU_DEP_2) | instskip(SKIP_1) | instid1(VALU_DEP_1)
	v_fmac_f32_e32 v62, v6, v5
	s_waitcnt lgkmcnt(1)
	v_fmac_f32_e32 v62, v4, v1
	s_delay_alu instid0(VALU_DEP_1)
	v_mov_b32_e32 v1, v62
.LBB157_40:                             ;   in Loop: Header=BB157_3 Depth=1
	v_add_co_u32 v30, vcc_lo, v30, s28
	v_add_co_ci_u32_e32 v31, vcc_lo, s29, v31, vcc_lo
	v_add_co_u32 v32, vcc_lo, v32, s28
	v_add_co_ci_u32_e32 v33, vcc_lo, s29, v33, vcc_lo
	;; [unrolled: 2-line block ×13, first 2 shown]
	v_add_co_u32 v56, vcc_lo, v56, s28
	s_add_u32 s34, s34, s36
	v_add_co_ci_u32_e32 v57, vcc_lo, s29, v57, vcc_lo
	v_mul_f32_e32 v4, v24, v16
	s_addc_u32 s35, s35, 0
	v_add_co_u32 v58, vcc_lo, v58, s28
	v_cmp_lt_i64_e64 s3, s[34:35], s[4:5]
	v_add_co_ci_u32_e32 v59, vcc_lo, s29, v59, vcc_lo
	v_add_co_u32 v60, vcc_lo, v60, s28
	s_waitcnt lgkmcnt(0)
	v_fmac_f32_e32 v1, v4, v3
	v_add_co_ci_u32_e32 v61, vcc_lo, s29, v61, vcc_lo
	s_add_u32 s30, s30, s36
	s_addc_u32 s31, s31, 0
	s_and_b32 vcc_lo, exec_lo, s3
	s_cbranch_vccz .LBB157_50
; %bb.41:                               ;   in Loop: Header=BB157_3 Depth=1
	v_mov_b32_e32 v62, v1
	s_branch .LBB157_3
.LBB157_42:                             ;   in Loop: Header=BB157_3 Depth=1
	v_add_co_u32 v3, vcc_lo, v58, v25
	v_add_co_ci_u32_e32 v4, vcc_lo, v59, v26, vcc_lo
	v_mov_b32_e32 v8, v2
	v_mov_b32_e32 v5, v2
	;; [unrolled: 1-line block ×3, first 2 shown]
	global_load_b32 v1, v[3:4], off
	v_add_co_u32 v3, vcc_lo, v60, v25
	v_add_co_ci_u32_e32 v4, vcc_lo, v61, v26, vcc_lo
	v_mov_b32_e32 v7, v2
	v_mov_b32_e32 v15, v2
	global_load_b32 v9, v[3:4], off
	v_mov_b32_e32 v3, v2
	v_mov_b32_e32 v4, v2
	s_waitcnt vmcnt(1)
	v_dual_mov_b32 v11, v2 :: v_dual_mov_b32 v24, v8
	v_dual_mov_b32 v10, v2 :: v_dual_mov_b32 v23, v7
	;; [unrolled: 1-line block ×5, first 2 shown]
	v_mov_b32_e32 v16, v2
	v_mov_b32_e32 v22, v6
	v_dual_mov_b32 v18, v2 :: v_dual_mov_b32 v17, v1
	s_or_b32 exec_lo, exec_lo, s3
	s_and_saveexec_b32 s3, s2
	s_cbranch_execz .LBB157_32
.LBB157_43:                             ;   in Loop: Header=BB157_3 Depth=1
	v_add_co_u32 v3, vcc_lo, v54, v25
	v_add_co_ci_u32_e32 v4, vcc_lo, v55, v26, vcc_lo
	v_add_co_u32 v5, vcc_lo, v56, v25
	v_add_co_ci_u32_e32 v6, vcc_lo, v57, v26, vcc_lo
	global_load_b32 v18, v[3:4], off
	global_load_b32 v10, v[5:6], off
	s_or_b32 exec_lo, exec_lo, s3
	s_and_saveexec_b32 s3, s2
	s_cbranch_execz .LBB157_33
.LBB157_44:                             ;   in Loop: Header=BB157_3 Depth=1
	v_add_co_u32 v3, vcc_lo, v50, v25
	v_add_co_ci_u32_e32 v4, vcc_lo, v51, v26, vcc_lo
	v_add_co_u32 v5, vcc_lo, v52, v25
	v_add_co_ci_u32_e32 v6, vcc_lo, v53, v26, vcc_lo
	global_load_b32 v19, v[3:4], off
	global_load_b32 v11, v[5:6], off
	s_or_b32 exec_lo, exec_lo, s3
	s_and_saveexec_b32 s3, s2
	s_cbranch_execz .LBB157_34
.LBB157_45:                             ;   in Loop: Header=BB157_3 Depth=1
	v_add_co_u32 v3, vcc_lo, v46, v25
	v_add_co_ci_u32_e32 v4, vcc_lo, v47, v26, vcc_lo
	v_add_co_u32 v5, vcc_lo, v48, v25
	v_add_co_ci_u32_e32 v6, vcc_lo, v49, v26, vcc_lo
	global_load_b32 v20, v[3:4], off
	global_load_b32 v12, v[5:6], off
	s_or_b32 exec_lo, exec_lo, s3
	s_and_saveexec_b32 s3, s2
	s_cbranch_execz .LBB157_35
.LBB157_46:                             ;   in Loop: Header=BB157_3 Depth=1
	v_add_co_u32 v3, vcc_lo, v42, v25
	v_add_co_ci_u32_e32 v4, vcc_lo, v43, v26, vcc_lo
	v_add_co_u32 v5, vcc_lo, v44, v25
	v_add_co_ci_u32_e32 v6, vcc_lo, v45, v26, vcc_lo
	global_load_b32 v21, v[3:4], off
	global_load_b32 v13, v[5:6], off
	s_or_b32 exec_lo, exec_lo, s3
	s_and_saveexec_b32 s3, s2
	s_cbranch_execz .LBB157_36
.LBB157_47:                             ;   in Loop: Header=BB157_3 Depth=1
	v_add_co_u32 v3, vcc_lo, v38, v25
	v_add_co_ci_u32_e32 v4, vcc_lo, v39, v26, vcc_lo
	v_add_co_u32 v5, vcc_lo, v40, v25
	v_add_co_ci_u32_e32 v6, vcc_lo, v41, v26, vcc_lo
	global_load_b32 v22, v[3:4], off
	global_load_b32 v14, v[5:6], off
	s_or_b32 exec_lo, exec_lo, s3
	s_and_saveexec_b32 s3, s2
	s_cbranch_execz .LBB157_37
.LBB157_48:                             ;   in Loop: Header=BB157_3 Depth=1
	v_add_co_u32 v3, vcc_lo, v34, v25
	v_add_co_ci_u32_e32 v4, vcc_lo, v35, v26, vcc_lo
	v_add_co_u32 v5, vcc_lo, v36, v25
	v_add_co_ci_u32_e32 v6, vcc_lo, v37, v26, vcc_lo
	global_load_b32 v23, v[3:4], off
	global_load_b32 v15, v[5:6], off
	s_or_b32 exec_lo, exec_lo, s3
	s_and_saveexec_b32 s3, s2
	s_cbranch_execnz .LBB157_38
	s_branch .LBB157_39
.LBB157_49:
                                        ; implicit-def: $vgpr1
	s_branch .LBB157_51
.LBB157_50:
	s_cbranch_execnz .LBB157_83
.LBB157_51:
	v_mov_b32_e32 v1, 0
	s_and_not1_b32 vcc_lo, exec_lo, s15
	s_cbranch_vccnz .LBB157_83
; %bb.52:
	s_load_b32 s2, s[0:1], 0x44
	v_dual_mov_b32 v2, 0 :: v_dual_and_b32 v55, 0x3ff, v0
	v_bfe_u32 v56, v0, 10, 10
	s_add_u32 s26, s0, 64
	s_addc_u32 s27, s1, 0
	s_delay_alu instid0(VALU_DEP_2) | instskip(NEXT) | instid1(VALU_DEP_2)
	v_dual_mov_b32 v90, 0 :: v_dual_add_nc_u32 v1, s33, v55
	v_lshlrev_b32_e32 v3, 5, v56
	v_lshlrev_b32_e32 v57, 3, v56
	s_delay_alu instid0(VALU_DEP_3)
	v_lshlrev_b64 v[25:26], 2, v[1:2]
	s_waitcnt lgkmcnt(0)
	s_lshl_b32 s15, s2, 6
	s_add_u32 s28, s24, 63
	s_addc_u32 s29, 0, 0
	s_lshl_b64 s[2:3], s[24:25], 2
	s_mul_i32 s16, s7, s15
	v_add_co_u32 v1, s2, v3, s2
	s_delay_alu instid0(VALU_DEP_1) | instskip(SKIP_1) | instid1(VALU_DEP_3)
	v_add_co_ci_u32_e64 v3, null, 0, s3, s2
	v_add_co_u32 v74, s3, v57, s24
	v_add_co_u32 v7, vcc_lo, v1, 4
	s_delay_alu instid0(VALU_DEP_3) | instskip(SKIP_3) | instid1(VALU_DEP_4)
	v_add_co_ci_u32_e32 v4, vcc_lo, 0, v3, vcc_lo
	v_add_co_u32 v8, vcc_lo, v1, 8
	v_add_co_ci_u32_e32 v5, vcc_lo, 0, v3, vcc_lo
	v_add_co_u32 v11, vcc_lo, v1, 12
	v_mul_lo_u32 v9, s6, v4
	v_add_co_ci_u32_e32 v4, vcc_lo, 0, v3, vcc_lo
	v_add_co_u32 v14, vcc_lo, v1, 16
	v_mul_lo_u32 v12, s6, v5
	;; [unrolled: 3-line block ×4, first 2 shown]
	v_add_co_ci_u32_e32 v5, vcc_lo, 0, v3, vcc_lo
	v_add_co_ci_u32_e64 v75, null, 0, 0, s3
	v_add_co_u32 v1, vcc_lo, v1, 28
	v_mul_lo_u32 v21, s6, v4
	s_delay_alu instid0(VALU_DEP_4) | instskip(SKIP_4) | instid1(VALU_DEP_4)
	v_mul_lo_u32 v23, s6, v5
	v_add_co_ci_u32_e32 v5, vcc_lo, 0, v3, vcc_lo
	v_mul_lo_u32 v6, s7, v74
	v_mul_lo_u32 v41, s6, v75
	v_mad_u64_u32 v[3:4], null, s6, v74, 0
	v_mul_lo_u32 v60, s6, v5
	v_mad_u64_u32 v[27:28], null, s6, v7, s[8:9]
	;; [unrolled: 2-line block ×3, first 2 shown]
	v_add3_u32 v4, v4, v41, v6
	v_mad_u64_u32 v[41:42], null, s6, v7, s[10:11]
	v_mul_lo_u32 v13, s7, v8
	v_mad_u64_u32 v[43:44], null, s6, v8, s[10:11]
	s_delay_alu instid0(VALU_DEP_4)
	v_lshlrev_b64 v[5:6], 2, v[3:4]
	v_add3_u32 v28, v10, v28, v9
	v_mad_u64_u32 v[31:32], null, s6, v11, s[8:9]
	v_add3_u32 v42, v10, v42, v9
	v_add3_u32 v30, v13, v30, v12
	v_add_co_u32 v58, vcc_lo, s8, v5
	v_add_co_ci_u32_e32 v59, vcc_lo, s9, v6, vcc_lo
	v_add_co_u32 v9, vcc_lo, v74, 7
	v_add_co_ci_u32_e32 v7, vcc_lo, 0, v75, vcc_lo
	v_add3_u32 v44, v13, v44, v12
	v_add_co_u32 v12, vcc_lo, v74, 6
	v_mul_lo_u32 v16, s7, v11
	v_mad_u64_u32 v[39:40], null, s6, v1, s[8:9]
	v_mul_lo_u32 v61, s7, v1
	v_mad_u64_u32 v[45:46], null, s6, v11, s[10:11]
	v_mad_u64_u32 v[53:54], null, s6, v1, s[10:11]
	v_mul_lo_u32 v1, s7, v9
	v_mul_lo_u32 v11, s6, v7
	v_mad_u64_u32 v[7:8], null, s6, v9, 0
	v_add_co_ci_u32_e32 v10, vcc_lo, 0, v75, vcc_lo
	v_mad_u64_u32 v[33:34], null, s6, v14, s[8:9]
	v_mul_lo_u32 v19, s7, v14
	v_mad_u64_u32 v[47:48], null, s6, v14, s[10:11]
	v_mul_lo_u32 v13, s7, v12
	v_mul_lo_u32 v14, s6, v10
	v_mad_u64_u32 v[9:10], null, s6, v12, 0
	v_add3_u32 v8, v8, v11, v1
	v_add3_u32 v40, v61, v40, v60
	;; [unrolled: 1-line block ×3, first 2 shown]
	v_add_co_u32 v60, vcc_lo, s10, v5
	v_add_co_ci_u32_e32 v61, vcc_lo, s11, v6, vcc_lo
	v_lshlrev_b64 v[5:6], 2, v[7:8]
	v_add3_u32 v10, v10, v14, v13
	v_add_co_u32 v1, vcc_lo, v74, 5
	v_add_co_ci_u32_e32 v11, vcc_lo, 0, v75, vcc_lo
	s_delay_alu instid0(VALU_DEP_4) | instskip(NEXT) | instid1(VALU_DEP_4)
	v_add_co_u32 v62, vcc_lo, s8, v5
	v_lshlrev_b64 v[7:8], 2, v[9:10]
	v_add_co_ci_u32_e32 v63, vcc_lo, s9, v6, vcc_lo
	v_mul_lo_u32 v12, s7, v1
	v_mul_lo_u32 v11, s6, v11
	v_mad_u64_u32 v[9:10], null, s6, v1, 0
	v_add_co_u32 v64, vcc_lo, s10, v5
	v_add_co_ci_u32_e32 v65, vcc_lo, s11, v6, vcc_lo
	v_add_co_u32 v66, vcc_lo, s8, v7
	v_add_co_ci_u32_e32 v67, vcc_lo, s9, v8, vcc_lo
	s_mul_hi_u32 s2, s6, s15
	v_add_co_u32 v1, vcc_lo, v74, 4
	v_add3_u32 v10, v10, v11, v12
	s_add_i32 s3, s2, s16
	v_add_co_u32 v68, s2, s10, v7
	v_add_co_ci_u32_e32 v7, vcc_lo, 0, v75, vcc_lo
	v_add_co_u32 v12, vcc_lo, v74, 3
	v_lshlrev_b64 v[5:6], 2, v[9:10]
	v_add_co_ci_u32_e32 v9, vcc_lo, 0, v75, vcc_lo
	v_add_co_ci_u32_e64 v69, s2, s11, v8, s2
	v_mul_lo_u32 v11, s7, v1
	v_mul_lo_u32 v13, s6, v7
	v_mad_u64_u32 v[7:8], null, s6, v1, 0
	v_mul_lo_u32 v1, s7, v12
	v_mul_lo_u32 v14, s6, v9
	v_mad_u64_u32 v[9:10], null, s6, v12, 0
	v_add_co_u32 v70, vcc_lo, s8, v5
	v_add_co_ci_u32_e32 v71, vcc_lo, s9, v6, vcc_lo
	v_add3_u32 v8, v8, v13, v11
	v_add_co_u32 v72, vcc_lo, s10, v5
	v_add_co_ci_u32_e32 v73, vcc_lo, s11, v6, vcc_lo
	v_add3_u32 v10, v10, v14, v1
	v_add_co_u32 v1, vcc_lo, v74, 2
	v_lshlrev_b64 v[5:6], 2, v[7:8]
	v_add_co_ci_u32_e32 v11, vcc_lo, 0, v75, vcc_lo
	s_delay_alu instid0(VALU_DEP_4) | instskip(NEXT) | instid1(VALU_DEP_4)
	v_lshlrev_b64 v[7:8], 2, v[9:10]
	v_mul_lo_u32 v12, s7, v1
	v_mad_u64_u32 v[9:10], null, s6, v1, 0
	v_add_co_u32 v74, vcc_lo, s8, v5
	v_mul_lo_u32 v11, s6, v11
	v_add_co_ci_u32_e32 v75, vcc_lo, s9, v6, vcc_lo
	v_add_co_u32 v76, vcc_lo, s10, v5
	v_add_co_ci_u32_e32 v77, vcc_lo, s11, v6, vcc_lo
	v_add_co_u32 v78, vcc_lo, s8, v7
	v_add_co_ci_u32_e32 v79, vcc_lo, s9, v8, vcc_lo
	v_add3_u32 v10, v10, v11, v12
	v_add_co_u32 v80, vcc_lo, s10, v7
	v_add_co_ci_u32_e32 v81, vcc_lo, s11, v8, vcc_lo
	v_add_co_u32 v3, vcc_lo, v3, s6
	s_delay_alu instid0(VALU_DEP_4) | instskip(SKIP_3) | instid1(VALU_DEP_4)
	v_lshlrev_b64 v[5:6], 2, v[9:10]
	v_add_co_ci_u32_e32 v4, vcc_lo, s7, v4, vcc_lo
	v_mad_u64_u32 v[35:36], null, s6, v18, s[8:9]
	v_mul_lo_u32 v22, s7, v18
	v_add_co_u32 v82, vcc_lo, s8, v5
	s_delay_alu instid0(VALU_DEP_4)
	v_lshlrev_b64 v[3:4], 2, v[3:4]
	v_add_co_ci_u32_e32 v83, vcc_lo, s9, v6, vcc_lo
	v_mad_u64_u32 v[37:38], null, s6, v20, s[8:9]
	v_mul_lo_u32 v24, s7, v20
	v_mad_u64_u32 v[49:50], null, s6, v18, s[10:11]
	v_mad_u64_u32 v[51:52], null, s6, v20, s[10:11]
	v_add_co_u32 v84, vcc_lo, s10, v5
	v_add_co_ci_u32_e32 v85, vcc_lo, s11, v6, vcc_lo
	v_add_co_u32 v86, vcc_lo, s8, v3
	v_add_co_ci_u32_e32 v87, vcc_lo, s9, v4, vcc_lo
	v_add_co_u32 v88, vcc_lo, s10, v3
	v_add3_u32 v32, v16, v32, v15
	v_add3_u32 v34, v19, v34, v17
	;; [unrolled: 1-line block ×8, first 2 shown]
	v_add_co_ci_u32_e32 v89, vcc_lo, s11, v4, vcc_lo
	s_mul_i32 s2, s6, s15
	s_mov_b32 s16, 0
	s_lshl_b64 s[2:3], s[2:3], 2
.LBB157_53:                             ; =>This Inner Loop Header: Depth=1
	v_cmp_ge_i64_e64 s8, s[28:29], s[4:5]
	v_add_co_u32 v91, s9, v57, s28
	s_delay_alu instid0(VALU_DEP_1) | instskip(NEXT) | instid1(VALU_DEP_3)
	v_add_co_ci_u32_e64 v92, null, 0, s29, s9
	s_and_b32 vcc_lo, exec_lo, s8
	s_cbranch_vccz .LBB157_75
; %bb.54:                               ;   in Loop: Header=BB157_53 Depth=1
	s_load_b32 s8, s[26:27], 0xc
	v_mov_b32_e32 v93, 0
	s_waitcnt lgkmcnt(0)
	s_and_b32 s8, s8, 0xffff
	s_delay_alu instid0(SALU_CYCLE_1) | instskip(SKIP_1) | instid1(VALU_DEP_1)
	v_mad_u32_u24 v1, v56, s8, v55
	s_mov_b32 s8, exec_lo
	v_and_b32_e32 v1, 31, v1
	s_delay_alu instid0(VALU_DEP_1)
	v_cmpx_gt_u32_e32 8, v1
	s_cbranch_execz .LBB157_58
; %bb.55:                               ;   in Loop: Header=BB157_53 Depth=1
	v_add_co_u32 v1, vcc_lo, v91, v1
	v_add_co_ci_u32_e32 v4, vcc_lo, 0, v92, vcc_lo
	v_mov_b32_e32 v93, 0
	s_delay_alu instid0(VALU_DEP_3) | instskip(NEXT) | instid1(VALU_DEP_3)
	v_add_co_u32 v3, vcc_lo, 0xffffffc1, v1
	v_add_co_ci_u32_e32 v4, vcc_lo, -1, v4, vcc_lo
	s_mov_b32 s9, exec_lo
	s_delay_alu instid0(VALU_DEP_1)
	v_cmpx_gt_i64_e64 s[4:5], v[3:4]
	s_cbranch_execz .LBB157_57
; %bb.56:                               ;   in Loop: Header=BB157_53 Depth=1
	v_lshlrev_b64 v[3:4], 2, v[3:4]
	s_delay_alu instid0(VALU_DEP_1) | instskip(NEXT) | instid1(VALU_DEP_2)
	v_add_co_u32 v3, vcc_lo, s12, v3
	v_add_co_ci_u32_e32 v4, vcc_lo, s13, v4, vcc_lo
	global_load_b32 v93, v[3:4], off
.LBB157_57:                             ;   in Loop: Header=BB157_53 Depth=1
	s_or_b32 exec_lo, exec_lo, s9
.LBB157_58:                             ;   in Loop: Header=BB157_53 Depth=1
	s_delay_alu instid0(SALU_CYCLE_1)
	s_or_b32 exec_lo, exec_lo, s8
	s_mov_b32 s22, s16
	s_mov_b32 s23, s16
	s_mov_b32 s17, s16
	s_mov_b32 s18, s16
	s_mov_b32 s19, s16
	s_mov_b32 s20, s16
	s_mov_b32 s21, s16
	v_dual_mov_b32 v9, s16 :: v_dual_mov_b32 v10, s17
	v_dual_mov_b32 v15, s22 :: v_dual_mov_b32 v16, s23
	v_dual_mov_b32 v11, s18 :: v_dual_mov_b32 v12, s19
	v_dual_mov_b32 v13, s20 :: v_dual_mov_b32 v14, s21
	v_add_co_u32 v3, vcc_lo, 0xffffffc1, v91
	s_delay_alu instid0(VALU_DEP_4) | instskip(SKIP_1) | instid1(VALU_DEP_4)
	v_dual_mov_b32 v24, v16 :: v_dual_mov_b32 v23, v15
	v_add_co_ci_u32_e32 v4, vcc_lo, -1, v92, vcc_lo
	v_dual_mov_b32 v22, v14 :: v_dual_mov_b32 v21, v13
	v_dual_mov_b32 v20, v12 :: v_dual_mov_b32 v19, v11
	;; [unrolled: 1-line block ×3, first 2 shown]
	s_mov_b32 s8, exec_lo
	v_cmpx_gt_i64_e64 s[4:5], v[3:4]
	s_cbranch_execz .LBB157_60
; %bb.59:                               ;   in Loop: Header=BB157_53 Depth=1
	v_add_co_u32 v3, vcc_lo, v58, v25
	v_add_co_ci_u32_e32 v4, vcc_lo, v59, v26, vcc_lo
	v_mov_b32_e32 v8, v2
	v_mov_b32_e32 v5, v2
	;; [unrolled: 1-line block ×3, first 2 shown]
	global_load_b32 v1, v[3:4], off
	v_add_co_u32 v3, vcc_lo, v60, v25
	v_add_co_ci_u32_e32 v4, vcc_lo, v61, v26, vcc_lo
	v_mov_b32_e32 v7, v2
	v_mov_b32_e32 v15, v2
	global_load_b32 v9, v[3:4], off
	v_mov_b32_e32 v3, v2
	v_mov_b32_e32 v4, v2
	s_waitcnt vmcnt(1)
	v_dual_mov_b32 v11, v2 :: v_dual_mov_b32 v24, v8
	v_dual_mov_b32 v10, v2 :: v_dual_mov_b32 v23, v7
	;; [unrolled: 1-line block ×5, first 2 shown]
	v_mov_b32_e32 v16, v2
	v_mov_b32_e32 v22, v6
	v_dual_mov_b32 v18, v2 :: v_dual_mov_b32 v17, v1
.LBB157_60:                             ;   in Loop: Header=BB157_53 Depth=1
	s_or_b32 exec_lo, exec_lo, s8
	v_add_co_u32 v3, vcc_lo, 0xffffffc2, v91
	v_add_co_ci_u32_e32 v4, vcc_lo, -1, v92, vcc_lo
	s_mov_b32 s8, exec_lo
	s_delay_alu instid0(VALU_DEP_1)
	v_cmpx_gt_i64_e64 s[4:5], v[3:4]
	s_cbranch_execz .LBB157_62
; %bb.61:                               ;   in Loop: Header=BB157_53 Depth=1
	v_add_co_u32 v3, vcc_lo, v86, v25
	v_add_co_ci_u32_e32 v4, vcc_lo, v87, v26, vcc_lo
	v_add_co_u32 v5, vcc_lo, v88, v25
	v_add_co_ci_u32_e32 v6, vcc_lo, v89, v26, vcc_lo
	global_load_b32 v18, v[3:4], off
	global_load_b32 v10, v[5:6], off
.LBB157_62:                             ;   in Loop: Header=BB157_53 Depth=1
	s_or_b32 exec_lo, exec_lo, s8
	v_add_co_u32 v3, vcc_lo, 0xffffffc3, v91
	v_add_co_ci_u32_e32 v4, vcc_lo, -1, v92, vcc_lo
	s_mov_b32 s8, exec_lo
	s_delay_alu instid0(VALU_DEP_1)
	v_cmpx_gt_i64_e64 s[4:5], v[3:4]
	s_cbranch_execz .LBB157_64
; %bb.63:                               ;   in Loop: Header=BB157_53 Depth=1
	v_add_co_u32 v3, vcc_lo, v82, v25
	v_add_co_ci_u32_e32 v4, vcc_lo, v83, v26, vcc_lo
	v_add_co_u32 v5, vcc_lo, v84, v25
	v_add_co_ci_u32_e32 v6, vcc_lo, v85, v26, vcc_lo
	global_load_b32 v19, v[3:4], off
	global_load_b32 v11, v[5:6], off
.LBB157_64:                             ;   in Loop: Header=BB157_53 Depth=1
	;; [unrolled: 15-line block ×7, first 2 shown]
	s_or_b32 exec_lo, exec_lo, s8
	s_waitcnt vmcnt(0)
	ds_bpermute_b32 v1, v2, v93
	ds_bpermute_b32 v3, v2, v93 offset:4
	ds_bpermute_b32 v4, v2, v93 offset:8
	v_mul_f32_e32 v5, v9, v17
	ds_bpermute_b32 v6, v2, v93 offset:12
	v_mul_f32_e32 v7, v10, v18
	ds_bpermute_b32 v8, v2, v93 offset:16
	ds_bpermute_b32 v9, v2, v93 offset:20
	s_waitcnt lgkmcnt(5)
	v_fma_f32 v1, v5, v1, v90
	v_mul_f32_e32 v5, v11, v19
	s_waitcnt lgkmcnt(4)
	s_delay_alu instid0(VALU_DEP_2)
	v_fmac_f32_e32 v1, v7, v3
	v_mul_f32_e32 v3, v12, v20
	ds_bpermute_b32 v7, v2, v93 offset:24
	s_waitcnt lgkmcnt(4)
	v_fmac_f32_e32 v1, v5, v4
	v_dual_mul_f32 v4, v13, v21 :: v_dual_mul_f32 v5, v14, v22
	s_waitcnt lgkmcnt(3)
	s_delay_alu instid0(VALU_DEP_2) | instskip(SKIP_4) | instid1(VALU_DEP_1)
	v_fmac_f32_e32 v1, v3, v6
	ds_bpermute_b32 v3, v2, v93 offset:28
	s_waitcnt lgkmcnt(3)
	v_dual_fmac_f32 v1, v4, v8 :: v_dual_mul_f32 v4, v15, v23
	s_waitcnt lgkmcnt(2)
	v_fmac_f32_e32 v1, v5, v9
	s_waitcnt lgkmcnt(1)
	s_delay_alu instid0(VALU_DEP_1) | instskip(SKIP_2) | instid1(VALU_DEP_1)
	v_fmac_f32_e32 v1, v4, v7
	v_mul_f32_e32 v4, v16, v24
	s_waitcnt lgkmcnt(0)
	v_fmac_f32_e32 v1, v4, v3
	s_branch .LBB157_81
.LBB157_75:                             ;   in Loop: Header=BB157_53 Depth=1
                                        ; implicit-def: $vgpr1
	s_cbranch_execz .LBB157_81
; %bb.76:                               ;   in Loop: Header=BB157_53 Depth=1
	s_load_b32 s8, s[26:27], 0x0
	s_waitcnt lgkmcnt(0)
	s_cmp_lt_u32 s14, s8
	s_cselect_b32 s8, 12, 18
	s_delay_alu instid0(SALU_CYCLE_1)
	s_add_u32 s8, s26, s8
	s_addc_u32 s9, s27, 0
	global_load_u16 v1, v2, s[8:9]
	s_mov_b32 s8, exec_lo
	s_waitcnt vmcnt(0)
	v_mad_u32_u24 v1, v56, v1, v55
	s_delay_alu instid0(VALU_DEP_1) | instskip(SKIP_1) | instid1(VALU_DEP_2)
	v_and_b32_e32 v3, 31, v1
	v_mov_b32_e32 v1, 0
	v_cmpx_gt_u32_e32 8, v3
	s_cbranch_execz .LBB157_80
; %bb.77:                               ;   in Loop: Header=BB157_53 Depth=1
	v_add_co_u32 v1, vcc_lo, v91, v3
	v_add_co_ci_u32_e32 v4, vcc_lo, 0, v92, vcc_lo
	s_mov_b32 s9, exec_lo
	s_delay_alu instid0(VALU_DEP_2) | instskip(NEXT) | instid1(VALU_DEP_2)
	v_add_co_u32 v3, vcc_lo, 0xffffffc1, v1
	v_add_co_ci_u32_e32 v4, vcc_lo, -1, v4, vcc_lo
	v_mov_b32_e32 v1, 0
	s_delay_alu instid0(VALU_DEP_2)
	v_cmpx_gt_i64_e64 s[4:5], v[3:4]
	s_cbranch_execz .LBB157_79
; %bb.78:                               ;   in Loop: Header=BB157_53 Depth=1
	v_lshlrev_b64 v[3:4], 2, v[3:4]
	s_delay_alu instid0(VALU_DEP_1) | instskip(NEXT) | instid1(VALU_DEP_2)
	v_add_co_u32 v3, vcc_lo, s12, v3
	v_add_co_ci_u32_e32 v4, vcc_lo, s13, v4, vcc_lo
	global_load_b32 v1, v[3:4], off
.LBB157_79:                             ;   in Loop: Header=BB157_53 Depth=1
	s_or_b32 exec_lo, exec_lo, s9
.LBB157_80:                             ;   in Loop: Header=BB157_53 Depth=1
	s_delay_alu instid0(SALU_CYCLE_1)
	s_or_b32 exec_lo, exec_lo, s8
	v_add_co_u32 v3, vcc_lo, v58, v25
	v_add_co_ci_u32_e32 v4, vcc_lo, v59, v26, vcc_lo
	v_add_co_u32 v5, vcc_lo, v60, v25
	v_add_co_ci_u32_e32 v6, vcc_lo, v61, v26, vcc_lo
	;; [unrolled: 2-line block ×4, first 2 shown]
	global_load_b32 v13, v[3:4], off
	global_load_b32 v14, v[5:6], off
	;; [unrolled: 1-line block ×4, first 2 shown]
	v_add_co_u32 v3, vcc_lo, v29, v25
	v_add_co_ci_u32_e32 v4, vcc_lo, v30, v26, vcc_lo
	v_add_co_u32 v5, vcc_lo, v43, v25
	v_add_co_ci_u32_e32 v6, vcc_lo, v44, v26, vcc_lo
	;; [unrolled: 2-line block ×5, first 2 shown]
	global_load_b32 v17, v[3:4], off
	global_load_b32 v18, v[5:6], off
	;; [unrolled: 1-line block ×5, first 2 shown]
	v_add_co_u32 v3, vcc_lo, v47, v25
	v_add_co_ci_u32_e32 v4, vcc_lo, v48, v26, vcc_lo
	v_add_co_u32 v5, vcc_lo, v35, v25
	v_add_co_ci_u32_e32 v6, vcc_lo, v36, v26, vcc_lo
	;; [unrolled: 2-line block ×5, first 2 shown]
	global_load_b32 v22, v[3:4], off
	global_load_b32 v23, v[5:6], off
	;; [unrolled: 1-line block ×5, first 2 shown]
	v_add_co_u32 v3, vcc_lo, v39, v25
	v_add_co_ci_u32_e32 v4, vcc_lo, v40, v26, vcc_lo
	v_add_co_u32 v5, vcc_lo, v53, v25
	v_add_co_ci_u32_e32 v6, vcc_lo, v54, v26, vcc_lo
	global_load_b32 v3, v[3:4], off
	global_load_b32 v4, v[5:6], off
	s_waitcnt vmcnt(16)
	ds_bpermute_b32 v5, v2, v1
	ds_bpermute_b32 v6, v2, v1 offset:4
	ds_bpermute_b32 v10, v2, v1 offset:8
	;; [unrolled: 1-line block ×3, first 2 shown]
	s_waitcnt vmcnt(14)
	v_mul_f32_e32 v12, v13, v14
	ds_bpermute_b32 v13, v2, v1 offset:16
	s_waitcnt vmcnt(12)
	v_mul_f32_e32 v14, v15, v16
	s_waitcnt vmcnt(4) lgkmcnt(4)
	v_dual_mul_f32 v7, v23, v7 :: v_dual_fmac_f32 v90, v12, v5
	ds_bpermute_b32 v5, v2, v1 offset:20
	v_mul_f32_e32 v12, v17, v18
	s_waitcnt vmcnt(0)
	v_dual_mul_f32 v8, v8, v9 :: v_dual_mul_f32 v3, v3, v4
	s_waitcnt lgkmcnt(4)
	v_fmac_f32_e32 v90, v14, v6
	ds_bpermute_b32 v6, v2, v1 offset:24
	v_mul_f32_e32 v14, v19, v20
	ds_bpermute_b32 v1, v2, v1 offset:28
	s_waitcnt lgkmcnt(5)
	v_fmac_f32_e32 v90, v12, v10
	v_mul_f32_e32 v10, v21, v22
	s_waitcnt lgkmcnt(4)
	s_delay_alu instid0(VALU_DEP_2) | instskip(SKIP_1) | instid1(VALU_DEP_1)
	v_fmac_f32_e32 v90, v14, v11
	s_waitcnt lgkmcnt(3)
	v_fmac_f32_e32 v90, v10, v13
	s_waitcnt lgkmcnt(2)
	s_delay_alu instid0(VALU_DEP_1) | instskip(SKIP_1) | instid1(VALU_DEP_1)
	v_fmac_f32_e32 v90, v7, v5
	s_waitcnt lgkmcnt(1)
	v_fmac_f32_e32 v90, v8, v6
	s_waitcnt lgkmcnt(0)
	s_delay_alu instid0(VALU_DEP_1) | instskip(NEXT) | instid1(VALU_DEP_1)
	v_fmac_f32_e32 v90, v3, v1
	v_mov_b32_e32 v1, v90
.LBB157_81:                             ;   in Loop: Header=BB157_53 Depth=1
	v_add_co_u32 v27, vcc_lo, v27, s2
	v_add_co_ci_u32_e32 v28, vcc_lo, s3, v28, vcc_lo
	v_add_co_u32 v29, vcc_lo, v29, s2
	v_add_co_ci_u32_e32 v30, vcc_lo, s3, v30, vcc_lo
	;; [unrolled: 2-line block ×27, first 2 shown]
	v_add_co_u32 v84, vcc_lo, v84, s2
	s_add_u32 s24, s24, s15
	v_add_co_ci_u32_e32 v85, vcc_lo, s3, v85, vcc_lo
	s_addc_u32 s25, s25, 0
	v_add_co_u32 v86, vcc_lo, v86, s2
	v_cmp_ge_i64_e64 s8, s[24:25], s[4:5]
	v_add_co_ci_u32_e32 v87, vcc_lo, s3, v87, vcc_lo
	v_add_co_u32 v88, vcc_lo, v88, s2
	v_add_co_ci_u32_e32 v89, vcc_lo, s3, v89, vcc_lo
	s_add_u32 s28, s28, s15
	s_addc_u32 s29, s29, 0
	s_and_b32 vcc_lo, exec_lo, s8
	s_cbranch_vccnz .LBB157_83
; %bb.82:                               ;   in Loop: Header=BB157_53 Depth=1
	v_mov_b32_e32 v90, v1
	s_branch .LBB157_53
.LBB157_83:
	v_dual_mov_b32 v6, 0 :: v_dual_and_b32 v3, 0x3ff, v0
	v_bfe_u32 v0, v0, 10, 10
	s_mov_b32 s15, 0
	s_mov_b32 s2, exec_lo
	s_delay_alu instid0(VALU_DEP_2) | instskip(NEXT) | instid1(VALU_DEP_2)
	v_lshrrev_b32_e32 v2, 5, v3
	v_mad_u32_u24 v5, v0, 33, v3
	s_delay_alu instid0(VALU_DEP_2) | instskip(NEXT) | instid1(VALU_DEP_2)
	v_add_nc_u32_e32 v4, v2, v0
	v_lshl_add_u32 v5, v5, 2, 0
	ds_store_b32 v5, v1
	ds_store_b32 v5, v6 offset:1056
	s_waitcnt lgkmcnt(0)
	s_barrier
	buffer_gl0_inv
	v_cmpx_gt_u32_e32 32, v4
	s_cbranch_execz .LBB157_90
; %bb.84:
	v_mbcnt_lo_u32_b32 v5, -1, 0
	s_load_b64 s[2:3], s[0:1], 0x30
	v_and_b32_e32 v1, 31, v3
	v_cmp_ne_u32_e32 vcc_lo, 0, v3
	s_lshl_b64 s[4:5], s[14:15], 5
	v_xor_b32_e32 v6, 4, v5
	v_xor_b32_e32 v8, 2, v5
	v_cmp_gt_u32_e64 s0, 8, v1
	v_mul_u32_u24_e32 v7, 0x84, v1
	v_xor_b32_e32 v9, 1, v5
	v_cmp_gt_i32_e64 s1, 32, v6
	v_lshlrev_b32_e32 v10, 2, v4
	s_delay_alu instid0(VALU_DEP_2) | instskip(SKIP_1) | instid1(VALU_DEP_1)
	v_cndmask_b32_e64 v6, v5, v6, s1
	v_add_co_u32 v2, s1, v2, v0
	v_add_co_ci_u32_e64 v3, null, 0, 0, s1
	s_delay_alu instid0(VALU_DEP_3) | instskip(NEXT) | instid1(VALU_DEP_3)
	v_lshlrev_b32_e32 v4, 2, v6
	v_add_co_u32 v0, s1, v2, s4
	s_delay_alu instid0(VALU_DEP_1)
	v_add_co_ci_u32_e64 v1, s1, s5, v3, s1
	v_cmp_gt_i32_e64 s1, 32, v8
	v_add3_u32 v7, v7, v10, 0
	s_waitcnt lgkmcnt(0)
	s_cmp_eq_u64 s[2:3], 0
	v_lshlrev_b64 v[0:1], 2, v[0:1]
	v_cndmask_b32_e64 v8, v5, v8, s1
	v_cmp_gt_i32_e64 s1, 32, v9
	s_delay_alu instid0(VALU_DEP_1) | instskip(NEXT) | instid1(VALU_DEP_4)
	v_cndmask_b32_e64 v9, v5, v9, s1
	v_add_co_u32 v0, s1, s2, v0
	s_delay_alu instid0(VALU_DEP_4) | instskip(SKIP_1) | instid1(VALU_DEP_4)
	v_lshlrev_b32_e32 v5, 2, v8
	v_add_co_ci_u32_e64 v1, s1, s3, v1, s1
	v_lshlrev_b32_e32 v6, 2, v9
	s_cselect_b32 s3, -1, 0
                                        ; implicit-def: $vgpr8
	s_set_inst_prefetch_distance 0x1
	s_branch .LBB157_86
	.p2align	6
.LBB157_85:                             ;   in Loop: Header=BB157_86 Depth=1
	s_or_b32 exec_lo, exec_lo, s1
	v_add_co_u32 v2, s1, v2, 8
	s_delay_alu instid0(VALU_DEP_1) | instskip(SKIP_1) | instid1(VALU_DEP_3)
	v_add_co_ci_u32_e64 v3, s1, 0, v3, s1
	v_add_co_u32 v0, s2, v0, 32
	v_add_nc_u32_e32 v9, -8, v2
	v_add_nc_u32_e32 v7, 32, v7
	v_add_co_ci_u32_e64 v1, s2, 0, v1, s2
	s_delay_alu instid0(VALU_DEP_3) | instskip(NEXT) | instid1(VALU_DEP_1)
	v_cmp_lt_u32_e64 s1, 23, v9
	s_or_b32 s15, s1, s15
	s_delay_alu instid0(SALU_CYCLE_1)
	s_and_not1_b32 exec_lo, exec_lo, s15
	s_cbranch_execz .LBB157_90
.LBB157_86:                             ; =>This Inner Loop Header: Depth=1
	s_and_saveexec_b32 s1, s0
	s_cbranch_execz .LBB157_88
; %bb.87:                               ;   in Loop: Header=BB157_86 Depth=1
	ds_load_b32 v8, v7
.LBB157_88:                             ;   in Loop: Header=BB157_86 Depth=1
	s_or_b32 exec_lo, exec_lo, s1
	s_waitcnt lgkmcnt(0)
	ds_bpermute_b32 v9, v4, v8
	s_waitcnt lgkmcnt(0)
	v_add_f32_e32 v8, v8, v9
	ds_bpermute_b32 v9, v5, v8
	s_waitcnt lgkmcnt(0)
	v_add_f32_e32 v10, v8, v9
	v_add_co_u32 v8, s1, s4, v2
	s_delay_alu instid0(VALU_DEP_1) | instskip(SKIP_2) | instid1(VALU_DEP_1)
	v_add_co_ci_u32_e64 v9, s1, s5, v3, s1
	ds_bpermute_b32 v11, v6, v10
	v_cmp_le_i64_e64 s1, s[6:7], v[8:9]
	s_or_b32 s1, vcc_lo, s1
	s_delay_alu instid0(SALU_CYCLE_1) | instskip(NEXT) | instid1(SALU_CYCLE_1)
	s_or_b32 s1, s3, s1
	s_xor_b32 s2, s1, -1
	s_waitcnt lgkmcnt(0)
	v_add_f32_e32 v8, v10, v11
	s_and_saveexec_b32 s1, s2
	s_cbranch_execz .LBB157_85
; %bb.89:                               ;   in Loop: Header=BB157_86 Depth=1
	global_store_b32 v[0:1], v8, off
	s_branch .LBB157_85
.LBB157_90:
	s_set_inst_prefetch_distance 0x2
	s_nop 0
	s_sendmsg sendmsg(MSG_DEALLOC_VGPRS)
	s_endpgm
	.section	.rodata,"a",@progbits
	.p2align	6, 0x0
	.amdhsa_kernel _ZN2at6native12_GLOBAL__N_135GammaBetaBackwardCUDAKernelTemplateIffLj32ELj8ELj64ELb0ELb0ELb1EEEvllPKT_S5_PKT0_S8_PS3_S9_
		.amdhsa_group_segment_fixed_size 0
		.amdhsa_private_segment_fixed_size 0
		.amdhsa_kernarg_size 320
		.amdhsa_user_sgpr_count 14
		.amdhsa_user_sgpr_dispatch_ptr 0
		.amdhsa_user_sgpr_queue_ptr 0
		.amdhsa_user_sgpr_kernarg_segment_ptr 1
		.amdhsa_user_sgpr_dispatch_id 0
		.amdhsa_user_sgpr_private_segment_size 0
		.amdhsa_wavefront_size32 1
		.amdhsa_uses_dynamic_stack 0
		.amdhsa_enable_private_segment 0
		.amdhsa_system_sgpr_workgroup_id_x 1
		.amdhsa_system_sgpr_workgroup_id_y 1
		.amdhsa_system_sgpr_workgroup_id_z 0
		.amdhsa_system_sgpr_workgroup_info 0
		.amdhsa_system_vgpr_workitem_id 1
		.amdhsa_next_free_vgpr 94
		.amdhsa_next_free_sgpr 37
		.amdhsa_reserve_vcc 1
		.amdhsa_float_round_mode_32 0
		.amdhsa_float_round_mode_16_64 0
		.amdhsa_float_denorm_mode_32 3
		.amdhsa_float_denorm_mode_16_64 3
		.amdhsa_dx10_clamp 1
		.amdhsa_ieee_mode 1
		.amdhsa_fp16_overflow 0
		.amdhsa_workgroup_processor_mode 1
		.amdhsa_memory_ordered 1
		.amdhsa_forward_progress 0
		.amdhsa_shared_vgpr_count 0
		.amdhsa_exception_fp_ieee_invalid_op 0
		.amdhsa_exception_fp_denorm_src 0
		.amdhsa_exception_fp_ieee_div_zero 0
		.amdhsa_exception_fp_ieee_overflow 0
		.amdhsa_exception_fp_ieee_underflow 0
		.amdhsa_exception_fp_ieee_inexact 0
		.amdhsa_exception_int_div_zero 0
	.end_amdhsa_kernel
	.section	.text._ZN2at6native12_GLOBAL__N_135GammaBetaBackwardCUDAKernelTemplateIffLj32ELj8ELj64ELb0ELb0ELb1EEEvllPKT_S5_PKT0_S8_PS3_S9_,"axG",@progbits,_ZN2at6native12_GLOBAL__N_135GammaBetaBackwardCUDAKernelTemplateIffLj32ELj8ELj64ELb0ELb0ELb1EEEvllPKT_S5_PKT0_S8_PS3_S9_,comdat
.Lfunc_end157:
	.size	_ZN2at6native12_GLOBAL__N_135GammaBetaBackwardCUDAKernelTemplateIffLj32ELj8ELj64ELb0ELb0ELb1EEEvllPKT_S5_PKT0_S8_PS3_S9_, .Lfunc_end157-_ZN2at6native12_GLOBAL__N_135GammaBetaBackwardCUDAKernelTemplateIffLj32ELj8ELj64ELb0ELb0ELb1EEEvllPKT_S5_PKT0_S8_PS3_S9_
                                        ; -- End function
	.section	.AMDGPU.csdata,"",@progbits
; Kernel info:
; codeLenInByte = 7352
; NumSgprs: 39
; NumVgprs: 94
; ScratchSize: 0
; MemoryBound: 0
; FloatMode: 240
; IeeeMode: 1
; LDSByteSize: 0 bytes/workgroup (compile time only)
; SGPRBlocks: 4
; VGPRBlocks: 11
; NumSGPRsForWavesPerEU: 39
; NumVGPRsForWavesPerEU: 94
; Occupancy: 16
; WaveLimiterHint : 0
; COMPUTE_PGM_RSRC2:SCRATCH_EN: 0
; COMPUTE_PGM_RSRC2:USER_SGPR: 14
; COMPUTE_PGM_RSRC2:TRAP_HANDLER: 0
; COMPUTE_PGM_RSRC2:TGID_X_EN: 1
; COMPUTE_PGM_RSRC2:TGID_Y_EN: 1
; COMPUTE_PGM_RSRC2:TGID_Z_EN: 0
; COMPUTE_PGM_RSRC2:TIDIG_COMP_CNT: 1
	.section	.text._ZN2at6native12_GLOBAL__N_135GammaBetaBackwardCUDAKernelTemplateIffLj32ELj16ELj128ELb0ELb1ELb1EEEvllPKT_S5_PKT0_S8_PS3_S9_,"axG",@progbits,_ZN2at6native12_GLOBAL__N_135GammaBetaBackwardCUDAKernelTemplateIffLj32ELj16ELj128ELb0ELb1ELb1EEEvllPKT_S5_PKT0_S8_PS3_S9_,comdat
	.globl	_ZN2at6native12_GLOBAL__N_135GammaBetaBackwardCUDAKernelTemplateIffLj32ELj16ELj128ELb0ELb1ELb1EEEvllPKT_S5_PKT0_S8_PS3_S9_ ; -- Begin function _ZN2at6native12_GLOBAL__N_135GammaBetaBackwardCUDAKernelTemplateIffLj32ELj16ELj128ELb0ELb1ELb1EEEvllPKT_S5_PKT0_S8_PS3_S9_
	.p2align	8
	.type	_ZN2at6native12_GLOBAL__N_135GammaBetaBackwardCUDAKernelTemplateIffLj32ELj16ELj128ELb0ELb1ELb1EEEvllPKT_S5_PKT0_S8_PS3_S9_,@function
_ZN2at6native12_GLOBAL__N_135GammaBetaBackwardCUDAKernelTemplateIffLj32ELj16ELj128ELb0ELb1ELb1EEEvllPKT_S5_PKT0_S8_PS3_S9_: ; @_ZN2at6native12_GLOBAL__N_135GammaBetaBackwardCUDAKernelTemplateIffLj32ELj16ELj128ELb0ELb1ELb1EEEvllPKT_S5_PKT0_S8_PS3_S9_
; %bb.0:
	s_load_b128 s[4:7], s[0:1], 0x0
	s_mov_b32 s13, 0
	s_lshl_b32 s12, s15, 7
	v_bfe_u32 v7, v0, 10, 10
	s_waitcnt lgkmcnt(0)
	v_cmp_lt_i64_e64 s2, s[12:13], s[4:5]
	s_delay_alu instid0(VALU_DEP_1)
	s_and_b32 vcc_lo, exec_lo, s2
	s_cbranch_vccnz .LBB158_2
; %bb.1:
	v_bfe_u32 v1, v0, 10, 10
	s_mov_b32 s8, 0
	s_mov_b32 s9, s13
	s_branch .LBB158_3
.LBB158_2:
	s_mov_b32 s9, -1
                                        ; implicit-def: $sgpr8
                                        ; implicit-def: $vgpr1
.LBB158_3:
	s_load_b64 s[2:3], s[0:1], 0x30
	v_and_b32_e32 v6, 0x3ff, v0
	v_mov_b32_e32 v0, s8
	s_and_not1_b32 vcc_lo, exec_lo, s9
	s_cbranch_vccnz .LBB158_11
; %bb.4:
	s_clause 0x3
	s_load_b32 s15, s[0:1], 0x4c
	s_load_b32 s16, s[0:1], 0x44
	s_load_b128 s[8:11], s[0:1], 0x10
	s_load_b64 s[18:19], s[0:1], 0x28
	v_dual_mov_b32 v9, 4 :: v_dual_lshlrev_b32 v2, 3, v7
	v_dual_mov_b32 v8, 8 :: v_dual_mov_b32 v1, 0
	v_lshl_add_u32 v0, s14, 5, v6
	s_delay_alu instid0(VALU_DEP_3) | instskip(NEXT) | instid1(VALU_DEP_1)
	v_add_co_u32 v2, s1, v2, s12
	v_add_co_ci_u32_e64 v3, null, 0, 0, s1
	s_delay_alu instid0(VALU_DEP_3) | instskip(NEXT) | instid1(VALU_DEP_3)
	v_lshlrev_b64 v[15:16], 2, v[0:1]
	v_mul_lo_u32 v17, s7, v2
	v_dual_mov_b32 v10, 12 :: v_dual_mov_b32 v11, 16
	s_delay_alu instid0(VALU_DEP_4)
	v_mul_lo_u32 v18, s6, v3
	v_dual_mov_b32 v13, 24 :: v_dual_mov_b32 v14, 28
	s_waitcnt lgkmcnt(0)
	s_and_b32 s0, s15, 0xffff
	s_lshl_b32 s16, s16, 7
	v_mad_u32_u24 v4, v7, s0, v6
	v_mov_b32_e32 v12, 20
	s_mul_i32 s1, s7, s16
	s_mul_hi_u32 s15, s6, s16
	s_delay_alu instid0(VALU_DEP_2) | instskip(SKIP_3) | instid1(VALU_DEP_2)
	v_dual_mov_b32 v0, 0 :: v_dual_and_b32 v21, 31, v4
	v_mad_u64_u32 v[4:5], null, s6, v2, 0
	s_mov_b32 s17, 0
	s_add_i32 s21, s15, s1
	v_add_co_u32 v2, vcc_lo, v2, v21
	v_add_co_ci_u32_e32 v3, vcc_lo, 0, v3, vcc_lo
	s_delay_alu instid0(VALU_DEP_3) | instskip(SKIP_2) | instid1(VALU_DEP_3)
	v_add3_u32 v5, v5, v18, v17
	v_cmp_gt_u32_e64 s0, 8, v21
	s_mul_i32 s20, s6, s16
	v_lshlrev_b64 v[17:18], 2, v[2:3]
	s_lshl_b64 s[20:21], s[20:21], 2
	v_lshlrev_b64 v[19:20], 2, v[4:5]
	s_lshl_b64 s[6:7], s[6:7], 2
	s_delay_alu instid0(VALU_DEP_2) | instskip(NEXT) | instid1(VALU_DEP_3)
	v_add_co_u32 v4, vcc_lo, s18, v17
	v_add_co_ci_u32_e32 v5, vcc_lo, s19, v18, vcc_lo
	s_delay_alu instid0(VALU_DEP_3) | instskip(NEXT) | instid1(VALU_DEP_4)
	v_add_co_u32 v15, vcc_lo, v19, v15
	v_add_co_ci_u32_e32 v16, vcc_lo, v20, v16, vcc_lo
	s_lshl_b64 s[18:19], s[16:17], 2
	s_branch .LBB158_7
.LBB158_5:                              ;   in Loop: Header=BB158_7 Depth=1
	s_or_b32 exec_lo, exec_lo, s15
.LBB158_6:                              ;   in Loop: Header=BB158_7 Depth=1
	s_delay_alu instid0(SALU_CYCLE_1) | instskip(SKIP_4) | instid1(VALU_DEP_4)
	s_or_b32 exec_lo, exec_lo, s1
	v_add_co_u32 v18, vcc_lo, s8, v15
	v_add_co_ci_u32_e32 v19, vcc_lo, s9, v16, vcc_lo
	v_add_co_u32 v20, vcc_lo, s10, v15
	v_add_co_ci_u32_e32 v21, vcc_lo, s11, v16, vcc_lo
	v_add_co_u32 v22, vcc_lo, v18, s6
	s_delay_alu instid0(VALU_DEP_4) | instskip(NEXT) | instid1(VALU_DEP_4)
	v_add_co_ci_u32_e32 v23, vcc_lo, s7, v19, vcc_lo
	v_add_co_u32 v24, vcc_lo, v20, s6
	s_delay_alu instid0(VALU_DEP_4) | instskip(NEXT) | instid1(VALU_DEP_4)
	v_add_co_ci_u32_e32 v25, vcc_lo, s7, v21, vcc_lo
	v_add_co_u32 v26, vcc_lo, v22, s6
	s_delay_alu instid0(VALU_DEP_4)
	v_add_co_ci_u32_e32 v27, vcc_lo, s7, v23, vcc_lo
	global_load_b32 v28, v[18:19], off
	global_load_b32 v29, v[20:21], off
	;; [unrolled: 1-line block ×5, first 2 shown]
	v_add_co_u32 v18, vcc_lo, v24, s6
	v_add_co_ci_u32_e32 v19, vcc_lo, s7, v25, vcc_lo
	v_add_co_u32 v20, vcc_lo, v26, s6
	v_add_co_ci_u32_e32 v21, vcc_lo, s7, v27, vcc_lo
	s_delay_alu instid0(VALU_DEP_4) | instskip(NEXT) | instid1(VALU_DEP_4)
	v_add_co_u32 v22, vcc_lo, v18, s6
	v_add_co_ci_u32_e32 v23, vcc_lo, s7, v19, vcc_lo
	s_delay_alu instid0(VALU_DEP_4) | instskip(NEXT) | instid1(VALU_DEP_4)
	;; [unrolled: 3-line block ×3, first 2 shown]
	v_add_co_u32 v26, vcc_lo, v22, s6
	v_add_co_ci_u32_e32 v27, vcc_lo, s7, v23, vcc_lo
	global_load_b32 v33, v[18:19], off
	global_load_b32 v34, v[20:21], off
	;; [unrolled: 1-line block ×5, first 2 shown]
	v_add_co_u32 v18, vcc_lo, v24, s6
	v_add_co_ci_u32_e32 v19, vcc_lo, s7, v25, vcc_lo
	v_add_co_u32 v20, vcc_lo, v26, s6
	v_add_co_ci_u32_e32 v21, vcc_lo, s7, v27, vcc_lo
	s_delay_alu instid0(VALU_DEP_4) | instskip(NEXT) | instid1(VALU_DEP_4)
	v_add_co_u32 v22, vcc_lo, v18, s6
	v_add_co_ci_u32_e32 v23, vcc_lo, s7, v19, vcc_lo
	s_delay_alu instid0(VALU_DEP_4) | instskip(NEXT) | instid1(VALU_DEP_4)
	v_add_co_u32 v24, vcc_lo, v20, s6
	v_add_co_ci_u32_e32 v25, vcc_lo, s7, v21, vcc_lo
	global_load_b32 v26, v[18:19], off
	global_load_b32 v27, v[20:21], off
	;; [unrolled: 1-line block ×4, first 2 shown]
	v_add_co_u32 v18, vcc_lo, v22, s6
	v_add_co_ci_u32_e32 v19, vcc_lo, s7, v23, vcc_lo
	v_add_co_u32 v20, vcc_lo, v24, s6
	v_add_co_ci_u32_e32 v21, vcc_lo, s7, v25, vcc_lo
	global_load_b32 v18, v[18:19], off
	global_load_b32 v19, v[20:21], off
	s_waitcnt vmcnt(16)
	ds_bpermute_b32 v20, v1, v17
	ds_bpermute_b32 v21, v9, v17
	;; [unrolled: 1-line block ×4, first 2 shown]
	v_add_co_u32 v4, vcc_lo, v4, s18
	s_add_u32 s12, s12, s16
	v_add_co_ci_u32_e32 v5, vcc_lo, s19, v5, vcc_lo
	s_addc_u32 s13, s13, 0
	v_add_co_u32 v2, vcc_lo, v2, s16
	v_add_co_ci_u32_e32 v3, vcc_lo, 0, v3, vcc_lo
	v_cmp_lt_i64_e64 s1, s[12:13], s[4:5]
	v_add_co_u32 v15, vcc_lo, v15, s20
	v_add_co_ci_u32_e32 v16, vcc_lo, s21, v16, vcc_lo
	s_delay_alu instid0(VALU_DEP_3) | instskip(SKIP_3) | instid1(VALU_DEP_1)
	s_and_b32 vcc_lo, exec_lo, s1
	s_waitcnt vmcnt(14)
	v_mul_f32_e32 v23, v28, v29
	s_waitcnt lgkmcnt(3)
	v_fmac_f32_e32 v0, v23, v20
	s_waitcnt vmcnt(12)
	v_mul_f32_e32 v20, v30, v31
	ds_bpermute_b32 v23, v11, v17
	s_waitcnt lgkmcnt(3)
	v_fmac_f32_e32 v0, v20, v21
	ds_bpermute_b32 v21, v12, v17
	s_waitcnt vmcnt(10)
	v_mul_f32_e32 v20, v32, v33
	s_waitcnt lgkmcnt(3)
	s_delay_alu instid0(VALU_DEP_1)
	v_fmac_f32_e32 v0, v20, v22
	s_waitcnt vmcnt(8)
	v_mul_f32_e32 v20, v34, v35
	ds_bpermute_b32 v22, v13, v17
	ds_bpermute_b32 v17, v14, v17
	s_waitcnt lgkmcnt(4)
	v_fmac_f32_e32 v0, v20, v24
	s_waitcnt vmcnt(6)
	v_mul_f32_e32 v20, v36, v37
	s_waitcnt lgkmcnt(3)
	s_delay_alu instid0(VALU_DEP_1) | instskip(SKIP_3) | instid1(VALU_DEP_1)
	v_fmac_f32_e32 v0, v20, v23
	s_waitcnt vmcnt(4)
	v_mul_f32_e32 v20, v26, v27
	s_waitcnt lgkmcnt(2)
	v_fmac_f32_e32 v0, v20, v21
	s_waitcnt vmcnt(2)
	v_mul_f32_e32 v20, v38, v39
	s_waitcnt lgkmcnt(1)
	s_delay_alu instid0(VALU_DEP_1) | instskip(SKIP_3) | instid1(VALU_DEP_1)
	v_fmac_f32_e32 v0, v20, v22
	s_waitcnt vmcnt(0)
	v_mul_f32_e32 v18, v18, v19
	s_waitcnt lgkmcnt(0)
	v_fmac_f32_e32 v0, v18, v17
	s_cbranch_vccz .LBB158_10
.LBB158_7:                              ; =>This Inner Loop Header: Depth=1
	v_mov_b32_e32 v17, 0
	s_and_saveexec_b32 s1, s0
	s_cbranch_execz .LBB158_6
; %bb.8:                                ;   in Loop: Header=BB158_7 Depth=1
	v_mov_b32_e32 v17, 0
	s_mov_b32 s15, exec_lo
	v_cmpx_gt_i64_e64 s[4:5], v[2:3]
	s_cbranch_execz .LBB158_5
; %bb.9:                                ;   in Loop: Header=BB158_7 Depth=1
	global_load_b32 v17, v[4:5], off
	s_branch .LBB158_5
.LBB158_10:
	v_mov_b32_e32 v1, v7
.LBB158_11:
	s_delay_alu instid0(VALU_DEP_2) | instskip(NEXT) | instid1(VALU_DEP_2)
	v_lshrrev_b32_e32 v4, 5, v6
	v_mad_u32_u24 v2, v1, 33, v6
	v_mov_b32_e32 v3, 0
	s_mov_b32 s15, 0
	s_mov_b32 s0, exec_lo
	v_add_nc_u32_e32 v7, v4, v1
	v_lshl_add_u32 v2, v2, 2, 0
	ds_store_b32 v2, v0
	ds_store_b32 v2, v3 offset:2112
	s_waitcnt lgkmcnt(0)
	s_barrier
	buffer_gl0_inv
	v_cmpx_gt_u32_e32 32, v7
	s_cbranch_execz .LBB158_18
; %bb.12:
	v_mbcnt_lo_u32_b32 v0, -1, 0
	v_cmp_eq_u32_e64 s0, 0, v6
	s_cmp_lg_u64 s[2:3], 0
	v_and_b32_e32 v2, 31, v6
	s_cselect_b32 s1, -1, 0
	v_xor_b32_e32 v3, 8, v0
	v_xor_b32_e32 v5, 4, v0
	s_and_b32 s1, s0, s1
	v_xor_b32_e32 v6, 2, v0
	v_xor_b32_e32 v9, 1, v0
	v_cmp_gt_i32_e64 s0, 32, v3
	v_cmp_gt_u32_e32 vcc_lo, 16, v2
	v_mul_u32_u24_e32 v8, 0x84, v2
	s_lshl_b64 s[4:5], s[14:15], 7
	s_delay_alu instid0(VALU_DEP_3) | instskip(SKIP_1) | instid1(VALU_DEP_2)
	v_cndmask_b32_e64 v3, v0, v3, s0
	v_cmp_gt_i32_e64 s0, 32, v5
	v_lshlrev_b32_e32 v2, 2, v3
	s_delay_alu instid0(VALU_DEP_2) | instskip(SKIP_1) | instid1(VALU_DEP_2)
	v_cndmask_b32_e64 v5, v0, v5, s0
	v_cmp_gt_i32_e64 s0, 32, v6
	v_lshlrev_b32_e32 v3, 2, v5
	s_delay_alu instid0(VALU_DEP_2) | instskip(SKIP_1) | instid1(VALU_DEP_1)
	v_cndmask_b32_e64 v5, v0, v6, s0
	v_cmp_gt_i32_e64 s0, 32, v9
	v_cndmask_b32_e64 v6, v0, v9, s0
	v_add_co_u32 v0, s0, v4, v1
	s_delay_alu instid0(VALU_DEP_1) | instskip(SKIP_3) | instid1(VALU_DEP_2)
	v_add_co_ci_u32_e64 v1, null, 0, 0, s0
	v_lshlrev_b32_e32 v9, 2, v7
	s_add_u32 s0, s2, s4
	s_addc_u32 s2, s3, s5
	v_lshlrev_b64 v[0:1], 2, v[0:1]
	v_lshlrev_b32_e32 v4, 2, v5
	v_lshlrev_b32_e32 v5, 2, v6
	v_add3_u32 v6, v8, v9, 0
	v_add_nc_u32_e32 v7, -16, v7
                                        ; implicit-def: $vgpr8
	v_add_co_u32 v0, s0, s0, v0
	s_delay_alu instid0(VALU_DEP_1)
	v_add_co_ci_u32_e64 v1, s0, s2, v1, s0
	s_set_inst_prefetch_distance 0x1
	s_branch .LBB158_14
	.p2align	6
.LBB158_13:                             ;   in Loop: Header=BB158_14 Depth=1
	s_or_b32 exec_lo, exec_lo, s0
	v_add_co_u32 v7, s0, v7, 16
	s_delay_alu instid0(VALU_DEP_1) | instskip(SKIP_4) | instid1(SALU_CYCLE_1)
	s_xor_b32 s2, s0, -1
	v_add_co_u32 v0, s0, v0, 64
	v_add_nc_u32_e32 v6, 64, v6
	v_add_co_ci_u32_e64 v1, s0, 0, v1, s0
	s_and_b32 s0, exec_lo, s2
	s_or_b32 s15, s0, s15
	s_delay_alu instid0(SALU_CYCLE_1)
	s_and_not1_b32 exec_lo, exec_lo, s15
	s_cbranch_execz .LBB158_18
.LBB158_14:                             ; =>This Inner Loop Header: Depth=1
	s_and_saveexec_b32 s0, vcc_lo
	s_cbranch_execz .LBB158_16
; %bb.15:                               ;   in Loop: Header=BB158_14 Depth=1
	ds_load_b32 v8, v6
.LBB158_16:                             ;   in Loop: Header=BB158_14 Depth=1
	s_or_b32 exec_lo, exec_lo, s0
	s_waitcnt lgkmcnt(0)
	ds_bpermute_b32 v9, v2, v8
	s_waitcnt lgkmcnt(0)
	v_add_f32_e32 v8, v8, v9
	ds_bpermute_b32 v9, v3, v8
	s_waitcnt lgkmcnt(0)
	v_add_f32_e32 v8, v8, v9
	;; [unrolled: 3-line block ×4, first 2 shown]
	s_and_saveexec_b32 s0, s1
	s_cbranch_execz .LBB158_13
; %bb.17:                               ;   in Loop: Header=BB158_14 Depth=1
	global_store_b32 v[0:1], v8, off
	s_branch .LBB158_13
.LBB158_18:
	s_set_inst_prefetch_distance 0x2
	s_nop 0
	s_sendmsg sendmsg(MSG_DEALLOC_VGPRS)
	s_endpgm
	.section	.rodata,"a",@progbits
	.p2align	6, 0x0
	.amdhsa_kernel _ZN2at6native12_GLOBAL__N_135GammaBetaBackwardCUDAKernelTemplateIffLj32ELj16ELj128ELb0ELb1ELb1EEEvllPKT_S5_PKT0_S8_PS3_S9_
		.amdhsa_group_segment_fixed_size 0
		.amdhsa_private_segment_fixed_size 0
		.amdhsa_kernarg_size 320
		.amdhsa_user_sgpr_count 14
		.amdhsa_user_sgpr_dispatch_ptr 0
		.amdhsa_user_sgpr_queue_ptr 0
		.amdhsa_user_sgpr_kernarg_segment_ptr 1
		.amdhsa_user_sgpr_dispatch_id 0
		.amdhsa_user_sgpr_private_segment_size 0
		.amdhsa_wavefront_size32 1
		.amdhsa_uses_dynamic_stack 0
		.amdhsa_enable_private_segment 0
		.amdhsa_system_sgpr_workgroup_id_x 1
		.amdhsa_system_sgpr_workgroup_id_y 1
		.amdhsa_system_sgpr_workgroup_id_z 0
		.amdhsa_system_sgpr_workgroup_info 0
		.amdhsa_system_vgpr_workitem_id 1
		.amdhsa_next_free_vgpr 40
		.amdhsa_next_free_sgpr 22
		.amdhsa_reserve_vcc 1
		.amdhsa_float_round_mode_32 0
		.amdhsa_float_round_mode_16_64 0
		.amdhsa_float_denorm_mode_32 3
		.amdhsa_float_denorm_mode_16_64 3
		.amdhsa_dx10_clamp 1
		.amdhsa_ieee_mode 1
		.amdhsa_fp16_overflow 0
		.amdhsa_workgroup_processor_mode 1
		.amdhsa_memory_ordered 1
		.amdhsa_forward_progress 0
		.amdhsa_shared_vgpr_count 0
		.amdhsa_exception_fp_ieee_invalid_op 0
		.amdhsa_exception_fp_denorm_src 0
		.amdhsa_exception_fp_ieee_div_zero 0
		.amdhsa_exception_fp_ieee_overflow 0
		.amdhsa_exception_fp_ieee_underflow 0
		.amdhsa_exception_fp_ieee_inexact 0
		.amdhsa_exception_int_div_zero 0
	.end_amdhsa_kernel
	.section	.text._ZN2at6native12_GLOBAL__N_135GammaBetaBackwardCUDAKernelTemplateIffLj32ELj16ELj128ELb0ELb1ELb1EEEvllPKT_S5_PKT0_S8_PS3_S9_,"axG",@progbits,_ZN2at6native12_GLOBAL__N_135GammaBetaBackwardCUDAKernelTemplateIffLj32ELj16ELj128ELb0ELb1ELb1EEEvllPKT_S5_PKT0_S8_PS3_S9_,comdat
.Lfunc_end158:
	.size	_ZN2at6native12_GLOBAL__N_135GammaBetaBackwardCUDAKernelTemplateIffLj32ELj16ELj128ELb0ELb1ELb1EEEvllPKT_S5_PKT0_S8_PS3_S9_, .Lfunc_end158-_ZN2at6native12_GLOBAL__N_135GammaBetaBackwardCUDAKernelTemplateIffLj32ELj16ELj128ELb0ELb1ELb1EEEvllPKT_S5_PKT0_S8_PS3_S9_
                                        ; -- End function
	.section	.AMDGPU.csdata,"",@progbits
; Kernel info:
; codeLenInByte = 1576
; NumSgprs: 24
; NumVgprs: 40
; ScratchSize: 0
; MemoryBound: 0
; FloatMode: 240
; IeeeMode: 1
; LDSByteSize: 0 bytes/workgroup (compile time only)
; SGPRBlocks: 2
; VGPRBlocks: 4
; NumSGPRsForWavesPerEU: 24
; NumVGPRsForWavesPerEU: 40
; Occupancy: 16
; WaveLimiterHint : 0
; COMPUTE_PGM_RSRC2:SCRATCH_EN: 0
; COMPUTE_PGM_RSRC2:USER_SGPR: 14
; COMPUTE_PGM_RSRC2:TRAP_HANDLER: 0
; COMPUTE_PGM_RSRC2:TGID_X_EN: 1
; COMPUTE_PGM_RSRC2:TGID_Y_EN: 1
; COMPUTE_PGM_RSRC2:TGID_Z_EN: 0
; COMPUTE_PGM_RSRC2:TIDIG_COMP_CNT: 1
	.section	.text._ZN2at6native12_GLOBAL__N_135GammaBetaBackwardCUDAKernelTemplateIffLj32ELj16ELj128ELb0ELb0ELb1EEEvllPKT_S5_PKT0_S8_PS3_S9_,"axG",@progbits,_ZN2at6native12_GLOBAL__N_135GammaBetaBackwardCUDAKernelTemplateIffLj32ELj16ELj128ELb0ELb0ELb1EEEvllPKT_S5_PKT0_S8_PS3_S9_,comdat
	.globl	_ZN2at6native12_GLOBAL__N_135GammaBetaBackwardCUDAKernelTemplateIffLj32ELj16ELj128ELb0ELb0ELb1EEEvllPKT_S5_PKT0_S8_PS3_S9_ ; -- Begin function _ZN2at6native12_GLOBAL__N_135GammaBetaBackwardCUDAKernelTemplateIffLj32ELj16ELj128ELb0ELb0ELb1EEEvllPKT_S5_PKT0_S8_PS3_S9_
	.p2align	8
	.type	_ZN2at6native12_GLOBAL__N_135GammaBetaBackwardCUDAKernelTemplateIffLj32ELj16ELj128ELb0ELb0ELb1EEEvllPKT_S5_PKT0_S8_PS3_S9_,@function
_ZN2at6native12_GLOBAL__N_135GammaBetaBackwardCUDAKernelTemplateIffLj32ELj16ELj128ELb0ELb0ELb1EEEvllPKT_S5_PKT0_S8_PS3_S9_: ; @_ZN2at6native12_GLOBAL__N_135GammaBetaBackwardCUDAKernelTemplateIffLj32ELj16ELj128ELb0ELb0ELb1EEEvllPKT_S5_PKT0_S8_PS3_S9_
; %bb.0:
	s_clause 0x1
	s_load_b256 s[4:11], s[0:1], 0x0
	s_load_b64 s[12:13], s[0:1], 0x28
	s_lshl_b32 s33, s14, 5
	s_mov_b32 s25, 0
	s_or_b32 s24, s33, 31
	s_waitcnt lgkmcnt(0)
	v_cmp_ge_i64_e64 s2, s[24:25], s[6:7]
	s_lshl_b32 s24, s15, 7
	s_delay_alu instid0(SALU_CYCLE_1) | instskip(NEXT) | instid1(VALU_DEP_2)
	v_cmp_lt_i64_e64 s15, s[24:25], s[4:5]
	s_and_b32 vcc_lo, exec_lo, s2
	s_delay_alu instid0(VALU_DEP_1) | instskip(NEXT) | instid1(VALU_DEP_1)
	v_cndmask_b32_e64 v1, 0, 1, s15
	v_cmp_ne_u32_e64 s2, 1, v1
	s_cbranch_vccz .LBB159_49
; %bb.1:
	v_mov_b32_e32 v1, 0
	s_delay_alu instid0(VALU_DEP_2)
	s_and_b32 vcc_lo, exec_lo, s2
	s_cbranch_vccnz .LBB159_50
; %bb.2:
	v_bfe_u32 v27, v0, 10, 10
	s_load_b32 s3, s[0:1], 0x44
	v_dual_mov_b32 v2, 0 :: v_dual_and_b32 v29, 0x3ff, v0
	s_add_u32 s26, s0, 64
	s_delay_alu instid0(VALU_DEP_2) | instskip(NEXT) | instid1(VALU_DEP_2)
	v_lshlrev_b32_e32 v28, 3, v27
	v_dual_mov_b32 v62, 0 :: v_dual_add_nc_u32 v1, s33, v29
	s_addc_u32 s27, s1, 0
	s_mov_b32 s16, 0
	s_delay_alu instid0(VALU_DEP_2) | instskip(NEXT) | instid1(VALU_DEP_1)
	v_add_co_u32 v9, s2, v28, s24
	v_add_co_ci_u32_e64 v10, null, 0, 0, s2
	v_cmp_gt_i64_e64 s2, s[6:7], v[1:2]
	s_delay_alu instid0(VALU_DEP_3) | instskip(NEXT) | instid1(VALU_DEP_3)
	v_add_co_u32 v5, vcc_lo, v9, 7
	v_add_co_ci_u32_e32 v3, vcc_lo, 0, v10, vcc_lo
	v_add_co_u32 v8, vcc_lo, v9, 6
	s_delay_alu instid0(VALU_DEP_3) | instskip(NEXT) | instid1(VALU_DEP_3)
	v_mul_lo_u32 v6, s7, v5
	v_mul_lo_u32 v7, s6, v3
	v_mad_u64_u32 v[3:4], null, s6, v5, 0
	v_add_co_ci_u32_e32 v5, vcc_lo, 0, v10, vcc_lo
	v_lshlrev_b64 v[25:26], 2, v[1:2]
	v_mul_lo_u32 v1, s7, v8
	s_waitcnt lgkmcnt(0)
	s_lshl_b32 s36, s3, 7
	s_mov_b64 s[34:35], s[24:25]
	s_delay_alu instid0(VALU_DEP_4) | instskip(SKIP_3) | instid1(VALU_DEP_3)
	v_add3_u32 v4, v4, v7, v6
	v_mul_lo_u32 v7, s6, v5
	v_mad_u64_u32 v[5:6], null, s6, v8, 0
	s_mul_i32 s3, s7, s36
	v_lshlrev_b64 v[3:4], 2, v[3:4]
	s_mul_hi_u32 s17, s6, s36
	s_mul_i32 s18, s6, s36
	s_add_i32 s19, s17, s3
	s_delay_alu instid0(VALU_DEP_2) | instskip(NEXT) | instid1(VALU_DEP_2)
	v_add3_u32 v6, v6, v7, v1
	v_add_co_u32 v30, vcc_lo, s8, v3
	v_add_co_ci_u32_e32 v31, vcc_lo, s9, v4, vcc_lo
	v_add_co_u32 v1, vcc_lo, v9, 5
	v_add_co_u32 v32, s3, s10, v3
	s_delay_alu instid0(VALU_DEP_1) | instskip(SKIP_4) | instid1(VALU_DEP_3)
	v_add_co_ci_u32_e64 v33, s3, s11, v4, s3
	v_lshlrev_b64 v[3:4], 2, v[5:6]
	v_add_co_ci_u32_e32 v5, vcc_lo, 0, v10, vcc_lo
	v_add_co_u32 v12, vcc_lo, v9, 4
	v_mul_lo_u32 v11, s7, v1
	v_mul_lo_u32 v13, s6, v5
	v_mad_u64_u32 v[5:6], null, s6, v1, 0
	v_add_co_ci_u32_e32 v7, vcc_lo, 0, v10, vcc_lo
	v_mul_lo_u32 v1, s7, v12
	v_add_co_u32 v34, vcc_lo, s8, v3
	s_delay_alu instid0(VALU_DEP_3)
	v_mul_lo_u32 v14, s6, v7
	v_mad_u64_u32 v[7:8], null, s6, v12, 0
	v_add3_u32 v6, v6, v13, v11
	v_add_co_ci_u32_e32 v35, vcc_lo, s9, v4, vcc_lo
	v_add_co_u32 v36, vcc_lo, s10, v3
	v_add_co_ci_u32_e32 v37, vcc_lo, s11, v4, vcc_lo
	s_delay_alu instid0(VALU_DEP_4) | instskip(SKIP_3) | instid1(VALU_DEP_4)
	v_lshlrev_b64 v[3:4], 2, v[5:6]
	v_add3_u32 v8, v8, v14, v1
	v_add_co_u32 v1, vcc_lo, v9, 3
	v_add_co_ci_u32_e32 v11, vcc_lo, 0, v10, vcc_lo
	v_add_co_u32 v38, vcc_lo, s8, v3
	s_delay_alu instid0(VALU_DEP_4)
	v_lshlrev_b64 v[5:6], 2, v[7:8]
	v_add_co_ci_u32_e32 v39, vcc_lo, s9, v4, vcc_lo
	v_mul_lo_u32 v12, s7, v1
	v_mul_lo_u32 v11, s6, v11
	v_mad_u64_u32 v[7:8], null, s6, v1, 0
	v_add_co_u32 v40, vcc_lo, s10, v3
	v_add_co_ci_u32_e32 v41, vcc_lo, s11, v4, vcc_lo
	v_add_co_u32 v42, vcc_lo, s8, v5
	v_add_co_ci_u32_e32 v43, vcc_lo, s9, v6, vcc_lo
	v_add_co_u32 v1, vcc_lo, v9, 2
	v_add3_u32 v8, v8, v11, v12
	v_add_co_ci_u32_e32 v11, vcc_lo, 0, v10, vcc_lo
	v_add_co_u32 v44, vcc_lo, s10, v5
	v_add_co_ci_u32_e32 v45, vcc_lo, s11, v6, vcc_lo
	v_mul_lo_u32 v12, s7, v1
	s_delay_alu instid0(VALU_DEP_4)
	v_mul_lo_u32 v11, s6, v11
	v_mad_u64_u32 v[5:6], null, s6, v1, 0
	v_lshlrev_b64 v[3:4], 2, v[7:8]
	v_mul_lo_u32 v1, s7, v9
	v_mul_lo_u32 v10, s6, v10
	v_mad_u64_u32 v[7:8], null, s6, v9, 0
	s_lshl_b64 s[28:29], s[18:19], 2
	s_delay_alu instid0(VALU_DEP_4)
	v_add_co_u32 v46, vcc_lo, s8, v3
	v_add3_u32 v6, v6, v11, v12
	v_add_co_ci_u32_e32 v47, vcc_lo, s9, v4, vcc_lo
	v_add_co_u32 v48, vcc_lo, s10, v3
	v_add3_u32 v8, v8, v10, v1
	v_add_co_ci_u32_e32 v49, vcc_lo, s11, v4, vcc_lo
	v_lshlrev_b64 v[3:4], 2, v[5:6]
	v_add_co_u32 v5, vcc_lo, v7, s6
	s_delay_alu instid0(VALU_DEP_4) | instskip(SKIP_1) | instid1(VALU_DEP_3)
	v_add_co_ci_u32_e32 v6, vcc_lo, s7, v8, vcc_lo
	s_add_u32 s30, s24, 0x7f
	v_add_co_u32 v50, vcc_lo, s8, v3
	s_delay_alu instid0(VALU_DEP_2) | instskip(SKIP_3) | instid1(VALU_DEP_4)
	v_lshlrev_b64 v[5:6], 2, v[5:6]
	v_add_co_ci_u32_e32 v51, vcc_lo, s9, v4, vcc_lo
	v_add_co_u32 v52, vcc_lo, s10, v3
	v_add_co_ci_u32_e32 v53, vcc_lo, s11, v4, vcc_lo
	v_add_co_u32 v54, vcc_lo, s8, v5
	v_lshlrev_b64 v[3:4], 2, v[7:8]
	v_add_co_ci_u32_e32 v55, vcc_lo, s9, v6, vcc_lo
	v_add_co_u32 v56, vcc_lo, s10, v5
	v_add_co_ci_u32_e32 v57, vcc_lo, s11, v6, vcc_lo
	s_delay_alu instid0(VALU_DEP_4)
	v_add_co_u32 v58, vcc_lo, s8, v3
	v_add_co_ci_u32_e32 v59, vcc_lo, s9, v4, vcc_lo
	v_add_co_u32 v60, vcc_lo, s10, v3
	v_add_co_ci_u32_e32 v61, vcc_lo, s11, v4, vcc_lo
	s_addc_u32 s31, 0, 0
.LBB159_3:                              ; =>This Inner Loop Header: Depth=1
	s_delay_alu instid0(SALU_CYCLE_1) | instskip(SKIP_1) | instid1(VALU_DEP_1)
	v_cmp_ge_i64_e64 s3, s[30:31], s[4:5]
	v_add_co_u32 v63, s17, v28, s30
	v_add_co_ci_u32_e64 v64, null, 0, s31, s17
	s_delay_alu instid0(VALU_DEP_3)
	s_and_b32 vcc_lo, exec_lo, s3
	s_cbranch_vccz .LBB159_25
; %bb.4:                                ;   in Loop: Header=BB159_3 Depth=1
	s_load_b32 s3, s[26:27], 0xc
	v_mov_b32_e32 v65, 0
	s_waitcnt lgkmcnt(0)
	s_and_b32 s3, s3, 0xffff
	s_delay_alu instid0(SALU_CYCLE_1) | instskip(SKIP_1) | instid1(VALU_DEP_1)
	v_mad_u32_u24 v1, v27, s3, v29
	s_mov_b32 s3, exec_lo
	v_and_b32_e32 v1, 31, v1
	s_delay_alu instid0(VALU_DEP_1)
	v_cmpx_gt_u32_e32 8, v1
	s_cbranch_execz .LBB159_8
; %bb.5:                                ;   in Loop: Header=BB159_3 Depth=1
	v_add_co_u32 v1, vcc_lo, v63, v1
	v_add_co_ci_u32_e32 v4, vcc_lo, 0, v64, vcc_lo
	v_mov_b32_e32 v65, 0
	s_delay_alu instid0(VALU_DEP_3) | instskip(NEXT) | instid1(VALU_DEP_3)
	v_add_co_u32 v3, vcc_lo, 0xffffff81, v1
	v_add_co_ci_u32_e32 v4, vcc_lo, -1, v4, vcc_lo
	s_mov_b32 s17, exec_lo
	s_delay_alu instid0(VALU_DEP_1)
	v_cmpx_gt_i64_e64 s[4:5], v[3:4]
	s_cbranch_execz .LBB159_7
; %bb.6:                                ;   in Loop: Header=BB159_3 Depth=1
	v_lshlrev_b64 v[3:4], 2, v[3:4]
	s_delay_alu instid0(VALU_DEP_1) | instskip(NEXT) | instid1(VALU_DEP_2)
	v_add_co_u32 v3, vcc_lo, s12, v3
	v_add_co_ci_u32_e32 v4, vcc_lo, s13, v4, vcc_lo
	global_load_b32 v65, v[3:4], off
.LBB159_7:                              ;   in Loop: Header=BB159_3 Depth=1
	s_or_b32 exec_lo, exec_lo, s17
.LBB159_8:                              ;   in Loop: Header=BB159_3 Depth=1
	s_delay_alu instid0(SALU_CYCLE_1)
	s_or_b32 exec_lo, exec_lo, s3
	v_add_co_u32 v3, vcc_lo, 0xffffff81, v63
	v_add_co_ci_u32_e32 v4, vcc_lo, -1, v64, vcc_lo
	s_mov_b32 s22, s16
	s_mov_b32 s23, s16
	;; [unrolled: 1-line block ×7, first 2 shown]
	v_dual_mov_b32 v9, s16 :: v_dual_mov_b32 v10, s17
	v_dual_mov_b32 v15, s22 :: v_dual_mov_b32 v16, s23
	v_dual_mov_b32 v11, s18 :: v_dual_mov_b32 v12, s19
	v_dual_mov_b32 v13, s20 :: v_dual_mov_b32 v14, s21
	v_cmp_gt_i64_e32 vcc_lo, s[4:5], v[3:4]
	s_delay_alu instid0(VALU_DEP_4) | instskip(NEXT) | instid1(VALU_DEP_3)
	v_dual_mov_b32 v24, v16 :: v_dual_mov_b32 v23, v15
	v_dual_mov_b32 v21, v13 :: v_dual_mov_b32 v22, v14
	;; [unrolled: 1-line block ×4, first 2 shown]
	s_and_b32 s17, s2, vcc_lo
	s_delay_alu instid0(SALU_CYCLE_1)
	s_and_saveexec_b32 s3, s17
	s_cbranch_execz .LBB159_10
; %bb.9:                                ;   in Loop: Header=BB159_3 Depth=1
	v_add_co_u32 v3, vcc_lo, v58, v25
	v_add_co_ci_u32_e32 v4, vcc_lo, v59, v26, vcc_lo
	v_mov_b32_e32 v8, v2
	v_mov_b32_e32 v5, v2
	;; [unrolled: 1-line block ×3, first 2 shown]
	global_load_b32 v1, v[3:4], off
	v_add_co_u32 v3, vcc_lo, v60, v25
	v_add_co_ci_u32_e32 v4, vcc_lo, v61, v26, vcc_lo
	v_mov_b32_e32 v7, v2
	v_mov_b32_e32 v15, v2
	global_load_b32 v9, v[3:4], off
	v_mov_b32_e32 v3, v2
	v_mov_b32_e32 v4, v2
	s_waitcnt vmcnt(1)
	v_dual_mov_b32 v11, v2 :: v_dual_mov_b32 v24, v8
	v_dual_mov_b32 v10, v2 :: v_dual_mov_b32 v23, v7
	;; [unrolled: 1-line block ×5, first 2 shown]
	v_mov_b32_e32 v16, v2
	v_mov_b32_e32 v22, v6
	v_dual_mov_b32 v18, v2 :: v_dual_mov_b32 v17, v1
.LBB159_10:                             ;   in Loop: Header=BB159_3 Depth=1
	s_or_b32 exec_lo, exec_lo, s3
	v_add_co_u32 v3, vcc_lo, 0xffffff82, v63
	v_add_co_ci_u32_e32 v4, vcc_lo, -1, v64, vcc_lo
	s_delay_alu instid0(VALU_DEP_1) | instskip(SKIP_1) | instid1(SALU_CYCLE_1)
	v_cmp_gt_i64_e32 vcc_lo, s[4:5], v[3:4]
	s_and_b32 s17, s2, vcc_lo
	s_and_saveexec_b32 s3, s17
	s_cbranch_execz .LBB159_12
; %bb.11:                               ;   in Loop: Header=BB159_3 Depth=1
	v_add_co_u32 v3, vcc_lo, v54, v25
	v_add_co_ci_u32_e32 v4, vcc_lo, v55, v26, vcc_lo
	v_add_co_u32 v5, vcc_lo, v56, v25
	v_add_co_ci_u32_e32 v6, vcc_lo, v57, v26, vcc_lo
	global_load_b32 v18, v[3:4], off
	global_load_b32 v10, v[5:6], off
.LBB159_12:                             ;   in Loop: Header=BB159_3 Depth=1
	s_or_b32 exec_lo, exec_lo, s3
	v_add_co_u32 v3, vcc_lo, 0xffffff83, v63
	v_add_co_ci_u32_e32 v4, vcc_lo, -1, v64, vcc_lo
	s_delay_alu instid0(VALU_DEP_1) | instskip(SKIP_1) | instid1(SALU_CYCLE_1)
	v_cmp_gt_i64_e32 vcc_lo, s[4:5], v[3:4]
	s_and_b32 s17, s2, vcc_lo
	s_and_saveexec_b32 s3, s17
	s_cbranch_execz .LBB159_14
; %bb.13:                               ;   in Loop: Header=BB159_3 Depth=1
	v_add_co_u32 v3, vcc_lo, v50, v25
	v_add_co_ci_u32_e32 v4, vcc_lo, v51, v26, vcc_lo
	v_add_co_u32 v5, vcc_lo, v52, v25
	v_add_co_ci_u32_e32 v6, vcc_lo, v53, v26, vcc_lo
	global_load_b32 v19, v[3:4], off
	global_load_b32 v11, v[5:6], off
.LBB159_14:                             ;   in Loop: Header=BB159_3 Depth=1
	;; [unrolled: 16-line block ×7, first 2 shown]
	s_or_b32 exec_lo, exec_lo, s3
	s_waitcnt vmcnt(0)
	ds_bpermute_b32 v1, v2, v65
	ds_bpermute_b32 v3, v2, v65 offset:4
	ds_bpermute_b32 v4, v2, v65 offset:8
	v_mul_f32_e32 v5, v9, v17
	ds_bpermute_b32 v6, v2, v65 offset:12
	v_mul_f32_e32 v7, v10, v18
	ds_bpermute_b32 v8, v2, v65 offset:16
	ds_bpermute_b32 v9, v2, v65 offset:20
	s_waitcnt lgkmcnt(5)
	v_fma_f32 v1, v5, v1, v62
	v_mul_f32_e32 v5, v11, v19
	s_waitcnt lgkmcnt(4)
	s_delay_alu instid0(VALU_DEP_2) | instskip(SKIP_2) | instid1(VALU_DEP_2)
	v_fmac_f32_e32 v1, v7, v3
	v_mul_f32_e32 v3, v12, v20
	s_waitcnt lgkmcnt(3)
	v_fmac_f32_e32 v1, v5, v4
	ds_bpermute_b32 v4, v2, v65 offset:24
	v_mul_f32_e32 v5, v13, v21
	s_waitcnt lgkmcnt(3)
	v_fmac_f32_e32 v1, v3, v6
	v_mul_f32_e32 v6, v14, v22
	ds_bpermute_b32 v3, v2, v65 offset:28
	s_waitcnt lgkmcnt(3)
	v_fmac_f32_e32 v1, v5, v8
	v_mul_f32_e32 v5, v15, v23
	s_waitcnt lgkmcnt(2)
	s_delay_alu instid0(VALU_DEP_2) | instskip(SKIP_1) | instid1(VALU_DEP_1)
	v_fmac_f32_e32 v1, v6, v9
	s_waitcnt lgkmcnt(1)
	v_fmac_f32_e32 v1, v5, v4
	s_branch .LBB159_40
.LBB159_25:                             ;   in Loop: Header=BB159_3 Depth=1
                                        ; implicit-def: $vgpr1
                                        ; implicit-def: $vgpr9_vgpr10_vgpr11_vgpr12_vgpr13_vgpr14_vgpr15_vgpr16
                                        ; implicit-def: $vgpr17_vgpr18_vgpr19_vgpr20_vgpr21_vgpr22_vgpr23_vgpr24
                                        ; implicit-def: $vgpr3
	s_cbranch_execz .LBB159_40
; %bb.26:                               ;   in Loop: Header=BB159_3 Depth=1
	s_load_b32 s3, s[26:27], 0x0
	v_mov_b32_e32 v65, 0
	s_waitcnt lgkmcnt(0)
	s_cmp_lt_u32 s14, s3
	s_cselect_b32 s3, 12, 18
	s_delay_alu instid0(SALU_CYCLE_1)
	s_add_u32 s18, s26, s3
	s_addc_u32 s19, s27, 0
	s_mov_b32 s3, exec_lo
	global_load_u16 v1, v2, s[18:19]
	s_waitcnt vmcnt(0)
	v_mad_u32_u24 v1, v27, v1, v29
	s_delay_alu instid0(VALU_DEP_1) | instskip(NEXT) | instid1(VALU_DEP_1)
	v_and_b32_e32 v1, 31, v1
	v_cmpx_gt_u32_e32 8, v1
	s_cbranch_execz .LBB159_30
; %bb.27:                               ;   in Loop: Header=BB159_3 Depth=1
	v_add_co_u32 v1, vcc_lo, v63, v1
	v_add_co_ci_u32_e32 v4, vcc_lo, 0, v64, vcc_lo
	v_mov_b32_e32 v65, 0
	s_delay_alu instid0(VALU_DEP_3) | instskip(NEXT) | instid1(VALU_DEP_3)
	v_add_co_u32 v3, vcc_lo, 0xffffff81, v1
	v_add_co_ci_u32_e32 v4, vcc_lo, -1, v4, vcc_lo
	s_mov_b32 s17, exec_lo
	s_delay_alu instid0(VALU_DEP_1)
	v_cmpx_gt_i64_e64 s[4:5], v[3:4]
	s_cbranch_execz .LBB159_29
; %bb.28:                               ;   in Loop: Header=BB159_3 Depth=1
	v_lshlrev_b64 v[3:4], 2, v[3:4]
	s_delay_alu instid0(VALU_DEP_1) | instskip(NEXT) | instid1(VALU_DEP_2)
	v_add_co_u32 v3, vcc_lo, s12, v3
	v_add_co_ci_u32_e32 v4, vcc_lo, s13, v4, vcc_lo
	global_load_b32 v65, v[3:4], off
.LBB159_29:                             ;   in Loop: Header=BB159_3 Depth=1
	s_or_b32 exec_lo, exec_lo, s17
.LBB159_30:                             ;   in Loop: Header=BB159_3 Depth=1
	s_delay_alu instid0(SALU_CYCLE_1)
	s_or_b32 exec_lo, exec_lo, s3
	s_mov_b32 s22, s16
	s_mov_b32 s23, s16
	;; [unrolled: 1-line block ×7, first 2 shown]
	v_dual_mov_b32 v9, s16 :: v_dual_mov_b32 v10, s17
	v_dual_mov_b32 v15, s22 :: v_dual_mov_b32 v16, s23
	;; [unrolled: 1-line block ×4, first 2 shown]
	s_delay_alu instid0(VALU_DEP_3) | instskip(NEXT) | instid1(VALU_DEP_3)
	v_dual_mov_b32 v24, v16 :: v_dual_mov_b32 v23, v15
	v_dual_mov_b32 v20, v12 :: v_dual_mov_b32 v19, v11
	s_delay_alu instid0(VALU_DEP_3)
	v_dual_mov_b32 v22, v14 :: v_dual_mov_b32 v21, v13
	v_dual_mov_b32 v18, v10 :: v_dual_mov_b32 v17, v9
	s_and_saveexec_b32 s3, s2
	s_cbranch_execnz .LBB159_42
; %bb.31:                               ;   in Loop: Header=BB159_3 Depth=1
	s_or_b32 exec_lo, exec_lo, s3
	s_and_saveexec_b32 s3, s2
	s_cbranch_execnz .LBB159_43
.LBB159_32:                             ;   in Loop: Header=BB159_3 Depth=1
	s_or_b32 exec_lo, exec_lo, s3
	s_and_saveexec_b32 s3, s2
	s_cbranch_execnz .LBB159_44
.LBB159_33:                             ;   in Loop: Header=BB159_3 Depth=1
	s_or_b32 exec_lo, exec_lo, s3
	s_and_saveexec_b32 s3, s2
	s_cbranch_execnz .LBB159_45
.LBB159_34:                             ;   in Loop: Header=BB159_3 Depth=1
	s_or_b32 exec_lo, exec_lo, s3
	s_and_saveexec_b32 s3, s2
	s_cbranch_execnz .LBB159_46
.LBB159_35:                             ;   in Loop: Header=BB159_3 Depth=1
	s_or_b32 exec_lo, exec_lo, s3
	s_and_saveexec_b32 s3, s2
	s_cbranch_execnz .LBB159_47
.LBB159_36:                             ;   in Loop: Header=BB159_3 Depth=1
	s_or_b32 exec_lo, exec_lo, s3
	s_and_saveexec_b32 s3, s2
	s_cbranch_execnz .LBB159_48
.LBB159_37:                             ;   in Loop: Header=BB159_3 Depth=1
	s_or_b32 exec_lo, exec_lo, s3
	s_and_saveexec_b32 s3, s2
	s_cbranch_execz .LBB159_39
.LBB159_38:                             ;   in Loop: Header=BB159_3 Depth=1
	v_add_co_u32 v3, vcc_lo, v30, v25
	v_add_co_ci_u32_e32 v4, vcc_lo, v31, v26, vcc_lo
	v_add_co_u32 v5, vcc_lo, v32, v25
	v_add_co_ci_u32_e32 v6, vcc_lo, v33, v26, vcc_lo
	global_load_b32 v24, v[3:4], off
	global_load_b32 v16, v[5:6], off
.LBB159_39:                             ;   in Loop: Header=BB159_3 Depth=1
	s_or_b32 exec_lo, exec_lo, s3
	s_waitcnt vmcnt(0)
	ds_bpermute_b32 v1, v2, v65
	ds_bpermute_b32 v3, v2, v65 offset:4
	ds_bpermute_b32 v4, v2, v65 offset:8
	;; [unrolled: 1-line block ×3, first 2 shown]
	v_mul_f32_e32 v7, v10, v18
	v_mul_f32_e32 v5, v9, v17
	ds_bpermute_b32 v8, v2, v65 offset:16
	s_waitcnt lgkmcnt(4)
	v_dual_fmac_f32 v62, v5, v1 :: v_dual_mul_f32 v1, v11, v19
	ds_bpermute_b32 v5, v2, v65 offset:20
	s_waitcnt lgkmcnt(4)
	v_dual_fmac_f32 v62, v7, v3 :: v_dual_mul_f32 v3, v12, v20
	s_waitcnt lgkmcnt(3)
	s_delay_alu instid0(VALU_DEP_1)
	v_fmac_f32_e32 v62, v1, v4
	ds_bpermute_b32 v1, v2, v65 offset:24
	v_mul_f32_e32 v4, v13, v21
	s_waitcnt lgkmcnt(3)
	v_fmac_f32_e32 v62, v3, v6
	v_mul_f32_e32 v6, v14, v22
	ds_bpermute_b32 v3, v2, v65 offset:28
	s_waitcnt lgkmcnt(3)
	v_fmac_f32_e32 v62, v4, v8
	v_mul_f32_e32 v4, v15, v23
	s_waitcnt lgkmcnt(2)
	s_delay_alu instid0(VALU_DEP_2) | instskip(SKIP_1) | instid1(VALU_DEP_1)
	v_fmac_f32_e32 v62, v6, v5
	s_waitcnt lgkmcnt(1)
	v_fmac_f32_e32 v62, v4, v1
	s_delay_alu instid0(VALU_DEP_1)
	v_mov_b32_e32 v1, v62
.LBB159_40:                             ;   in Loop: Header=BB159_3 Depth=1
	v_add_co_u32 v30, vcc_lo, v30, s28
	v_add_co_ci_u32_e32 v31, vcc_lo, s29, v31, vcc_lo
	v_add_co_u32 v32, vcc_lo, v32, s28
	v_add_co_ci_u32_e32 v33, vcc_lo, s29, v33, vcc_lo
	;; [unrolled: 2-line block ×13, first 2 shown]
	v_add_co_u32 v56, vcc_lo, v56, s28
	s_add_u32 s34, s34, s36
	v_add_co_ci_u32_e32 v57, vcc_lo, s29, v57, vcc_lo
	v_mul_f32_e32 v4, v24, v16
	s_addc_u32 s35, s35, 0
	v_add_co_u32 v58, vcc_lo, v58, s28
	v_cmp_lt_i64_e64 s3, s[34:35], s[4:5]
	v_add_co_ci_u32_e32 v59, vcc_lo, s29, v59, vcc_lo
	v_add_co_u32 v60, vcc_lo, v60, s28
	s_waitcnt lgkmcnt(0)
	v_fmac_f32_e32 v1, v4, v3
	v_add_co_ci_u32_e32 v61, vcc_lo, s29, v61, vcc_lo
	s_add_u32 s30, s30, s36
	s_addc_u32 s31, s31, 0
	s_and_b32 vcc_lo, exec_lo, s3
	s_cbranch_vccz .LBB159_50
; %bb.41:                               ;   in Loop: Header=BB159_3 Depth=1
	v_mov_b32_e32 v62, v1
	s_branch .LBB159_3
.LBB159_42:                             ;   in Loop: Header=BB159_3 Depth=1
	v_add_co_u32 v3, vcc_lo, v58, v25
	v_add_co_ci_u32_e32 v4, vcc_lo, v59, v26, vcc_lo
	v_mov_b32_e32 v8, v2
	v_mov_b32_e32 v5, v2
	;; [unrolled: 1-line block ×3, first 2 shown]
	global_load_b32 v1, v[3:4], off
	v_add_co_u32 v3, vcc_lo, v60, v25
	v_add_co_ci_u32_e32 v4, vcc_lo, v61, v26, vcc_lo
	v_mov_b32_e32 v7, v2
	v_mov_b32_e32 v15, v2
	global_load_b32 v9, v[3:4], off
	v_mov_b32_e32 v3, v2
	v_mov_b32_e32 v4, v2
	s_waitcnt vmcnt(1)
	v_dual_mov_b32 v11, v2 :: v_dual_mov_b32 v24, v8
	v_dual_mov_b32 v10, v2 :: v_dual_mov_b32 v23, v7
	;; [unrolled: 1-line block ×5, first 2 shown]
	v_mov_b32_e32 v16, v2
	v_mov_b32_e32 v22, v6
	v_dual_mov_b32 v18, v2 :: v_dual_mov_b32 v17, v1
	s_or_b32 exec_lo, exec_lo, s3
	s_and_saveexec_b32 s3, s2
	s_cbranch_execz .LBB159_32
.LBB159_43:                             ;   in Loop: Header=BB159_3 Depth=1
	v_add_co_u32 v3, vcc_lo, v54, v25
	v_add_co_ci_u32_e32 v4, vcc_lo, v55, v26, vcc_lo
	v_add_co_u32 v5, vcc_lo, v56, v25
	v_add_co_ci_u32_e32 v6, vcc_lo, v57, v26, vcc_lo
	global_load_b32 v18, v[3:4], off
	global_load_b32 v10, v[5:6], off
	s_or_b32 exec_lo, exec_lo, s3
	s_and_saveexec_b32 s3, s2
	s_cbranch_execz .LBB159_33
.LBB159_44:                             ;   in Loop: Header=BB159_3 Depth=1
	v_add_co_u32 v3, vcc_lo, v50, v25
	v_add_co_ci_u32_e32 v4, vcc_lo, v51, v26, vcc_lo
	v_add_co_u32 v5, vcc_lo, v52, v25
	v_add_co_ci_u32_e32 v6, vcc_lo, v53, v26, vcc_lo
	global_load_b32 v19, v[3:4], off
	global_load_b32 v11, v[5:6], off
	s_or_b32 exec_lo, exec_lo, s3
	s_and_saveexec_b32 s3, s2
	s_cbranch_execz .LBB159_34
.LBB159_45:                             ;   in Loop: Header=BB159_3 Depth=1
	v_add_co_u32 v3, vcc_lo, v46, v25
	v_add_co_ci_u32_e32 v4, vcc_lo, v47, v26, vcc_lo
	v_add_co_u32 v5, vcc_lo, v48, v25
	v_add_co_ci_u32_e32 v6, vcc_lo, v49, v26, vcc_lo
	global_load_b32 v20, v[3:4], off
	global_load_b32 v12, v[5:6], off
	s_or_b32 exec_lo, exec_lo, s3
	s_and_saveexec_b32 s3, s2
	s_cbranch_execz .LBB159_35
.LBB159_46:                             ;   in Loop: Header=BB159_3 Depth=1
	v_add_co_u32 v3, vcc_lo, v42, v25
	v_add_co_ci_u32_e32 v4, vcc_lo, v43, v26, vcc_lo
	v_add_co_u32 v5, vcc_lo, v44, v25
	v_add_co_ci_u32_e32 v6, vcc_lo, v45, v26, vcc_lo
	global_load_b32 v21, v[3:4], off
	global_load_b32 v13, v[5:6], off
	s_or_b32 exec_lo, exec_lo, s3
	s_and_saveexec_b32 s3, s2
	s_cbranch_execz .LBB159_36
.LBB159_47:                             ;   in Loop: Header=BB159_3 Depth=1
	v_add_co_u32 v3, vcc_lo, v38, v25
	v_add_co_ci_u32_e32 v4, vcc_lo, v39, v26, vcc_lo
	v_add_co_u32 v5, vcc_lo, v40, v25
	v_add_co_ci_u32_e32 v6, vcc_lo, v41, v26, vcc_lo
	global_load_b32 v22, v[3:4], off
	global_load_b32 v14, v[5:6], off
	s_or_b32 exec_lo, exec_lo, s3
	s_and_saveexec_b32 s3, s2
	s_cbranch_execz .LBB159_37
.LBB159_48:                             ;   in Loop: Header=BB159_3 Depth=1
	v_add_co_u32 v3, vcc_lo, v34, v25
	v_add_co_ci_u32_e32 v4, vcc_lo, v35, v26, vcc_lo
	v_add_co_u32 v5, vcc_lo, v36, v25
	v_add_co_ci_u32_e32 v6, vcc_lo, v37, v26, vcc_lo
	global_load_b32 v23, v[3:4], off
	global_load_b32 v15, v[5:6], off
	s_or_b32 exec_lo, exec_lo, s3
	s_and_saveexec_b32 s3, s2
	s_cbranch_execnz .LBB159_38
	s_branch .LBB159_39
.LBB159_49:
                                        ; implicit-def: $vgpr1
	s_branch .LBB159_51
.LBB159_50:
	s_cbranch_execnz .LBB159_83
.LBB159_51:
	v_mov_b32_e32 v1, 0
	s_and_not1_b32 vcc_lo, exec_lo, s15
	s_cbranch_vccnz .LBB159_83
; %bb.52:
	s_load_b32 s2, s[0:1], 0x44
	v_dual_mov_b32 v2, 0 :: v_dual_and_b32 v55, 0x3ff, v0
	v_bfe_u32 v56, v0, 10, 10
	s_add_u32 s26, s0, 64
	s_addc_u32 s27, s1, 0
	s_delay_alu instid0(VALU_DEP_2) | instskip(NEXT) | instid1(VALU_DEP_2)
	v_dual_mov_b32 v90, 0 :: v_dual_add_nc_u32 v1, s33, v55
	v_lshlrev_b32_e32 v3, 5, v56
	v_lshlrev_b32_e32 v57, 3, v56
	s_delay_alu instid0(VALU_DEP_3)
	v_lshlrev_b64 v[25:26], 2, v[1:2]
	s_waitcnt lgkmcnt(0)
	s_lshl_b32 s15, s2, 7
	s_add_u32 s28, s24, 0x7f
	s_addc_u32 s29, 0, 0
	s_lshl_b64 s[2:3], s[24:25], 2
	s_mul_i32 s16, s7, s15
	v_add_co_u32 v1, s2, v3, s2
	s_delay_alu instid0(VALU_DEP_1) | instskip(SKIP_1) | instid1(VALU_DEP_3)
	v_add_co_ci_u32_e64 v3, null, 0, s3, s2
	v_add_co_u32 v74, s3, v57, s24
	v_add_co_u32 v7, vcc_lo, v1, 4
	s_delay_alu instid0(VALU_DEP_3) | instskip(SKIP_3) | instid1(VALU_DEP_4)
	v_add_co_ci_u32_e32 v4, vcc_lo, 0, v3, vcc_lo
	v_add_co_u32 v8, vcc_lo, v1, 8
	v_add_co_ci_u32_e32 v5, vcc_lo, 0, v3, vcc_lo
	v_add_co_u32 v11, vcc_lo, v1, 12
	v_mul_lo_u32 v9, s6, v4
	v_add_co_ci_u32_e32 v4, vcc_lo, 0, v3, vcc_lo
	v_add_co_u32 v14, vcc_lo, v1, 16
	v_mul_lo_u32 v12, s6, v5
	;; [unrolled: 3-line block ×4, first 2 shown]
	v_add_co_ci_u32_e32 v5, vcc_lo, 0, v3, vcc_lo
	v_add_co_ci_u32_e64 v75, null, 0, 0, s3
	v_add_co_u32 v1, vcc_lo, v1, 28
	v_mul_lo_u32 v21, s6, v4
	s_delay_alu instid0(VALU_DEP_4) | instskip(SKIP_4) | instid1(VALU_DEP_4)
	v_mul_lo_u32 v23, s6, v5
	v_add_co_ci_u32_e32 v5, vcc_lo, 0, v3, vcc_lo
	v_mul_lo_u32 v6, s7, v74
	v_mul_lo_u32 v41, s6, v75
	v_mad_u64_u32 v[3:4], null, s6, v74, 0
	v_mul_lo_u32 v60, s6, v5
	v_mad_u64_u32 v[27:28], null, s6, v7, s[8:9]
	;; [unrolled: 2-line block ×3, first 2 shown]
	v_add3_u32 v4, v4, v41, v6
	v_mad_u64_u32 v[41:42], null, s6, v7, s[10:11]
	v_mul_lo_u32 v13, s7, v8
	v_mad_u64_u32 v[43:44], null, s6, v8, s[10:11]
	s_delay_alu instid0(VALU_DEP_4)
	v_lshlrev_b64 v[5:6], 2, v[3:4]
	v_add3_u32 v28, v10, v28, v9
	v_mad_u64_u32 v[31:32], null, s6, v11, s[8:9]
	v_add3_u32 v42, v10, v42, v9
	v_add3_u32 v30, v13, v30, v12
	v_add_co_u32 v58, vcc_lo, s8, v5
	v_add_co_ci_u32_e32 v59, vcc_lo, s9, v6, vcc_lo
	v_add_co_u32 v9, vcc_lo, v74, 7
	v_add_co_ci_u32_e32 v7, vcc_lo, 0, v75, vcc_lo
	v_add3_u32 v44, v13, v44, v12
	v_add_co_u32 v12, vcc_lo, v74, 6
	v_mul_lo_u32 v16, s7, v11
	v_mad_u64_u32 v[39:40], null, s6, v1, s[8:9]
	v_mul_lo_u32 v61, s7, v1
	v_mad_u64_u32 v[45:46], null, s6, v11, s[10:11]
	v_mad_u64_u32 v[53:54], null, s6, v1, s[10:11]
	v_mul_lo_u32 v1, s7, v9
	v_mul_lo_u32 v11, s6, v7
	v_mad_u64_u32 v[7:8], null, s6, v9, 0
	v_add_co_ci_u32_e32 v10, vcc_lo, 0, v75, vcc_lo
	v_mad_u64_u32 v[33:34], null, s6, v14, s[8:9]
	v_mul_lo_u32 v19, s7, v14
	v_mad_u64_u32 v[47:48], null, s6, v14, s[10:11]
	v_mul_lo_u32 v13, s7, v12
	v_mul_lo_u32 v14, s6, v10
	v_mad_u64_u32 v[9:10], null, s6, v12, 0
	v_add3_u32 v8, v8, v11, v1
	v_add3_u32 v40, v61, v40, v60
	;; [unrolled: 1-line block ×3, first 2 shown]
	v_add_co_u32 v60, vcc_lo, s10, v5
	v_add_co_ci_u32_e32 v61, vcc_lo, s11, v6, vcc_lo
	v_lshlrev_b64 v[5:6], 2, v[7:8]
	v_add3_u32 v10, v10, v14, v13
	v_add_co_u32 v1, vcc_lo, v74, 5
	v_add_co_ci_u32_e32 v11, vcc_lo, 0, v75, vcc_lo
	s_delay_alu instid0(VALU_DEP_4) | instskip(NEXT) | instid1(VALU_DEP_4)
	v_add_co_u32 v62, vcc_lo, s8, v5
	v_lshlrev_b64 v[7:8], 2, v[9:10]
	v_add_co_ci_u32_e32 v63, vcc_lo, s9, v6, vcc_lo
	v_mul_lo_u32 v12, s7, v1
	v_mul_lo_u32 v11, s6, v11
	v_mad_u64_u32 v[9:10], null, s6, v1, 0
	v_add_co_u32 v64, vcc_lo, s10, v5
	v_add_co_ci_u32_e32 v65, vcc_lo, s11, v6, vcc_lo
	v_add_co_u32 v66, vcc_lo, s8, v7
	v_add_co_ci_u32_e32 v67, vcc_lo, s9, v8, vcc_lo
	s_mul_hi_u32 s2, s6, s15
	v_add_co_u32 v1, vcc_lo, v74, 4
	v_add3_u32 v10, v10, v11, v12
	s_add_i32 s3, s2, s16
	v_add_co_u32 v68, s2, s10, v7
	v_add_co_ci_u32_e32 v7, vcc_lo, 0, v75, vcc_lo
	v_add_co_u32 v12, vcc_lo, v74, 3
	v_lshlrev_b64 v[5:6], 2, v[9:10]
	v_add_co_ci_u32_e32 v9, vcc_lo, 0, v75, vcc_lo
	v_add_co_ci_u32_e64 v69, s2, s11, v8, s2
	v_mul_lo_u32 v11, s7, v1
	v_mul_lo_u32 v13, s6, v7
	v_mad_u64_u32 v[7:8], null, s6, v1, 0
	v_mul_lo_u32 v1, s7, v12
	v_mul_lo_u32 v14, s6, v9
	v_mad_u64_u32 v[9:10], null, s6, v12, 0
	v_add_co_u32 v70, vcc_lo, s8, v5
	v_add_co_ci_u32_e32 v71, vcc_lo, s9, v6, vcc_lo
	v_add3_u32 v8, v8, v13, v11
	v_add_co_u32 v72, vcc_lo, s10, v5
	v_add_co_ci_u32_e32 v73, vcc_lo, s11, v6, vcc_lo
	v_add3_u32 v10, v10, v14, v1
	v_add_co_u32 v1, vcc_lo, v74, 2
	v_lshlrev_b64 v[5:6], 2, v[7:8]
	v_add_co_ci_u32_e32 v11, vcc_lo, 0, v75, vcc_lo
	s_delay_alu instid0(VALU_DEP_4) | instskip(NEXT) | instid1(VALU_DEP_4)
	v_lshlrev_b64 v[7:8], 2, v[9:10]
	v_mul_lo_u32 v12, s7, v1
	v_mad_u64_u32 v[9:10], null, s6, v1, 0
	v_add_co_u32 v74, vcc_lo, s8, v5
	v_mul_lo_u32 v11, s6, v11
	v_add_co_ci_u32_e32 v75, vcc_lo, s9, v6, vcc_lo
	v_add_co_u32 v76, vcc_lo, s10, v5
	v_add_co_ci_u32_e32 v77, vcc_lo, s11, v6, vcc_lo
	v_add_co_u32 v78, vcc_lo, s8, v7
	v_add_co_ci_u32_e32 v79, vcc_lo, s9, v8, vcc_lo
	v_add3_u32 v10, v10, v11, v12
	v_add_co_u32 v80, vcc_lo, s10, v7
	v_add_co_ci_u32_e32 v81, vcc_lo, s11, v8, vcc_lo
	v_add_co_u32 v3, vcc_lo, v3, s6
	s_delay_alu instid0(VALU_DEP_4) | instskip(SKIP_3) | instid1(VALU_DEP_4)
	v_lshlrev_b64 v[5:6], 2, v[9:10]
	v_add_co_ci_u32_e32 v4, vcc_lo, s7, v4, vcc_lo
	v_mad_u64_u32 v[35:36], null, s6, v18, s[8:9]
	v_mul_lo_u32 v22, s7, v18
	v_add_co_u32 v82, vcc_lo, s8, v5
	s_delay_alu instid0(VALU_DEP_4)
	v_lshlrev_b64 v[3:4], 2, v[3:4]
	v_add_co_ci_u32_e32 v83, vcc_lo, s9, v6, vcc_lo
	v_mad_u64_u32 v[37:38], null, s6, v20, s[8:9]
	v_mul_lo_u32 v24, s7, v20
	v_mad_u64_u32 v[49:50], null, s6, v18, s[10:11]
	v_mad_u64_u32 v[51:52], null, s6, v20, s[10:11]
	v_add_co_u32 v84, vcc_lo, s10, v5
	v_add_co_ci_u32_e32 v85, vcc_lo, s11, v6, vcc_lo
	v_add_co_u32 v86, vcc_lo, s8, v3
	v_add_co_ci_u32_e32 v87, vcc_lo, s9, v4, vcc_lo
	v_add_co_u32 v88, vcc_lo, s10, v3
	v_add3_u32 v32, v16, v32, v15
	v_add3_u32 v34, v19, v34, v17
	;; [unrolled: 1-line block ×8, first 2 shown]
	v_add_co_ci_u32_e32 v89, vcc_lo, s11, v4, vcc_lo
	s_mul_i32 s2, s6, s15
	s_mov_b32 s16, 0
	s_lshl_b64 s[2:3], s[2:3], 2
.LBB159_53:                             ; =>This Inner Loop Header: Depth=1
	v_cmp_ge_i64_e64 s8, s[28:29], s[4:5]
	v_add_co_u32 v91, s9, v57, s28
	s_delay_alu instid0(VALU_DEP_1) | instskip(NEXT) | instid1(VALU_DEP_3)
	v_add_co_ci_u32_e64 v92, null, 0, s29, s9
	s_and_b32 vcc_lo, exec_lo, s8
	s_cbranch_vccz .LBB159_75
; %bb.54:                               ;   in Loop: Header=BB159_53 Depth=1
	s_load_b32 s8, s[26:27], 0xc
	v_mov_b32_e32 v93, 0
	s_waitcnt lgkmcnt(0)
	s_and_b32 s8, s8, 0xffff
	s_delay_alu instid0(SALU_CYCLE_1) | instskip(SKIP_1) | instid1(VALU_DEP_1)
	v_mad_u32_u24 v1, v56, s8, v55
	s_mov_b32 s8, exec_lo
	v_and_b32_e32 v1, 31, v1
	s_delay_alu instid0(VALU_DEP_1)
	v_cmpx_gt_u32_e32 8, v1
	s_cbranch_execz .LBB159_58
; %bb.55:                               ;   in Loop: Header=BB159_53 Depth=1
	v_add_co_u32 v1, vcc_lo, v91, v1
	v_add_co_ci_u32_e32 v4, vcc_lo, 0, v92, vcc_lo
	v_mov_b32_e32 v93, 0
	s_delay_alu instid0(VALU_DEP_3) | instskip(NEXT) | instid1(VALU_DEP_3)
	v_add_co_u32 v3, vcc_lo, 0xffffff81, v1
	v_add_co_ci_u32_e32 v4, vcc_lo, -1, v4, vcc_lo
	s_mov_b32 s9, exec_lo
	s_delay_alu instid0(VALU_DEP_1)
	v_cmpx_gt_i64_e64 s[4:5], v[3:4]
	s_cbranch_execz .LBB159_57
; %bb.56:                               ;   in Loop: Header=BB159_53 Depth=1
	v_lshlrev_b64 v[3:4], 2, v[3:4]
	s_delay_alu instid0(VALU_DEP_1) | instskip(NEXT) | instid1(VALU_DEP_2)
	v_add_co_u32 v3, vcc_lo, s12, v3
	v_add_co_ci_u32_e32 v4, vcc_lo, s13, v4, vcc_lo
	global_load_b32 v93, v[3:4], off
.LBB159_57:                             ;   in Loop: Header=BB159_53 Depth=1
	s_or_b32 exec_lo, exec_lo, s9
.LBB159_58:                             ;   in Loop: Header=BB159_53 Depth=1
	s_delay_alu instid0(SALU_CYCLE_1)
	s_or_b32 exec_lo, exec_lo, s8
	s_mov_b32 s22, s16
	s_mov_b32 s23, s16
	;; [unrolled: 1-line block ×7, first 2 shown]
	v_dual_mov_b32 v9, s16 :: v_dual_mov_b32 v10, s17
	v_dual_mov_b32 v15, s22 :: v_dual_mov_b32 v16, s23
	;; [unrolled: 1-line block ×4, first 2 shown]
	v_add_co_u32 v3, vcc_lo, 0xffffff81, v91
	s_delay_alu instid0(VALU_DEP_4) | instskip(SKIP_1) | instid1(VALU_DEP_4)
	v_dual_mov_b32 v24, v16 :: v_dual_mov_b32 v23, v15
	v_add_co_ci_u32_e32 v4, vcc_lo, -1, v92, vcc_lo
	v_dual_mov_b32 v22, v14 :: v_dual_mov_b32 v21, v13
	v_dual_mov_b32 v20, v12 :: v_dual_mov_b32 v19, v11
	;; [unrolled: 1-line block ×3, first 2 shown]
	s_mov_b32 s8, exec_lo
	v_cmpx_gt_i64_e64 s[4:5], v[3:4]
	s_cbranch_execz .LBB159_60
; %bb.59:                               ;   in Loop: Header=BB159_53 Depth=1
	v_add_co_u32 v3, vcc_lo, v58, v25
	v_add_co_ci_u32_e32 v4, vcc_lo, v59, v26, vcc_lo
	v_mov_b32_e32 v8, v2
	v_mov_b32_e32 v5, v2
	v_mov_b32_e32 v6, v2
	global_load_b32 v1, v[3:4], off
	v_add_co_u32 v3, vcc_lo, v60, v25
	v_add_co_ci_u32_e32 v4, vcc_lo, v61, v26, vcc_lo
	v_mov_b32_e32 v7, v2
	v_mov_b32_e32 v15, v2
	global_load_b32 v9, v[3:4], off
	v_mov_b32_e32 v3, v2
	v_mov_b32_e32 v4, v2
	s_waitcnt vmcnt(1)
	v_dual_mov_b32 v11, v2 :: v_dual_mov_b32 v24, v8
	v_dual_mov_b32 v10, v2 :: v_dual_mov_b32 v23, v7
	;; [unrolled: 1-line block ×5, first 2 shown]
	v_mov_b32_e32 v16, v2
	v_mov_b32_e32 v22, v6
	v_dual_mov_b32 v18, v2 :: v_dual_mov_b32 v17, v1
.LBB159_60:                             ;   in Loop: Header=BB159_53 Depth=1
	s_or_b32 exec_lo, exec_lo, s8
	v_add_co_u32 v3, vcc_lo, 0xffffff82, v91
	v_add_co_ci_u32_e32 v4, vcc_lo, -1, v92, vcc_lo
	s_mov_b32 s8, exec_lo
	s_delay_alu instid0(VALU_DEP_1)
	v_cmpx_gt_i64_e64 s[4:5], v[3:4]
	s_cbranch_execz .LBB159_62
; %bb.61:                               ;   in Loop: Header=BB159_53 Depth=1
	v_add_co_u32 v3, vcc_lo, v86, v25
	v_add_co_ci_u32_e32 v4, vcc_lo, v87, v26, vcc_lo
	v_add_co_u32 v5, vcc_lo, v88, v25
	v_add_co_ci_u32_e32 v6, vcc_lo, v89, v26, vcc_lo
	global_load_b32 v18, v[3:4], off
	global_load_b32 v10, v[5:6], off
.LBB159_62:                             ;   in Loop: Header=BB159_53 Depth=1
	s_or_b32 exec_lo, exec_lo, s8
	v_add_co_u32 v3, vcc_lo, 0xffffff83, v91
	v_add_co_ci_u32_e32 v4, vcc_lo, -1, v92, vcc_lo
	s_mov_b32 s8, exec_lo
	s_delay_alu instid0(VALU_DEP_1)
	v_cmpx_gt_i64_e64 s[4:5], v[3:4]
	s_cbranch_execz .LBB159_64
; %bb.63:                               ;   in Loop: Header=BB159_53 Depth=1
	v_add_co_u32 v3, vcc_lo, v82, v25
	v_add_co_ci_u32_e32 v4, vcc_lo, v83, v26, vcc_lo
	v_add_co_u32 v5, vcc_lo, v84, v25
	v_add_co_ci_u32_e32 v6, vcc_lo, v85, v26, vcc_lo
	global_load_b32 v19, v[3:4], off
	global_load_b32 v11, v[5:6], off
.LBB159_64:                             ;   in Loop: Header=BB159_53 Depth=1
	;; [unrolled: 15-line block ×7, first 2 shown]
	s_or_b32 exec_lo, exec_lo, s8
	s_waitcnt vmcnt(0)
	ds_bpermute_b32 v1, v2, v93
	ds_bpermute_b32 v3, v2, v93 offset:4
	ds_bpermute_b32 v4, v2, v93 offset:8
	v_mul_f32_e32 v5, v9, v17
	ds_bpermute_b32 v6, v2, v93 offset:12
	v_mul_f32_e32 v7, v10, v18
	ds_bpermute_b32 v8, v2, v93 offset:16
	ds_bpermute_b32 v9, v2, v93 offset:20
	s_waitcnt lgkmcnt(5)
	v_fma_f32 v1, v5, v1, v90
	v_mul_f32_e32 v5, v11, v19
	s_waitcnt lgkmcnt(4)
	s_delay_alu instid0(VALU_DEP_2)
	v_fmac_f32_e32 v1, v7, v3
	v_mul_f32_e32 v3, v12, v20
	ds_bpermute_b32 v7, v2, v93 offset:24
	s_waitcnt lgkmcnt(4)
	v_fmac_f32_e32 v1, v5, v4
	v_dual_mul_f32 v4, v13, v21 :: v_dual_mul_f32 v5, v14, v22
	s_waitcnt lgkmcnt(3)
	s_delay_alu instid0(VALU_DEP_2) | instskip(SKIP_4) | instid1(VALU_DEP_1)
	v_fmac_f32_e32 v1, v3, v6
	ds_bpermute_b32 v3, v2, v93 offset:28
	s_waitcnt lgkmcnt(3)
	v_dual_fmac_f32 v1, v4, v8 :: v_dual_mul_f32 v4, v15, v23
	s_waitcnt lgkmcnt(2)
	v_fmac_f32_e32 v1, v5, v9
	s_waitcnt lgkmcnt(1)
	s_delay_alu instid0(VALU_DEP_1) | instskip(SKIP_2) | instid1(VALU_DEP_1)
	v_fmac_f32_e32 v1, v4, v7
	v_mul_f32_e32 v4, v16, v24
	s_waitcnt lgkmcnt(0)
	v_fmac_f32_e32 v1, v4, v3
	s_branch .LBB159_81
.LBB159_75:                             ;   in Loop: Header=BB159_53 Depth=1
                                        ; implicit-def: $vgpr1
	s_cbranch_execz .LBB159_81
; %bb.76:                               ;   in Loop: Header=BB159_53 Depth=1
	s_load_b32 s8, s[26:27], 0x0
	s_waitcnt lgkmcnt(0)
	s_cmp_lt_u32 s14, s8
	s_cselect_b32 s8, 12, 18
	s_delay_alu instid0(SALU_CYCLE_1)
	s_add_u32 s8, s26, s8
	s_addc_u32 s9, s27, 0
	global_load_u16 v1, v2, s[8:9]
	s_mov_b32 s8, exec_lo
	s_waitcnt vmcnt(0)
	v_mad_u32_u24 v1, v56, v1, v55
	s_delay_alu instid0(VALU_DEP_1) | instskip(SKIP_1) | instid1(VALU_DEP_2)
	v_and_b32_e32 v3, 31, v1
	v_mov_b32_e32 v1, 0
	v_cmpx_gt_u32_e32 8, v3
	s_cbranch_execz .LBB159_80
; %bb.77:                               ;   in Loop: Header=BB159_53 Depth=1
	v_add_co_u32 v1, vcc_lo, v91, v3
	v_add_co_ci_u32_e32 v4, vcc_lo, 0, v92, vcc_lo
	s_mov_b32 s9, exec_lo
	s_delay_alu instid0(VALU_DEP_2) | instskip(NEXT) | instid1(VALU_DEP_2)
	v_add_co_u32 v3, vcc_lo, 0xffffff81, v1
	v_add_co_ci_u32_e32 v4, vcc_lo, -1, v4, vcc_lo
	v_mov_b32_e32 v1, 0
	s_delay_alu instid0(VALU_DEP_2)
	v_cmpx_gt_i64_e64 s[4:5], v[3:4]
	s_cbranch_execz .LBB159_79
; %bb.78:                               ;   in Loop: Header=BB159_53 Depth=1
	v_lshlrev_b64 v[3:4], 2, v[3:4]
	s_delay_alu instid0(VALU_DEP_1) | instskip(NEXT) | instid1(VALU_DEP_2)
	v_add_co_u32 v3, vcc_lo, s12, v3
	v_add_co_ci_u32_e32 v4, vcc_lo, s13, v4, vcc_lo
	global_load_b32 v1, v[3:4], off
.LBB159_79:                             ;   in Loop: Header=BB159_53 Depth=1
	s_or_b32 exec_lo, exec_lo, s9
.LBB159_80:                             ;   in Loop: Header=BB159_53 Depth=1
	s_delay_alu instid0(SALU_CYCLE_1)
	s_or_b32 exec_lo, exec_lo, s8
	v_add_co_u32 v3, vcc_lo, v58, v25
	v_add_co_ci_u32_e32 v4, vcc_lo, v59, v26, vcc_lo
	v_add_co_u32 v5, vcc_lo, v60, v25
	v_add_co_ci_u32_e32 v6, vcc_lo, v61, v26, vcc_lo
	;; [unrolled: 2-line block ×4, first 2 shown]
	global_load_b32 v13, v[3:4], off
	global_load_b32 v14, v[5:6], off
	global_load_b32 v15, v[7:8], off
	global_load_b32 v16, v[9:10], off
	v_add_co_u32 v3, vcc_lo, v29, v25
	v_add_co_ci_u32_e32 v4, vcc_lo, v30, v26, vcc_lo
	v_add_co_u32 v5, vcc_lo, v43, v25
	v_add_co_ci_u32_e32 v6, vcc_lo, v44, v26, vcc_lo
	;; [unrolled: 2-line block ×5, first 2 shown]
	global_load_b32 v17, v[3:4], off
	global_load_b32 v18, v[5:6], off
	;; [unrolled: 1-line block ×5, first 2 shown]
	v_add_co_u32 v3, vcc_lo, v47, v25
	v_add_co_ci_u32_e32 v4, vcc_lo, v48, v26, vcc_lo
	v_add_co_u32 v5, vcc_lo, v35, v25
	v_add_co_ci_u32_e32 v6, vcc_lo, v36, v26, vcc_lo
	;; [unrolled: 2-line block ×5, first 2 shown]
	global_load_b32 v22, v[3:4], off
	global_load_b32 v23, v[5:6], off
	;; [unrolled: 1-line block ×5, first 2 shown]
	v_add_co_u32 v3, vcc_lo, v39, v25
	v_add_co_ci_u32_e32 v4, vcc_lo, v40, v26, vcc_lo
	v_add_co_u32 v5, vcc_lo, v53, v25
	v_add_co_ci_u32_e32 v6, vcc_lo, v54, v26, vcc_lo
	global_load_b32 v3, v[3:4], off
	global_load_b32 v4, v[5:6], off
	s_waitcnt vmcnt(16)
	ds_bpermute_b32 v5, v2, v1
	ds_bpermute_b32 v6, v2, v1 offset:4
	ds_bpermute_b32 v10, v2, v1 offset:8
	;; [unrolled: 1-line block ×3, first 2 shown]
	s_waitcnt vmcnt(14)
	v_mul_f32_e32 v12, v13, v14
	ds_bpermute_b32 v13, v2, v1 offset:16
	s_waitcnt vmcnt(12)
	v_mul_f32_e32 v14, v15, v16
	s_waitcnt vmcnt(4) lgkmcnt(4)
	v_dual_mul_f32 v7, v23, v7 :: v_dual_fmac_f32 v90, v12, v5
	ds_bpermute_b32 v5, v2, v1 offset:20
	v_mul_f32_e32 v12, v17, v18
	s_waitcnt vmcnt(0)
	v_dual_mul_f32 v8, v8, v9 :: v_dual_mul_f32 v3, v3, v4
	s_waitcnt lgkmcnt(4)
	v_fmac_f32_e32 v90, v14, v6
	ds_bpermute_b32 v6, v2, v1 offset:24
	v_mul_f32_e32 v14, v19, v20
	ds_bpermute_b32 v1, v2, v1 offset:28
	s_waitcnt lgkmcnt(5)
	v_fmac_f32_e32 v90, v12, v10
	v_mul_f32_e32 v10, v21, v22
	s_waitcnt lgkmcnt(4)
	s_delay_alu instid0(VALU_DEP_2) | instskip(SKIP_1) | instid1(VALU_DEP_1)
	v_fmac_f32_e32 v90, v14, v11
	s_waitcnt lgkmcnt(3)
	v_fmac_f32_e32 v90, v10, v13
	s_waitcnt lgkmcnt(2)
	s_delay_alu instid0(VALU_DEP_1) | instskip(SKIP_1) | instid1(VALU_DEP_1)
	v_fmac_f32_e32 v90, v7, v5
	s_waitcnt lgkmcnt(1)
	v_fmac_f32_e32 v90, v8, v6
	s_waitcnt lgkmcnt(0)
	s_delay_alu instid0(VALU_DEP_1) | instskip(NEXT) | instid1(VALU_DEP_1)
	v_fmac_f32_e32 v90, v3, v1
	v_mov_b32_e32 v1, v90
.LBB159_81:                             ;   in Loop: Header=BB159_53 Depth=1
	v_add_co_u32 v27, vcc_lo, v27, s2
	v_add_co_ci_u32_e32 v28, vcc_lo, s3, v28, vcc_lo
	v_add_co_u32 v29, vcc_lo, v29, s2
	v_add_co_ci_u32_e32 v30, vcc_lo, s3, v30, vcc_lo
	;; [unrolled: 2-line block ×27, first 2 shown]
	v_add_co_u32 v84, vcc_lo, v84, s2
	s_add_u32 s24, s24, s15
	v_add_co_ci_u32_e32 v85, vcc_lo, s3, v85, vcc_lo
	s_addc_u32 s25, s25, 0
	v_add_co_u32 v86, vcc_lo, v86, s2
	v_cmp_ge_i64_e64 s8, s[24:25], s[4:5]
	v_add_co_ci_u32_e32 v87, vcc_lo, s3, v87, vcc_lo
	v_add_co_u32 v88, vcc_lo, v88, s2
	v_add_co_ci_u32_e32 v89, vcc_lo, s3, v89, vcc_lo
	s_add_u32 s28, s28, s15
	s_addc_u32 s29, s29, 0
	s_and_b32 vcc_lo, exec_lo, s8
	s_cbranch_vccnz .LBB159_83
; %bb.82:                               ;   in Loop: Header=BB159_53 Depth=1
	v_mov_b32_e32 v90, v1
	s_branch .LBB159_53
.LBB159_83:
	v_and_b32_e32 v2, 0x3ff, v0
	v_bfe_u32 v0, v0, 10, 10
	s_mov_b32 s15, 0
	s_mov_b32 s2, exec_lo
	v_mov_b32_e32 v6, 0
	v_lshrrev_b32_e32 v3, 5, v2
	v_mad_u32_u24 v4, v0, 33, v2
	s_delay_alu instid0(VALU_DEP_2) | instskip(NEXT) | instid1(VALU_DEP_2)
	v_add_nc_u32_e32 v5, v3, v0
	v_lshl_add_u32 v4, v4, 2, 0
	ds_store_b32 v4, v1
	ds_store_b32 v4, v6 offset:2112
	s_waitcnt lgkmcnt(0)
	s_barrier
	buffer_gl0_inv
	v_cmpx_gt_u32_e32 32, v5
	s_cbranch_execz .LBB159_90
; %bb.84:
	v_mbcnt_lo_u32_b32 v6, -1, 0
	v_and_b32_e32 v1, 31, v2
	s_load_b64 s[2:3], s[0:1], 0x30
	v_cmp_ne_u32_e32 vcc_lo, 0, v2
	s_lshl_b64 s[4:5], s[14:15], 5
	v_xor_b32_e32 v4, 8, v6
	v_xor_b32_e32 v2, 4, v6
	;; [unrolled: 1-line block ×3, first 2 shown]
	v_cmp_gt_u32_e64 s0, 16, v1
	v_mul_u32_u24_e32 v8, 0x84, v1
	v_cmp_gt_i32_e64 s1, 32, v4
	v_xor_b32_e32 v10, 1, v6
	v_lshlrev_b32_e32 v11, 2, v5
	s_delay_alu instid0(VALU_DEP_3) | instskip(SKIP_1) | instid1(VALU_DEP_3)
	v_cndmask_b32_e64 v4, v6, v4, s1
	v_cmp_gt_i32_e64 s1, 32, v2
	v_add3_u32 v8, v8, v11, 0
	s_delay_alu instid0(VALU_DEP_2) | instskip(SKIP_3) | instid1(VALU_DEP_3)
	v_cndmask_b32_e64 v9, v6, v2, s1
	v_add_co_u32 v3, s1, v3, v0
	v_lshlrev_b32_e32 v2, 2, v4
	v_add_co_ci_u32_e64 v4, null, 0, 0, s1
	v_add_co_u32 v0, s1, v3, s4
	v_lshlrev_b32_e32 v5, 2, v9
	s_delay_alu instid0(VALU_DEP_3) | instskip(SKIP_3) | instid1(VALU_DEP_2)
	v_add_co_ci_u32_e64 v1, s1, s5, v4, s1
	v_cmp_gt_i32_e64 s1, 32, v7
	s_waitcnt lgkmcnt(0)
	s_cmp_eq_u64 s[2:3], 0
                                        ; implicit-def: $vgpr9
	v_lshlrev_b64 v[0:1], 2, v[0:1]
	s_delay_alu instid0(VALU_DEP_2) | instskip(SKIP_1) | instid1(VALU_DEP_1)
	v_cndmask_b32_e64 v7, v6, v7, s1
	v_cmp_gt_i32_e64 s1, 32, v10
	v_cndmask_b32_e64 v10, v6, v10, s1
	s_delay_alu instid0(VALU_DEP_4) | instskip(NEXT) | instid1(VALU_DEP_4)
	v_add_co_u32 v0, s1, s2, v0
	v_lshlrev_b32_e32 v6, 2, v7
	v_add_co_ci_u32_e64 v1, s1, s3, v1, s1
	s_delay_alu instid0(VALU_DEP_4)
	v_lshlrev_b32_e32 v7, 2, v10
	s_cselect_b32 s3, -1, 0
	s_set_inst_prefetch_distance 0x1
	s_branch .LBB159_86
	.p2align	6
.LBB159_85:                             ;   in Loop: Header=BB159_86 Depth=1
	s_or_b32 exec_lo, exec_lo, s1
	v_add_co_u32 v3, s1, v3, 16
	s_delay_alu instid0(VALU_DEP_1) | instskip(SKIP_1) | instid1(VALU_DEP_3)
	v_add_co_ci_u32_e64 v4, s1, 0, v4, s1
	v_add_co_u32 v0, s2, v0, 64
	v_add_nc_u32_e32 v10, -16, v3
	v_add_nc_u32_e32 v8, 64, v8
	v_add_co_ci_u32_e64 v1, s2, 0, v1, s2
	s_delay_alu instid0(VALU_DEP_3) | instskip(NEXT) | instid1(VALU_DEP_1)
	v_cmp_lt_u32_e64 s1, 15, v10
	s_or_b32 s15, s1, s15
	s_delay_alu instid0(SALU_CYCLE_1)
	s_and_not1_b32 exec_lo, exec_lo, s15
	s_cbranch_execz .LBB159_90
.LBB159_86:                             ; =>This Inner Loop Header: Depth=1
	s_and_saveexec_b32 s1, s0
	s_cbranch_execz .LBB159_88
; %bb.87:                               ;   in Loop: Header=BB159_86 Depth=1
	ds_load_b32 v9, v8
.LBB159_88:                             ;   in Loop: Header=BB159_86 Depth=1
	s_or_b32 exec_lo, exec_lo, s1
	s_waitcnt lgkmcnt(0)
	ds_bpermute_b32 v10, v2, v9
	s_waitcnt lgkmcnt(0)
	v_add_f32_e32 v9, v9, v10
	ds_bpermute_b32 v10, v5, v9
	s_waitcnt lgkmcnt(0)
	v_add_f32_e32 v9, v9, v10
	;; [unrolled: 3-line block ×3, first 2 shown]
	v_add_co_u32 v9, s1, s4, v3
	s_delay_alu instid0(VALU_DEP_1) | instskip(SKIP_2) | instid1(VALU_DEP_1)
	v_add_co_ci_u32_e64 v10, s1, s5, v4, s1
	ds_bpermute_b32 v12, v7, v11
	v_cmp_le_i64_e64 s1, s[6:7], v[9:10]
	s_or_b32 s1, vcc_lo, s1
	s_delay_alu instid0(SALU_CYCLE_1) | instskip(NEXT) | instid1(SALU_CYCLE_1)
	s_or_b32 s1, s3, s1
	s_xor_b32 s2, s1, -1
	s_waitcnt lgkmcnt(0)
	v_add_f32_e32 v9, v11, v12
	s_and_saveexec_b32 s1, s2
	s_cbranch_execz .LBB159_85
; %bb.89:                               ;   in Loop: Header=BB159_86 Depth=1
	global_store_b32 v[0:1], v9, off
	s_branch .LBB159_85
.LBB159_90:
	s_set_inst_prefetch_distance 0x2
	s_nop 0
	s_sendmsg sendmsg(MSG_DEALLOC_VGPRS)
	s_endpgm
	.section	.rodata,"a",@progbits
	.p2align	6, 0x0
	.amdhsa_kernel _ZN2at6native12_GLOBAL__N_135GammaBetaBackwardCUDAKernelTemplateIffLj32ELj16ELj128ELb0ELb0ELb1EEEvllPKT_S5_PKT0_S8_PS3_S9_
		.amdhsa_group_segment_fixed_size 0
		.amdhsa_private_segment_fixed_size 0
		.amdhsa_kernarg_size 320
		.amdhsa_user_sgpr_count 14
		.amdhsa_user_sgpr_dispatch_ptr 0
		.amdhsa_user_sgpr_queue_ptr 0
		.amdhsa_user_sgpr_kernarg_segment_ptr 1
		.amdhsa_user_sgpr_dispatch_id 0
		.amdhsa_user_sgpr_private_segment_size 0
		.amdhsa_wavefront_size32 1
		.amdhsa_uses_dynamic_stack 0
		.amdhsa_enable_private_segment 0
		.amdhsa_system_sgpr_workgroup_id_x 1
		.amdhsa_system_sgpr_workgroup_id_y 1
		.amdhsa_system_sgpr_workgroup_id_z 0
		.amdhsa_system_sgpr_workgroup_info 0
		.amdhsa_system_vgpr_workitem_id 1
		.amdhsa_next_free_vgpr 94
		.amdhsa_next_free_sgpr 37
		.amdhsa_reserve_vcc 1
		.amdhsa_float_round_mode_32 0
		.amdhsa_float_round_mode_16_64 0
		.amdhsa_float_denorm_mode_32 3
		.amdhsa_float_denorm_mode_16_64 3
		.amdhsa_dx10_clamp 1
		.amdhsa_ieee_mode 1
		.amdhsa_fp16_overflow 0
		.amdhsa_workgroup_processor_mode 1
		.amdhsa_memory_ordered 1
		.amdhsa_forward_progress 0
		.amdhsa_shared_vgpr_count 0
		.amdhsa_exception_fp_ieee_invalid_op 0
		.amdhsa_exception_fp_denorm_src 0
		.amdhsa_exception_fp_ieee_div_zero 0
		.amdhsa_exception_fp_ieee_overflow 0
		.amdhsa_exception_fp_ieee_underflow 0
		.amdhsa_exception_fp_ieee_inexact 0
		.amdhsa_exception_int_div_zero 0
	.end_amdhsa_kernel
	.section	.text._ZN2at6native12_GLOBAL__N_135GammaBetaBackwardCUDAKernelTemplateIffLj32ELj16ELj128ELb0ELb0ELb1EEEvllPKT_S5_PKT0_S8_PS3_S9_,"axG",@progbits,_ZN2at6native12_GLOBAL__N_135GammaBetaBackwardCUDAKernelTemplateIffLj32ELj16ELj128ELb0ELb0ELb1EEEvllPKT_S5_PKT0_S8_PS3_S9_,comdat
.Lfunc_end159:
	.size	_ZN2at6native12_GLOBAL__N_135GammaBetaBackwardCUDAKernelTemplateIffLj32ELj16ELj128ELb0ELb0ELb1EEEvllPKT_S5_PKT0_S8_PS3_S9_, .Lfunc_end159-_ZN2at6native12_GLOBAL__N_135GammaBetaBackwardCUDAKernelTemplateIffLj32ELj16ELj128ELb0ELb0ELb1EEEvllPKT_S5_PKT0_S8_PS3_S9_
                                        ; -- End function
	.section	.AMDGPU.csdata,"",@progbits
; Kernel info:
; codeLenInByte = 7400
; NumSgprs: 39
; NumVgprs: 94
; ScratchSize: 0
; MemoryBound: 0
; FloatMode: 240
; IeeeMode: 1
; LDSByteSize: 0 bytes/workgroup (compile time only)
; SGPRBlocks: 4
; VGPRBlocks: 11
; NumSGPRsForWavesPerEU: 39
; NumVGPRsForWavesPerEU: 94
; Occupancy: 16
; WaveLimiterHint : 0
; COMPUTE_PGM_RSRC2:SCRATCH_EN: 0
; COMPUTE_PGM_RSRC2:USER_SGPR: 14
; COMPUTE_PGM_RSRC2:TRAP_HANDLER: 0
; COMPUTE_PGM_RSRC2:TGID_X_EN: 1
; COMPUTE_PGM_RSRC2:TGID_Y_EN: 1
; COMPUTE_PGM_RSRC2:TGID_Z_EN: 0
; COMPUTE_PGM_RSRC2:TIDIG_COMP_CNT: 1
	.section	.text._ZN2at6native12_GLOBAL__N_135GammaBetaBackwardCUDAKernelTemplateIffLj32ELj32ELj256ELb0ELb1ELb1EEEvllPKT_S5_PKT0_S8_PS3_S9_,"axG",@progbits,_ZN2at6native12_GLOBAL__N_135GammaBetaBackwardCUDAKernelTemplateIffLj32ELj32ELj256ELb0ELb1ELb1EEEvllPKT_S5_PKT0_S8_PS3_S9_,comdat
	.globl	_ZN2at6native12_GLOBAL__N_135GammaBetaBackwardCUDAKernelTemplateIffLj32ELj32ELj256ELb0ELb1ELb1EEEvllPKT_S5_PKT0_S8_PS3_S9_ ; -- Begin function _ZN2at6native12_GLOBAL__N_135GammaBetaBackwardCUDAKernelTemplateIffLj32ELj32ELj256ELb0ELb1ELb1EEEvllPKT_S5_PKT0_S8_PS3_S9_
	.p2align	8
	.type	_ZN2at6native12_GLOBAL__N_135GammaBetaBackwardCUDAKernelTemplateIffLj32ELj32ELj256ELb0ELb1ELb1EEEvllPKT_S5_PKT0_S8_PS3_S9_,@function
_ZN2at6native12_GLOBAL__N_135GammaBetaBackwardCUDAKernelTemplateIffLj32ELj32ELj256ELb0ELb1ELb1EEEvllPKT_S5_PKT0_S8_PS3_S9_: ; @_ZN2at6native12_GLOBAL__N_135GammaBetaBackwardCUDAKernelTemplateIffLj32ELj32ELj256ELb0ELb1ELb1EEEvllPKT_S5_PKT0_S8_PS3_S9_
; %bb.0:
	s_load_b128 s[4:7], s[0:1], 0x0
	s_mov_b32 s13, 0
	s_lshl_b32 s12, s15, 8
	v_bfe_u32 v7, v0, 10, 10
	s_waitcnt lgkmcnt(0)
	v_cmp_lt_i64_e64 s2, s[12:13], s[4:5]
	s_delay_alu instid0(VALU_DEP_1)
	s_and_b32 vcc_lo, exec_lo, s2
	s_cbranch_vccnz .LBB160_2
; %bb.1:
	v_bfe_u32 v1, v0, 10, 10
	s_mov_b32 s8, 0
	s_mov_b32 s9, s13
	s_branch .LBB160_3
.LBB160_2:
	s_mov_b32 s9, -1
                                        ; implicit-def: $sgpr8
                                        ; implicit-def: $vgpr1
.LBB160_3:
	s_load_b64 s[2:3], s[0:1], 0x30
	v_dual_mov_b32 v15, s8 :: v_dual_and_b32 v6, 0x3ff, v0
	s_and_not1_b32 vcc_lo, exec_lo, s9
	s_cbranch_vccnz .LBB160_11
; %bb.4:
	s_clause 0x3
	s_load_b32 s15, s[0:1], 0x4c
	s_load_b32 s16, s[0:1], 0x44
	s_load_b128 s[8:11], s[0:1], 0x10
	s_load_b64 s[18:19], s[0:1], 0x28
	v_dual_mov_b32 v1, 0 :: v_dual_lshlrev_b32 v2, 3, v7
	v_lshl_add_u32 v0, s14, 5, v6
	v_dual_mov_b32 v8, 4 :: v_dual_mov_b32 v9, 8
	s_delay_alu instid0(VALU_DEP_3) | instskip(NEXT) | instid1(VALU_DEP_1)
	v_add_co_u32 v2, s1, v2, s12
	v_add_co_ci_u32_e64 v3, null, 0, 0, s1
	s_delay_alu instid0(VALU_DEP_4) | instskip(NEXT) | instid1(VALU_DEP_3)
	v_lshlrev_b64 v[15:16], 2, v[0:1]
	v_mul_lo_u32 v17, s7, v2
	v_dual_mov_b32 v10, 12 :: v_dual_mov_b32 v11, 16
	s_delay_alu instid0(VALU_DEP_4)
	v_mul_lo_u32 v18, s6, v3
	v_dual_mov_b32 v13, 24 :: v_dual_mov_b32 v14, 28
	s_waitcnt lgkmcnt(0)
	s_and_b32 s0, s15, 0xffff
	s_lshl_b32 s16, s16, 8
	v_mad_u32_u24 v4, v7, s0, v6
	v_mov_b32_e32 v12, 20
	s_mul_i32 s1, s7, s16
	s_mul_hi_u32 s15, s6, s16
	s_mov_b32 s17, 0
	v_and_b32_e32 v21, 31, v4
	v_mad_u64_u32 v[4:5], null, s6, v2, 0
	s_add_i32 s21, s15, s1
	s_mul_i32 s20, s6, s16
	s_delay_alu instid0(VALU_DEP_2) | instskip(SKIP_1) | instid1(VALU_DEP_3)
	v_add_co_u32 v2, vcc_lo, v2, v21
	v_add_co_ci_u32_e32 v3, vcc_lo, 0, v3, vcc_lo
	v_add3_u32 v5, v5, v18, v17
	v_cmp_gt_u32_e64 s0, 8, v21
	s_lshl_b64 s[20:21], s[20:21], 2
	s_delay_alu instid0(VALU_DEP_3) | instskip(SKIP_2) | instid1(VALU_DEP_2)
	v_lshlrev_b64 v[17:18], 2, v[2:3]
	s_lshl_b64 s[6:7], s[6:7], 2
	v_lshlrev_b64 v[19:20], 2, v[4:5]
	v_add_co_u32 v4, vcc_lo, s18, v17
	s_delay_alu instid0(VALU_DEP_3) | instskip(NEXT) | instid1(VALU_DEP_3)
	v_add_co_ci_u32_e32 v5, vcc_lo, s19, v18, vcc_lo
	v_add_co_u32 v0, vcc_lo, v19, v15
	s_delay_alu instid0(VALU_DEP_4)
	v_add_co_ci_u32_e32 v16, vcc_lo, v20, v16, vcc_lo
	v_mov_b32_e32 v15, 0
	s_lshl_b64 s[18:19], s[16:17], 2
	s_branch .LBB160_7
.LBB160_5:                              ;   in Loop: Header=BB160_7 Depth=1
	s_or_b32 exec_lo, exec_lo, s15
.LBB160_6:                              ;   in Loop: Header=BB160_7 Depth=1
	s_delay_alu instid0(SALU_CYCLE_1) | instskip(SKIP_4) | instid1(VALU_DEP_4)
	s_or_b32 exec_lo, exec_lo, s1
	v_add_co_u32 v18, vcc_lo, s8, v0
	v_add_co_ci_u32_e32 v19, vcc_lo, s9, v16, vcc_lo
	v_add_co_u32 v20, vcc_lo, s10, v0
	v_add_co_ci_u32_e32 v21, vcc_lo, s11, v16, vcc_lo
	v_add_co_u32 v22, vcc_lo, v18, s6
	s_delay_alu instid0(VALU_DEP_4) | instskip(NEXT) | instid1(VALU_DEP_4)
	v_add_co_ci_u32_e32 v23, vcc_lo, s7, v19, vcc_lo
	v_add_co_u32 v24, vcc_lo, v20, s6
	s_delay_alu instid0(VALU_DEP_4) | instskip(NEXT) | instid1(VALU_DEP_4)
	v_add_co_ci_u32_e32 v25, vcc_lo, s7, v21, vcc_lo
	v_add_co_u32 v26, vcc_lo, v22, s6
	s_delay_alu instid0(VALU_DEP_4)
	v_add_co_ci_u32_e32 v27, vcc_lo, s7, v23, vcc_lo
	global_load_b32 v28, v[18:19], off
	global_load_b32 v29, v[20:21], off
	;; [unrolled: 1-line block ×5, first 2 shown]
	v_add_co_u32 v18, vcc_lo, v24, s6
	v_add_co_ci_u32_e32 v19, vcc_lo, s7, v25, vcc_lo
	v_add_co_u32 v20, vcc_lo, v26, s6
	v_add_co_ci_u32_e32 v21, vcc_lo, s7, v27, vcc_lo
	s_delay_alu instid0(VALU_DEP_4) | instskip(NEXT) | instid1(VALU_DEP_4)
	v_add_co_u32 v22, vcc_lo, v18, s6
	v_add_co_ci_u32_e32 v23, vcc_lo, s7, v19, vcc_lo
	s_delay_alu instid0(VALU_DEP_4) | instskip(NEXT) | instid1(VALU_DEP_4)
	;; [unrolled: 3-line block ×3, first 2 shown]
	v_add_co_u32 v26, vcc_lo, v22, s6
	v_add_co_ci_u32_e32 v27, vcc_lo, s7, v23, vcc_lo
	global_load_b32 v33, v[18:19], off
	global_load_b32 v34, v[20:21], off
	;; [unrolled: 1-line block ×5, first 2 shown]
	v_add_co_u32 v18, vcc_lo, v24, s6
	v_add_co_ci_u32_e32 v19, vcc_lo, s7, v25, vcc_lo
	v_add_co_u32 v20, vcc_lo, v26, s6
	v_add_co_ci_u32_e32 v21, vcc_lo, s7, v27, vcc_lo
	s_delay_alu instid0(VALU_DEP_4) | instskip(NEXT) | instid1(VALU_DEP_4)
	v_add_co_u32 v22, vcc_lo, v18, s6
	v_add_co_ci_u32_e32 v23, vcc_lo, s7, v19, vcc_lo
	s_delay_alu instid0(VALU_DEP_4) | instskip(NEXT) | instid1(VALU_DEP_4)
	v_add_co_u32 v24, vcc_lo, v20, s6
	v_add_co_ci_u32_e32 v25, vcc_lo, s7, v21, vcc_lo
	global_load_b32 v26, v[18:19], off
	global_load_b32 v27, v[20:21], off
	;; [unrolled: 1-line block ×4, first 2 shown]
	v_add_co_u32 v18, vcc_lo, v22, s6
	v_add_co_ci_u32_e32 v19, vcc_lo, s7, v23, vcc_lo
	v_add_co_u32 v20, vcc_lo, v24, s6
	v_add_co_ci_u32_e32 v21, vcc_lo, s7, v25, vcc_lo
	global_load_b32 v18, v[18:19], off
	global_load_b32 v19, v[20:21], off
	s_waitcnt vmcnt(16)
	ds_bpermute_b32 v20, v1, v17
	ds_bpermute_b32 v21, v8, v17
	;; [unrolled: 1-line block ×4, first 2 shown]
	v_add_co_u32 v4, vcc_lo, v4, s18
	s_add_u32 s12, s12, s16
	v_add_co_ci_u32_e32 v5, vcc_lo, s19, v5, vcc_lo
	s_addc_u32 s13, s13, 0
	v_add_co_u32 v2, vcc_lo, v2, s16
	v_add_co_ci_u32_e32 v3, vcc_lo, 0, v3, vcc_lo
	v_cmp_lt_i64_e64 s1, s[12:13], s[4:5]
	v_add_co_u32 v0, vcc_lo, v0, s20
	v_add_co_ci_u32_e32 v16, vcc_lo, s21, v16, vcc_lo
	s_delay_alu instid0(VALU_DEP_3) | instskip(SKIP_3) | instid1(VALU_DEP_1)
	s_and_b32 vcc_lo, exec_lo, s1
	s_waitcnt vmcnt(14)
	v_mul_f32_e32 v23, v28, v29
	s_waitcnt vmcnt(12) lgkmcnt(3)
	v_dual_fmac_f32 v15, v23, v20 :: v_dual_mul_f32 v20, v30, v31
	ds_bpermute_b32 v23, v11, v17
	s_waitcnt lgkmcnt(3)
	v_fmac_f32_e32 v15, v20, v21
	ds_bpermute_b32 v21, v12, v17
	s_waitcnt vmcnt(10)
	v_mul_f32_e32 v20, v32, v33
	s_waitcnt vmcnt(8) lgkmcnt(3)
	s_delay_alu instid0(VALU_DEP_1)
	v_dual_fmac_f32 v15, v20, v22 :: v_dual_mul_f32 v20, v34, v35
	ds_bpermute_b32 v22, v13, v17
	ds_bpermute_b32 v17, v14, v17
	s_waitcnt lgkmcnt(4)
	v_fmac_f32_e32 v15, v20, v24
	s_waitcnt vmcnt(6)
	v_mul_f32_e32 v20, v36, v37
	s_waitcnt lgkmcnt(3)
	s_delay_alu instid0(VALU_DEP_1) | instskip(SKIP_3) | instid1(VALU_DEP_1)
	v_fmac_f32_e32 v15, v20, v23
	s_waitcnt vmcnt(4)
	v_mul_f32_e32 v20, v26, v27
	s_waitcnt vmcnt(2) lgkmcnt(2)
	v_dual_fmac_f32 v15, v20, v21 :: v_dual_mul_f32 v20, v38, v39
	s_waitcnt vmcnt(0) lgkmcnt(1)
	s_delay_alu instid0(VALU_DEP_1) | instskip(SKIP_1) | instid1(VALU_DEP_1)
	v_dual_mul_f32 v18, v18, v19 :: v_dual_fmac_f32 v15, v20, v22
	s_waitcnt lgkmcnt(0)
	v_fmac_f32_e32 v15, v18, v17
	s_cbranch_vccz .LBB160_10
.LBB160_7:                              ; =>This Inner Loop Header: Depth=1
	v_mov_b32_e32 v17, 0
	s_and_saveexec_b32 s1, s0
	s_cbranch_execz .LBB160_6
; %bb.8:                                ;   in Loop: Header=BB160_7 Depth=1
	v_mov_b32_e32 v17, 0
	s_mov_b32 s15, exec_lo
	v_cmpx_gt_i64_e64 s[4:5], v[2:3]
	s_cbranch_execz .LBB160_5
; %bb.9:                                ;   in Loop: Header=BB160_7 Depth=1
	global_load_b32 v17, v[4:5], off
	s_branch .LBB160_5
.LBB160_10:
	v_mov_b32_e32 v1, v7
.LBB160_11:
	s_delay_alu instid0(VALU_DEP_1) | instskip(NEXT) | instid1(VALU_DEP_2)
	v_lshrrev_b32_e32 v0, 5, v6
	v_mad_u32_u24 v2, v1, 33, v6
	s_mov_b32 s0, exec_lo
	s_delay_alu instid0(VALU_DEP_2) | instskip(NEXT) | instid1(VALU_DEP_2)
	v_add_nc_u32_e32 v0, v0, v1
	v_lshl_add_u32 v1, v2, 2, 0
	v_mov_b32_e32 v2, 0
	ds_store_b32 v1, v15
	ds_store_b32 v1, v2 offset:4224
	s_waitcnt lgkmcnt(0)
	s_barrier
	buffer_gl0_inv
	v_cmpx_gt_u32_e32 32, v0
	s_cbranch_execz .LBB160_14
; %bb.12:
	v_and_b32_e32 v1, 31, v6
	v_lshlrev_b32_e32 v2, 2, v0
	s_cmp_lg_u64 s[2:3], 0
	s_cselect_b32 s0, -1, 0
	s_delay_alu instid0(VALU_DEP_2) | instskip(NEXT) | instid1(VALU_DEP_1)
	v_mul_u32_u24_e32 v1, 0x84, v1
	v_add3_u32 v1, 0, v2, v1
	v_mbcnt_lo_u32_b32 v2, -1, 0
	ds_load_b32 v1, v1
	v_xor_b32_e32 v3, 16, v2
	v_xor_b32_e32 v4, 8, v2
	s_delay_alu instid0(VALU_DEP_2) | instskip(SKIP_1) | instid1(VALU_DEP_3)
	v_cmp_gt_i32_e32 vcc_lo, 32, v3
	v_cndmask_b32_e32 v3, v2, v3, vcc_lo
	v_cmp_gt_i32_e32 vcc_lo, 32, v4
	v_cndmask_b32_e32 v4, v2, v4, vcc_lo
	s_delay_alu instid0(VALU_DEP_1) | instskip(NEXT) | instid1(VALU_DEP_4)
	v_lshlrev_b32_e32 v4, 2, v4
	v_lshlrev_b32_e32 v3, 2, v3
	s_waitcnt lgkmcnt(0)
	ds_bpermute_b32 v3, v3, v1
	s_waitcnt lgkmcnt(0)
	v_add_f32_e32 v1, v1, v3
	ds_bpermute_b32 v3, v4, v1
	v_xor_b32_e32 v4, 4, v2
	s_delay_alu instid0(VALU_DEP_1) | instskip(SKIP_2) | instid1(VALU_DEP_1)
	v_cmp_gt_i32_e32 vcc_lo, 32, v4
	v_cndmask_b32_e32 v4, v2, v4, vcc_lo
	s_waitcnt lgkmcnt(0)
	v_dual_add_f32 v1, v1, v3 :: v_dual_lshlrev_b32 v4, 2, v4
	ds_bpermute_b32 v3, v4, v1
	v_xor_b32_e32 v4, 2, v2
	s_delay_alu instid0(VALU_DEP_1) | instskip(SKIP_2) | instid1(VALU_DEP_1)
	v_cmp_gt_i32_e32 vcc_lo, 32, v4
	s_waitcnt lgkmcnt(0)
	v_dual_cndmask_b32 v4, v2, v4 :: v_dual_add_f32 v1, v1, v3
	v_lshlrev_b32_e32 v4, 2, v4
	ds_bpermute_b32 v3, v4, v1
	v_xor_b32_e32 v4, 1, v2
	s_delay_alu instid0(VALU_DEP_1) | instskip(SKIP_4) | instid1(VALU_DEP_2)
	v_cmp_gt_i32_e32 vcc_lo, 32, v4
	v_cndmask_b32_e32 v4, v2, v4, vcc_lo
	v_cmp_eq_u32_e32 vcc_lo, 0, v6
	s_and_b32 s0, vcc_lo, s0
	s_waitcnt lgkmcnt(0)
	v_dual_add_f32 v2, v1, v3 :: v_dual_lshlrev_b32 v1, 2, v4
	ds_bpermute_b32 v3, v1, v2
	s_and_b32 exec_lo, exec_lo, s0
	s_cbranch_execz .LBB160_14
; %bb.13:
	s_waitcnt lgkmcnt(0)
	v_dual_mov_b32 v1, 0 :: v_dual_add_f32 v2, v2, v3
	s_mov_b32 s15, 0
	s_delay_alu instid0(SALU_CYCLE_1) | instskip(NEXT) | instid1(VALU_DEP_1)
	s_lshl_b64 s[0:1], s[14:15], 7
	v_lshlrev_b64 v[0:1], 2, v[0:1]
	s_add_u32 s0, s2, s0
	s_addc_u32 s1, s3, s1
	s_delay_alu instid0(VALU_DEP_1) | instskip(NEXT) | instid1(VALU_DEP_2)
	v_add_co_u32 v0, vcc_lo, s0, v0
	v_add_co_ci_u32_e32 v1, vcc_lo, s1, v1, vcc_lo
	global_store_b32 v[0:1], v2, off
.LBB160_14:
	s_nop 0
	s_sendmsg sendmsg(MSG_DEALLOC_VGPRS)
	s_endpgm
	.section	.rodata,"a",@progbits
	.p2align	6, 0x0
	.amdhsa_kernel _ZN2at6native12_GLOBAL__N_135GammaBetaBackwardCUDAKernelTemplateIffLj32ELj32ELj256ELb0ELb1ELb1EEEvllPKT_S5_PKT0_S8_PS3_S9_
		.amdhsa_group_segment_fixed_size 0
		.amdhsa_private_segment_fixed_size 0
		.amdhsa_kernarg_size 320
		.amdhsa_user_sgpr_count 14
		.amdhsa_user_sgpr_dispatch_ptr 0
		.amdhsa_user_sgpr_queue_ptr 0
		.amdhsa_user_sgpr_kernarg_segment_ptr 1
		.amdhsa_user_sgpr_dispatch_id 0
		.amdhsa_user_sgpr_private_segment_size 0
		.amdhsa_wavefront_size32 1
		.amdhsa_uses_dynamic_stack 0
		.amdhsa_enable_private_segment 0
		.amdhsa_system_sgpr_workgroup_id_x 1
		.amdhsa_system_sgpr_workgroup_id_y 1
		.amdhsa_system_sgpr_workgroup_id_z 0
		.amdhsa_system_sgpr_workgroup_info 0
		.amdhsa_system_vgpr_workitem_id 1
		.amdhsa_next_free_vgpr 40
		.amdhsa_next_free_sgpr 22
		.amdhsa_reserve_vcc 1
		.amdhsa_float_round_mode_32 0
		.amdhsa_float_round_mode_16_64 0
		.amdhsa_float_denorm_mode_32 3
		.amdhsa_float_denorm_mode_16_64 3
		.amdhsa_dx10_clamp 1
		.amdhsa_ieee_mode 1
		.amdhsa_fp16_overflow 0
		.amdhsa_workgroup_processor_mode 1
		.amdhsa_memory_ordered 1
		.amdhsa_forward_progress 0
		.amdhsa_shared_vgpr_count 0
		.amdhsa_exception_fp_ieee_invalid_op 0
		.amdhsa_exception_fp_denorm_src 0
		.amdhsa_exception_fp_ieee_div_zero 0
		.amdhsa_exception_fp_ieee_overflow 0
		.amdhsa_exception_fp_ieee_underflow 0
		.amdhsa_exception_fp_ieee_inexact 0
		.amdhsa_exception_int_div_zero 0
	.end_amdhsa_kernel
	.section	.text._ZN2at6native12_GLOBAL__N_135GammaBetaBackwardCUDAKernelTemplateIffLj32ELj32ELj256ELb0ELb1ELb1EEEvllPKT_S5_PKT0_S8_PS3_S9_,"axG",@progbits,_ZN2at6native12_GLOBAL__N_135GammaBetaBackwardCUDAKernelTemplateIffLj32ELj32ELj256ELb0ELb1ELb1EEEvllPKT_S5_PKT0_S8_PS3_S9_,comdat
.Lfunc_end160:
	.size	_ZN2at6native12_GLOBAL__N_135GammaBetaBackwardCUDAKernelTemplateIffLj32ELj32ELj256ELb0ELb1ELb1EEEvllPKT_S5_PKT0_S8_PS3_S9_, .Lfunc_end160-_ZN2at6native12_GLOBAL__N_135GammaBetaBackwardCUDAKernelTemplateIffLj32ELj32ELj256ELb0ELb1ELb1EEEvllPKT_S5_PKT0_S8_PS3_S9_
                                        ; -- End function
	.section	.AMDGPU.csdata,"",@progbits
; Kernel info:
; codeLenInByte = 1460
; NumSgprs: 24
; NumVgprs: 40
; ScratchSize: 0
; MemoryBound: 0
; FloatMode: 240
; IeeeMode: 1
; LDSByteSize: 0 bytes/workgroup (compile time only)
; SGPRBlocks: 2
; VGPRBlocks: 4
; NumSGPRsForWavesPerEU: 24
; NumVGPRsForWavesPerEU: 40
; Occupancy: 16
; WaveLimiterHint : 0
; COMPUTE_PGM_RSRC2:SCRATCH_EN: 0
; COMPUTE_PGM_RSRC2:USER_SGPR: 14
; COMPUTE_PGM_RSRC2:TRAP_HANDLER: 0
; COMPUTE_PGM_RSRC2:TGID_X_EN: 1
; COMPUTE_PGM_RSRC2:TGID_Y_EN: 1
; COMPUTE_PGM_RSRC2:TGID_Z_EN: 0
; COMPUTE_PGM_RSRC2:TIDIG_COMP_CNT: 1
	.section	.text._ZN2at6native12_GLOBAL__N_135GammaBetaBackwardCUDAKernelTemplateIffLj32ELj32ELj256ELb0ELb0ELb1EEEvllPKT_S5_PKT0_S8_PS3_S9_,"axG",@progbits,_ZN2at6native12_GLOBAL__N_135GammaBetaBackwardCUDAKernelTemplateIffLj32ELj32ELj256ELb0ELb0ELb1EEEvllPKT_S5_PKT0_S8_PS3_S9_,comdat
	.globl	_ZN2at6native12_GLOBAL__N_135GammaBetaBackwardCUDAKernelTemplateIffLj32ELj32ELj256ELb0ELb0ELb1EEEvllPKT_S5_PKT0_S8_PS3_S9_ ; -- Begin function _ZN2at6native12_GLOBAL__N_135GammaBetaBackwardCUDAKernelTemplateIffLj32ELj32ELj256ELb0ELb0ELb1EEEvllPKT_S5_PKT0_S8_PS3_S9_
	.p2align	8
	.type	_ZN2at6native12_GLOBAL__N_135GammaBetaBackwardCUDAKernelTemplateIffLj32ELj32ELj256ELb0ELb0ELb1EEEvllPKT_S5_PKT0_S8_PS3_S9_,@function
_ZN2at6native12_GLOBAL__N_135GammaBetaBackwardCUDAKernelTemplateIffLj32ELj32ELj256ELb0ELb0ELb1EEEvllPKT_S5_PKT0_S8_PS3_S9_: ; @_ZN2at6native12_GLOBAL__N_135GammaBetaBackwardCUDAKernelTemplateIffLj32ELj32ELj256ELb0ELb0ELb1EEEvllPKT_S5_PKT0_S8_PS3_S9_
; %bb.0:
	s_clause 0x1
	s_load_b256 s[4:11], s[0:1], 0x0
	s_load_b64 s[12:13], s[0:1], 0x28
	s_lshl_b32 s33, s14, 5
	s_mov_b32 s25, 0
	s_or_b32 s24, s33, 31
	s_waitcnt lgkmcnt(0)
	v_cmp_ge_i64_e64 s2, s[24:25], s[6:7]
	s_lshl_b32 s24, s15, 8
	s_delay_alu instid0(SALU_CYCLE_1) | instskip(NEXT) | instid1(VALU_DEP_2)
	v_cmp_lt_i64_e64 s15, s[24:25], s[4:5]
	s_and_b32 vcc_lo, exec_lo, s2
	s_delay_alu instid0(VALU_DEP_1) | instskip(NEXT) | instid1(VALU_DEP_1)
	v_cndmask_b32_e64 v1, 0, 1, s15
	v_cmp_ne_u32_e64 s2, 1, v1
	s_cbranch_vccz .LBB161_49
; %bb.1:
	v_mov_b32_e32 v1, 0
	s_delay_alu instid0(VALU_DEP_2)
	s_and_b32 vcc_lo, exec_lo, s2
	s_cbranch_vccnz .LBB161_50
; %bb.2:
	v_bfe_u32 v27, v0, 10, 10
	s_load_b32 s3, s[0:1], 0x44
	v_dual_mov_b32 v2, 0 :: v_dual_and_b32 v29, 0x3ff, v0
	s_add_u32 s26, s0, 64
	s_delay_alu instid0(VALU_DEP_2) | instskip(NEXT) | instid1(VALU_DEP_2)
	v_lshlrev_b32_e32 v28, 3, v27
	v_dual_mov_b32 v62, 0 :: v_dual_add_nc_u32 v1, s33, v29
	s_addc_u32 s27, s1, 0
	s_mov_b32 s16, 0
	s_delay_alu instid0(VALU_DEP_2) | instskip(NEXT) | instid1(VALU_DEP_1)
	v_add_co_u32 v9, s2, v28, s24
	v_add_co_ci_u32_e64 v10, null, 0, 0, s2
	v_cmp_gt_i64_e64 s2, s[6:7], v[1:2]
	s_delay_alu instid0(VALU_DEP_3) | instskip(NEXT) | instid1(VALU_DEP_3)
	v_add_co_u32 v5, vcc_lo, v9, 7
	v_add_co_ci_u32_e32 v3, vcc_lo, 0, v10, vcc_lo
	v_add_co_u32 v8, vcc_lo, v9, 6
	s_delay_alu instid0(VALU_DEP_3) | instskip(NEXT) | instid1(VALU_DEP_3)
	v_mul_lo_u32 v6, s7, v5
	v_mul_lo_u32 v7, s6, v3
	v_mad_u64_u32 v[3:4], null, s6, v5, 0
	v_add_co_ci_u32_e32 v5, vcc_lo, 0, v10, vcc_lo
	v_lshlrev_b64 v[25:26], 2, v[1:2]
	v_mul_lo_u32 v1, s7, v8
	s_waitcnt lgkmcnt(0)
	s_lshl_b32 s36, s3, 8
	s_mov_b64 s[34:35], s[24:25]
	s_delay_alu instid0(VALU_DEP_4) | instskip(SKIP_3) | instid1(VALU_DEP_3)
	v_add3_u32 v4, v4, v7, v6
	v_mul_lo_u32 v7, s6, v5
	v_mad_u64_u32 v[5:6], null, s6, v8, 0
	s_mul_i32 s3, s7, s36
	v_lshlrev_b64 v[3:4], 2, v[3:4]
	s_mul_hi_u32 s17, s6, s36
	s_mul_i32 s18, s6, s36
	s_add_i32 s19, s17, s3
	s_delay_alu instid0(VALU_DEP_2) | instskip(NEXT) | instid1(VALU_DEP_2)
	v_add3_u32 v6, v6, v7, v1
	v_add_co_u32 v30, vcc_lo, s8, v3
	v_add_co_ci_u32_e32 v31, vcc_lo, s9, v4, vcc_lo
	v_add_co_u32 v1, vcc_lo, v9, 5
	v_add_co_u32 v32, s3, s10, v3
	s_delay_alu instid0(VALU_DEP_1) | instskip(SKIP_4) | instid1(VALU_DEP_3)
	v_add_co_ci_u32_e64 v33, s3, s11, v4, s3
	v_lshlrev_b64 v[3:4], 2, v[5:6]
	v_add_co_ci_u32_e32 v5, vcc_lo, 0, v10, vcc_lo
	v_add_co_u32 v12, vcc_lo, v9, 4
	v_mul_lo_u32 v11, s7, v1
	v_mul_lo_u32 v13, s6, v5
	v_mad_u64_u32 v[5:6], null, s6, v1, 0
	v_add_co_ci_u32_e32 v7, vcc_lo, 0, v10, vcc_lo
	v_mul_lo_u32 v1, s7, v12
	v_add_co_u32 v34, vcc_lo, s8, v3
	s_delay_alu instid0(VALU_DEP_3)
	v_mul_lo_u32 v14, s6, v7
	v_mad_u64_u32 v[7:8], null, s6, v12, 0
	v_add3_u32 v6, v6, v13, v11
	v_add_co_ci_u32_e32 v35, vcc_lo, s9, v4, vcc_lo
	v_add_co_u32 v36, vcc_lo, s10, v3
	v_add_co_ci_u32_e32 v37, vcc_lo, s11, v4, vcc_lo
	s_delay_alu instid0(VALU_DEP_4) | instskip(SKIP_3) | instid1(VALU_DEP_4)
	v_lshlrev_b64 v[3:4], 2, v[5:6]
	v_add3_u32 v8, v8, v14, v1
	v_add_co_u32 v1, vcc_lo, v9, 3
	v_add_co_ci_u32_e32 v11, vcc_lo, 0, v10, vcc_lo
	v_add_co_u32 v38, vcc_lo, s8, v3
	s_delay_alu instid0(VALU_DEP_4)
	v_lshlrev_b64 v[5:6], 2, v[7:8]
	v_add_co_ci_u32_e32 v39, vcc_lo, s9, v4, vcc_lo
	v_mul_lo_u32 v12, s7, v1
	v_mul_lo_u32 v11, s6, v11
	v_mad_u64_u32 v[7:8], null, s6, v1, 0
	v_add_co_u32 v40, vcc_lo, s10, v3
	v_add_co_ci_u32_e32 v41, vcc_lo, s11, v4, vcc_lo
	v_add_co_u32 v42, vcc_lo, s8, v5
	v_add_co_ci_u32_e32 v43, vcc_lo, s9, v6, vcc_lo
	v_add_co_u32 v1, vcc_lo, v9, 2
	v_add3_u32 v8, v8, v11, v12
	v_add_co_ci_u32_e32 v11, vcc_lo, 0, v10, vcc_lo
	v_add_co_u32 v44, vcc_lo, s10, v5
	v_add_co_ci_u32_e32 v45, vcc_lo, s11, v6, vcc_lo
	v_mul_lo_u32 v12, s7, v1
	s_delay_alu instid0(VALU_DEP_4)
	v_mul_lo_u32 v11, s6, v11
	v_mad_u64_u32 v[5:6], null, s6, v1, 0
	v_lshlrev_b64 v[3:4], 2, v[7:8]
	v_mul_lo_u32 v1, s7, v9
	v_mul_lo_u32 v10, s6, v10
	v_mad_u64_u32 v[7:8], null, s6, v9, 0
	s_lshl_b64 s[28:29], s[18:19], 2
	s_delay_alu instid0(VALU_DEP_4)
	v_add_co_u32 v46, vcc_lo, s8, v3
	v_add3_u32 v6, v6, v11, v12
	v_add_co_ci_u32_e32 v47, vcc_lo, s9, v4, vcc_lo
	v_add_co_u32 v48, vcc_lo, s10, v3
	v_add3_u32 v8, v8, v10, v1
	v_add_co_ci_u32_e32 v49, vcc_lo, s11, v4, vcc_lo
	v_lshlrev_b64 v[3:4], 2, v[5:6]
	v_add_co_u32 v5, vcc_lo, v7, s6
	s_delay_alu instid0(VALU_DEP_4) | instskip(SKIP_1) | instid1(VALU_DEP_3)
	v_add_co_ci_u32_e32 v6, vcc_lo, s7, v8, vcc_lo
	s_add_u32 s30, s24, 0xff
	v_add_co_u32 v50, vcc_lo, s8, v3
	s_delay_alu instid0(VALU_DEP_2) | instskip(SKIP_3) | instid1(VALU_DEP_4)
	v_lshlrev_b64 v[5:6], 2, v[5:6]
	v_add_co_ci_u32_e32 v51, vcc_lo, s9, v4, vcc_lo
	v_add_co_u32 v52, vcc_lo, s10, v3
	v_add_co_ci_u32_e32 v53, vcc_lo, s11, v4, vcc_lo
	v_add_co_u32 v54, vcc_lo, s8, v5
	v_lshlrev_b64 v[3:4], 2, v[7:8]
	v_add_co_ci_u32_e32 v55, vcc_lo, s9, v6, vcc_lo
	v_add_co_u32 v56, vcc_lo, s10, v5
	v_add_co_ci_u32_e32 v57, vcc_lo, s11, v6, vcc_lo
	s_delay_alu instid0(VALU_DEP_4)
	v_add_co_u32 v58, vcc_lo, s8, v3
	v_add_co_ci_u32_e32 v59, vcc_lo, s9, v4, vcc_lo
	v_add_co_u32 v60, vcc_lo, s10, v3
	v_add_co_ci_u32_e32 v61, vcc_lo, s11, v4, vcc_lo
	s_addc_u32 s31, 0, 0
.LBB161_3:                              ; =>This Inner Loop Header: Depth=1
	s_delay_alu instid0(SALU_CYCLE_1) | instskip(SKIP_1) | instid1(VALU_DEP_1)
	v_cmp_ge_i64_e64 s3, s[30:31], s[4:5]
	v_add_co_u32 v63, s17, v28, s30
	v_add_co_ci_u32_e64 v64, null, 0, s31, s17
	s_delay_alu instid0(VALU_DEP_3)
	s_and_b32 vcc_lo, exec_lo, s3
	s_cbranch_vccz .LBB161_25
; %bb.4:                                ;   in Loop: Header=BB161_3 Depth=1
	s_load_b32 s3, s[26:27], 0xc
	v_mov_b32_e32 v65, 0
	s_waitcnt lgkmcnt(0)
	s_and_b32 s3, s3, 0xffff
	s_delay_alu instid0(SALU_CYCLE_1) | instskip(SKIP_1) | instid1(VALU_DEP_1)
	v_mad_u32_u24 v1, v27, s3, v29
	s_mov_b32 s3, exec_lo
	v_and_b32_e32 v1, 31, v1
	s_delay_alu instid0(VALU_DEP_1)
	v_cmpx_gt_u32_e32 8, v1
	s_cbranch_execz .LBB161_8
; %bb.5:                                ;   in Loop: Header=BB161_3 Depth=1
	v_add_co_u32 v1, vcc_lo, v63, v1
	v_add_co_ci_u32_e32 v4, vcc_lo, 0, v64, vcc_lo
	v_mov_b32_e32 v65, 0
	s_delay_alu instid0(VALU_DEP_3) | instskip(NEXT) | instid1(VALU_DEP_3)
	v_add_co_u32 v3, vcc_lo, 0xffffff01, v1
	v_add_co_ci_u32_e32 v4, vcc_lo, -1, v4, vcc_lo
	s_mov_b32 s17, exec_lo
	s_delay_alu instid0(VALU_DEP_1)
	v_cmpx_gt_i64_e64 s[4:5], v[3:4]
	s_cbranch_execz .LBB161_7
; %bb.6:                                ;   in Loop: Header=BB161_3 Depth=1
	v_lshlrev_b64 v[3:4], 2, v[3:4]
	s_delay_alu instid0(VALU_DEP_1) | instskip(NEXT) | instid1(VALU_DEP_2)
	v_add_co_u32 v3, vcc_lo, s12, v3
	v_add_co_ci_u32_e32 v4, vcc_lo, s13, v4, vcc_lo
	global_load_b32 v65, v[3:4], off
.LBB161_7:                              ;   in Loop: Header=BB161_3 Depth=1
	s_or_b32 exec_lo, exec_lo, s17
.LBB161_8:                              ;   in Loop: Header=BB161_3 Depth=1
	s_delay_alu instid0(SALU_CYCLE_1)
	s_or_b32 exec_lo, exec_lo, s3
	v_add_co_u32 v3, vcc_lo, 0xffffff01, v63
	v_add_co_ci_u32_e32 v4, vcc_lo, -1, v64, vcc_lo
	s_mov_b32 s22, s16
	s_mov_b32 s23, s16
	;; [unrolled: 1-line block ×7, first 2 shown]
	v_dual_mov_b32 v9, s16 :: v_dual_mov_b32 v10, s17
	v_dual_mov_b32 v15, s22 :: v_dual_mov_b32 v16, s23
	;; [unrolled: 1-line block ×4, first 2 shown]
	v_cmp_gt_i64_e32 vcc_lo, s[4:5], v[3:4]
	s_delay_alu instid0(VALU_DEP_4) | instskip(NEXT) | instid1(VALU_DEP_3)
	v_dual_mov_b32 v24, v16 :: v_dual_mov_b32 v23, v15
	v_dual_mov_b32 v21, v13 :: v_dual_mov_b32 v22, v14
	;; [unrolled: 1-line block ×4, first 2 shown]
	s_and_b32 s17, s2, vcc_lo
	s_delay_alu instid0(SALU_CYCLE_1)
	s_and_saveexec_b32 s3, s17
	s_cbranch_execz .LBB161_10
; %bb.9:                                ;   in Loop: Header=BB161_3 Depth=1
	v_add_co_u32 v3, vcc_lo, v58, v25
	v_add_co_ci_u32_e32 v4, vcc_lo, v59, v26, vcc_lo
	v_mov_b32_e32 v8, v2
	v_mov_b32_e32 v5, v2
	;; [unrolled: 1-line block ×3, first 2 shown]
	global_load_b32 v1, v[3:4], off
	v_add_co_u32 v3, vcc_lo, v60, v25
	v_add_co_ci_u32_e32 v4, vcc_lo, v61, v26, vcc_lo
	v_mov_b32_e32 v7, v2
	v_mov_b32_e32 v15, v2
	global_load_b32 v9, v[3:4], off
	v_mov_b32_e32 v3, v2
	v_mov_b32_e32 v4, v2
	s_waitcnt vmcnt(1)
	v_dual_mov_b32 v11, v2 :: v_dual_mov_b32 v24, v8
	v_dual_mov_b32 v10, v2 :: v_dual_mov_b32 v23, v7
	;; [unrolled: 1-line block ×5, first 2 shown]
	v_mov_b32_e32 v16, v2
	v_mov_b32_e32 v22, v6
	v_dual_mov_b32 v18, v2 :: v_dual_mov_b32 v17, v1
.LBB161_10:                             ;   in Loop: Header=BB161_3 Depth=1
	s_or_b32 exec_lo, exec_lo, s3
	v_add_co_u32 v3, vcc_lo, 0xffffff02, v63
	v_add_co_ci_u32_e32 v4, vcc_lo, -1, v64, vcc_lo
	s_delay_alu instid0(VALU_DEP_1) | instskip(SKIP_1) | instid1(SALU_CYCLE_1)
	v_cmp_gt_i64_e32 vcc_lo, s[4:5], v[3:4]
	s_and_b32 s17, s2, vcc_lo
	s_and_saveexec_b32 s3, s17
	s_cbranch_execz .LBB161_12
; %bb.11:                               ;   in Loop: Header=BB161_3 Depth=1
	v_add_co_u32 v3, vcc_lo, v54, v25
	v_add_co_ci_u32_e32 v4, vcc_lo, v55, v26, vcc_lo
	v_add_co_u32 v5, vcc_lo, v56, v25
	v_add_co_ci_u32_e32 v6, vcc_lo, v57, v26, vcc_lo
	global_load_b32 v18, v[3:4], off
	global_load_b32 v10, v[5:6], off
.LBB161_12:                             ;   in Loop: Header=BB161_3 Depth=1
	s_or_b32 exec_lo, exec_lo, s3
	v_add_co_u32 v3, vcc_lo, 0xffffff03, v63
	v_add_co_ci_u32_e32 v4, vcc_lo, -1, v64, vcc_lo
	s_delay_alu instid0(VALU_DEP_1) | instskip(SKIP_1) | instid1(SALU_CYCLE_1)
	v_cmp_gt_i64_e32 vcc_lo, s[4:5], v[3:4]
	s_and_b32 s17, s2, vcc_lo
	s_and_saveexec_b32 s3, s17
	s_cbranch_execz .LBB161_14
; %bb.13:                               ;   in Loop: Header=BB161_3 Depth=1
	v_add_co_u32 v3, vcc_lo, v50, v25
	v_add_co_ci_u32_e32 v4, vcc_lo, v51, v26, vcc_lo
	v_add_co_u32 v5, vcc_lo, v52, v25
	v_add_co_ci_u32_e32 v6, vcc_lo, v53, v26, vcc_lo
	global_load_b32 v19, v[3:4], off
	global_load_b32 v11, v[5:6], off
.LBB161_14:                             ;   in Loop: Header=BB161_3 Depth=1
	;; [unrolled: 16-line block ×7, first 2 shown]
	s_or_b32 exec_lo, exec_lo, s3
	s_waitcnt vmcnt(0)
	ds_bpermute_b32 v1, v2, v65
	ds_bpermute_b32 v3, v2, v65 offset:4
	ds_bpermute_b32 v4, v2, v65 offset:8
	v_mul_f32_e32 v5, v9, v17
	ds_bpermute_b32 v6, v2, v65 offset:12
	v_mul_f32_e32 v7, v10, v18
	ds_bpermute_b32 v8, v2, v65 offset:16
	ds_bpermute_b32 v9, v2, v65 offset:20
	s_waitcnt lgkmcnt(5)
	v_fma_f32 v1, v5, v1, v62
	v_mul_f32_e32 v5, v11, v19
	s_waitcnt lgkmcnt(4)
	s_delay_alu instid0(VALU_DEP_2) | instskip(SKIP_2) | instid1(VALU_DEP_2)
	v_fmac_f32_e32 v1, v7, v3
	v_mul_f32_e32 v3, v12, v20
	s_waitcnt lgkmcnt(3)
	v_fmac_f32_e32 v1, v5, v4
	ds_bpermute_b32 v4, v2, v65 offset:24
	v_mul_f32_e32 v5, v13, v21
	s_waitcnt lgkmcnt(3)
	v_fmac_f32_e32 v1, v3, v6
	v_mul_f32_e32 v6, v14, v22
	ds_bpermute_b32 v3, v2, v65 offset:28
	s_waitcnt lgkmcnt(3)
	v_fmac_f32_e32 v1, v5, v8
	v_mul_f32_e32 v5, v15, v23
	s_waitcnt lgkmcnt(2)
	s_delay_alu instid0(VALU_DEP_2) | instskip(SKIP_1) | instid1(VALU_DEP_1)
	v_fmac_f32_e32 v1, v6, v9
	s_waitcnt lgkmcnt(1)
	v_fmac_f32_e32 v1, v5, v4
	s_branch .LBB161_40
.LBB161_25:                             ;   in Loop: Header=BB161_3 Depth=1
                                        ; implicit-def: $vgpr1
                                        ; implicit-def: $vgpr9_vgpr10_vgpr11_vgpr12_vgpr13_vgpr14_vgpr15_vgpr16
                                        ; implicit-def: $vgpr17_vgpr18_vgpr19_vgpr20_vgpr21_vgpr22_vgpr23_vgpr24
                                        ; implicit-def: $vgpr3
	s_cbranch_execz .LBB161_40
; %bb.26:                               ;   in Loop: Header=BB161_3 Depth=1
	s_load_b32 s3, s[26:27], 0x0
	v_mov_b32_e32 v65, 0
	s_waitcnt lgkmcnt(0)
	s_cmp_lt_u32 s14, s3
	s_cselect_b32 s3, 12, 18
	s_delay_alu instid0(SALU_CYCLE_1)
	s_add_u32 s18, s26, s3
	s_addc_u32 s19, s27, 0
	s_mov_b32 s3, exec_lo
	global_load_u16 v1, v2, s[18:19]
	s_waitcnt vmcnt(0)
	v_mad_u32_u24 v1, v27, v1, v29
	s_delay_alu instid0(VALU_DEP_1) | instskip(NEXT) | instid1(VALU_DEP_1)
	v_and_b32_e32 v1, 31, v1
	v_cmpx_gt_u32_e32 8, v1
	s_cbranch_execz .LBB161_30
; %bb.27:                               ;   in Loop: Header=BB161_3 Depth=1
	v_add_co_u32 v1, vcc_lo, v63, v1
	v_add_co_ci_u32_e32 v4, vcc_lo, 0, v64, vcc_lo
	v_mov_b32_e32 v65, 0
	s_delay_alu instid0(VALU_DEP_3) | instskip(NEXT) | instid1(VALU_DEP_3)
	v_add_co_u32 v3, vcc_lo, 0xffffff01, v1
	v_add_co_ci_u32_e32 v4, vcc_lo, -1, v4, vcc_lo
	s_mov_b32 s17, exec_lo
	s_delay_alu instid0(VALU_DEP_1)
	v_cmpx_gt_i64_e64 s[4:5], v[3:4]
	s_cbranch_execz .LBB161_29
; %bb.28:                               ;   in Loop: Header=BB161_3 Depth=1
	v_lshlrev_b64 v[3:4], 2, v[3:4]
	s_delay_alu instid0(VALU_DEP_1) | instskip(NEXT) | instid1(VALU_DEP_2)
	v_add_co_u32 v3, vcc_lo, s12, v3
	v_add_co_ci_u32_e32 v4, vcc_lo, s13, v4, vcc_lo
	global_load_b32 v65, v[3:4], off
.LBB161_29:                             ;   in Loop: Header=BB161_3 Depth=1
	s_or_b32 exec_lo, exec_lo, s17
.LBB161_30:                             ;   in Loop: Header=BB161_3 Depth=1
	s_delay_alu instid0(SALU_CYCLE_1)
	s_or_b32 exec_lo, exec_lo, s3
	s_mov_b32 s22, s16
	s_mov_b32 s23, s16
	;; [unrolled: 1-line block ×7, first 2 shown]
	v_dual_mov_b32 v9, s16 :: v_dual_mov_b32 v10, s17
	v_dual_mov_b32 v15, s22 :: v_dual_mov_b32 v16, s23
	;; [unrolled: 1-line block ×4, first 2 shown]
	s_delay_alu instid0(VALU_DEP_3) | instskip(NEXT) | instid1(VALU_DEP_3)
	v_dual_mov_b32 v24, v16 :: v_dual_mov_b32 v23, v15
	v_dual_mov_b32 v20, v12 :: v_dual_mov_b32 v19, v11
	s_delay_alu instid0(VALU_DEP_3)
	v_dual_mov_b32 v22, v14 :: v_dual_mov_b32 v21, v13
	v_dual_mov_b32 v18, v10 :: v_dual_mov_b32 v17, v9
	s_and_saveexec_b32 s3, s2
	s_cbranch_execnz .LBB161_42
; %bb.31:                               ;   in Loop: Header=BB161_3 Depth=1
	s_or_b32 exec_lo, exec_lo, s3
	s_and_saveexec_b32 s3, s2
	s_cbranch_execnz .LBB161_43
.LBB161_32:                             ;   in Loop: Header=BB161_3 Depth=1
	s_or_b32 exec_lo, exec_lo, s3
	s_and_saveexec_b32 s3, s2
	s_cbranch_execnz .LBB161_44
.LBB161_33:                             ;   in Loop: Header=BB161_3 Depth=1
	s_or_b32 exec_lo, exec_lo, s3
	s_and_saveexec_b32 s3, s2
	s_cbranch_execnz .LBB161_45
.LBB161_34:                             ;   in Loop: Header=BB161_3 Depth=1
	s_or_b32 exec_lo, exec_lo, s3
	s_and_saveexec_b32 s3, s2
	s_cbranch_execnz .LBB161_46
.LBB161_35:                             ;   in Loop: Header=BB161_3 Depth=1
	s_or_b32 exec_lo, exec_lo, s3
	s_and_saveexec_b32 s3, s2
	s_cbranch_execnz .LBB161_47
.LBB161_36:                             ;   in Loop: Header=BB161_3 Depth=1
	s_or_b32 exec_lo, exec_lo, s3
	s_and_saveexec_b32 s3, s2
	s_cbranch_execnz .LBB161_48
.LBB161_37:                             ;   in Loop: Header=BB161_3 Depth=1
	s_or_b32 exec_lo, exec_lo, s3
	s_and_saveexec_b32 s3, s2
	s_cbranch_execz .LBB161_39
.LBB161_38:                             ;   in Loop: Header=BB161_3 Depth=1
	v_add_co_u32 v3, vcc_lo, v30, v25
	v_add_co_ci_u32_e32 v4, vcc_lo, v31, v26, vcc_lo
	v_add_co_u32 v5, vcc_lo, v32, v25
	v_add_co_ci_u32_e32 v6, vcc_lo, v33, v26, vcc_lo
	global_load_b32 v24, v[3:4], off
	global_load_b32 v16, v[5:6], off
.LBB161_39:                             ;   in Loop: Header=BB161_3 Depth=1
	s_or_b32 exec_lo, exec_lo, s3
	s_waitcnt vmcnt(0)
	ds_bpermute_b32 v1, v2, v65
	ds_bpermute_b32 v3, v2, v65 offset:4
	ds_bpermute_b32 v4, v2, v65 offset:8
	;; [unrolled: 1-line block ×3, first 2 shown]
	v_mul_f32_e32 v7, v10, v18
	v_mul_f32_e32 v5, v9, v17
	ds_bpermute_b32 v8, v2, v65 offset:16
	s_waitcnt lgkmcnt(4)
	v_dual_fmac_f32 v62, v5, v1 :: v_dual_mul_f32 v1, v11, v19
	ds_bpermute_b32 v5, v2, v65 offset:20
	s_waitcnt lgkmcnt(4)
	v_dual_fmac_f32 v62, v7, v3 :: v_dual_mul_f32 v3, v12, v20
	s_waitcnt lgkmcnt(3)
	s_delay_alu instid0(VALU_DEP_1)
	v_fmac_f32_e32 v62, v1, v4
	ds_bpermute_b32 v1, v2, v65 offset:24
	v_mul_f32_e32 v4, v13, v21
	s_waitcnt lgkmcnt(3)
	v_fmac_f32_e32 v62, v3, v6
	v_mul_f32_e32 v6, v14, v22
	ds_bpermute_b32 v3, v2, v65 offset:28
	s_waitcnt lgkmcnt(3)
	v_fmac_f32_e32 v62, v4, v8
	v_mul_f32_e32 v4, v15, v23
	s_waitcnt lgkmcnt(2)
	s_delay_alu instid0(VALU_DEP_2) | instskip(SKIP_1) | instid1(VALU_DEP_1)
	v_fmac_f32_e32 v62, v6, v5
	s_waitcnt lgkmcnt(1)
	v_fmac_f32_e32 v62, v4, v1
	s_delay_alu instid0(VALU_DEP_1)
	v_mov_b32_e32 v1, v62
.LBB161_40:                             ;   in Loop: Header=BB161_3 Depth=1
	v_add_co_u32 v30, vcc_lo, v30, s28
	v_add_co_ci_u32_e32 v31, vcc_lo, s29, v31, vcc_lo
	v_add_co_u32 v32, vcc_lo, v32, s28
	v_add_co_ci_u32_e32 v33, vcc_lo, s29, v33, vcc_lo
	;; [unrolled: 2-line block ×13, first 2 shown]
	v_add_co_u32 v56, vcc_lo, v56, s28
	s_add_u32 s34, s34, s36
	v_add_co_ci_u32_e32 v57, vcc_lo, s29, v57, vcc_lo
	v_mul_f32_e32 v4, v24, v16
	s_addc_u32 s35, s35, 0
	v_add_co_u32 v58, vcc_lo, v58, s28
	v_cmp_lt_i64_e64 s3, s[34:35], s[4:5]
	v_add_co_ci_u32_e32 v59, vcc_lo, s29, v59, vcc_lo
	v_add_co_u32 v60, vcc_lo, v60, s28
	s_waitcnt lgkmcnt(0)
	v_fmac_f32_e32 v1, v4, v3
	v_add_co_ci_u32_e32 v61, vcc_lo, s29, v61, vcc_lo
	s_add_u32 s30, s30, s36
	s_addc_u32 s31, s31, 0
	s_and_b32 vcc_lo, exec_lo, s3
	s_cbranch_vccz .LBB161_50
; %bb.41:                               ;   in Loop: Header=BB161_3 Depth=1
	v_mov_b32_e32 v62, v1
	s_branch .LBB161_3
.LBB161_42:                             ;   in Loop: Header=BB161_3 Depth=1
	v_add_co_u32 v3, vcc_lo, v58, v25
	v_add_co_ci_u32_e32 v4, vcc_lo, v59, v26, vcc_lo
	v_mov_b32_e32 v8, v2
	v_mov_b32_e32 v5, v2
	;; [unrolled: 1-line block ×3, first 2 shown]
	global_load_b32 v1, v[3:4], off
	v_add_co_u32 v3, vcc_lo, v60, v25
	v_add_co_ci_u32_e32 v4, vcc_lo, v61, v26, vcc_lo
	v_mov_b32_e32 v7, v2
	v_mov_b32_e32 v15, v2
	global_load_b32 v9, v[3:4], off
	v_mov_b32_e32 v3, v2
	v_mov_b32_e32 v4, v2
	s_waitcnt vmcnt(1)
	v_dual_mov_b32 v11, v2 :: v_dual_mov_b32 v24, v8
	v_dual_mov_b32 v10, v2 :: v_dual_mov_b32 v23, v7
	;; [unrolled: 1-line block ×5, first 2 shown]
	v_mov_b32_e32 v16, v2
	v_mov_b32_e32 v22, v6
	v_dual_mov_b32 v18, v2 :: v_dual_mov_b32 v17, v1
	s_or_b32 exec_lo, exec_lo, s3
	s_and_saveexec_b32 s3, s2
	s_cbranch_execz .LBB161_32
.LBB161_43:                             ;   in Loop: Header=BB161_3 Depth=1
	v_add_co_u32 v3, vcc_lo, v54, v25
	v_add_co_ci_u32_e32 v4, vcc_lo, v55, v26, vcc_lo
	v_add_co_u32 v5, vcc_lo, v56, v25
	v_add_co_ci_u32_e32 v6, vcc_lo, v57, v26, vcc_lo
	global_load_b32 v18, v[3:4], off
	global_load_b32 v10, v[5:6], off
	s_or_b32 exec_lo, exec_lo, s3
	s_and_saveexec_b32 s3, s2
	s_cbranch_execz .LBB161_33
.LBB161_44:                             ;   in Loop: Header=BB161_3 Depth=1
	v_add_co_u32 v3, vcc_lo, v50, v25
	v_add_co_ci_u32_e32 v4, vcc_lo, v51, v26, vcc_lo
	v_add_co_u32 v5, vcc_lo, v52, v25
	v_add_co_ci_u32_e32 v6, vcc_lo, v53, v26, vcc_lo
	global_load_b32 v19, v[3:4], off
	global_load_b32 v11, v[5:6], off
	s_or_b32 exec_lo, exec_lo, s3
	s_and_saveexec_b32 s3, s2
	s_cbranch_execz .LBB161_34
.LBB161_45:                             ;   in Loop: Header=BB161_3 Depth=1
	v_add_co_u32 v3, vcc_lo, v46, v25
	v_add_co_ci_u32_e32 v4, vcc_lo, v47, v26, vcc_lo
	v_add_co_u32 v5, vcc_lo, v48, v25
	v_add_co_ci_u32_e32 v6, vcc_lo, v49, v26, vcc_lo
	global_load_b32 v20, v[3:4], off
	global_load_b32 v12, v[5:6], off
	s_or_b32 exec_lo, exec_lo, s3
	s_and_saveexec_b32 s3, s2
	s_cbranch_execz .LBB161_35
.LBB161_46:                             ;   in Loop: Header=BB161_3 Depth=1
	v_add_co_u32 v3, vcc_lo, v42, v25
	v_add_co_ci_u32_e32 v4, vcc_lo, v43, v26, vcc_lo
	v_add_co_u32 v5, vcc_lo, v44, v25
	v_add_co_ci_u32_e32 v6, vcc_lo, v45, v26, vcc_lo
	global_load_b32 v21, v[3:4], off
	global_load_b32 v13, v[5:6], off
	s_or_b32 exec_lo, exec_lo, s3
	s_and_saveexec_b32 s3, s2
	s_cbranch_execz .LBB161_36
.LBB161_47:                             ;   in Loop: Header=BB161_3 Depth=1
	v_add_co_u32 v3, vcc_lo, v38, v25
	v_add_co_ci_u32_e32 v4, vcc_lo, v39, v26, vcc_lo
	v_add_co_u32 v5, vcc_lo, v40, v25
	v_add_co_ci_u32_e32 v6, vcc_lo, v41, v26, vcc_lo
	global_load_b32 v22, v[3:4], off
	global_load_b32 v14, v[5:6], off
	s_or_b32 exec_lo, exec_lo, s3
	s_and_saveexec_b32 s3, s2
	s_cbranch_execz .LBB161_37
.LBB161_48:                             ;   in Loop: Header=BB161_3 Depth=1
	v_add_co_u32 v3, vcc_lo, v34, v25
	v_add_co_ci_u32_e32 v4, vcc_lo, v35, v26, vcc_lo
	v_add_co_u32 v5, vcc_lo, v36, v25
	v_add_co_ci_u32_e32 v6, vcc_lo, v37, v26, vcc_lo
	global_load_b32 v23, v[3:4], off
	global_load_b32 v15, v[5:6], off
	s_or_b32 exec_lo, exec_lo, s3
	s_and_saveexec_b32 s3, s2
	s_cbranch_execnz .LBB161_38
	s_branch .LBB161_39
.LBB161_49:
                                        ; implicit-def: $vgpr1
	s_branch .LBB161_51
.LBB161_50:
	s_cbranch_execnz .LBB161_83
.LBB161_51:
	v_mov_b32_e32 v1, 0
	s_and_not1_b32 vcc_lo, exec_lo, s15
	s_cbranch_vccnz .LBB161_83
; %bb.52:
	s_load_b32 s2, s[0:1], 0x44
	v_dual_mov_b32 v2, 0 :: v_dual_and_b32 v55, 0x3ff, v0
	v_bfe_u32 v56, v0, 10, 10
	s_add_u32 s26, s0, 64
	s_addc_u32 s27, s1, 0
	s_delay_alu instid0(VALU_DEP_2) | instskip(NEXT) | instid1(VALU_DEP_2)
	v_dual_mov_b32 v90, 0 :: v_dual_add_nc_u32 v1, s33, v55
	v_lshlrev_b32_e32 v3, 5, v56
	v_lshlrev_b32_e32 v57, 3, v56
	s_delay_alu instid0(VALU_DEP_3)
	v_lshlrev_b64 v[25:26], 2, v[1:2]
	s_waitcnt lgkmcnt(0)
	s_lshl_b32 s15, s2, 8
	s_add_u32 s28, s24, 0xff
	s_addc_u32 s29, 0, 0
	s_lshl_b64 s[2:3], s[24:25], 2
	s_mul_i32 s16, s7, s15
	v_add_co_u32 v1, s2, v3, s2
	s_delay_alu instid0(VALU_DEP_1) | instskip(SKIP_1) | instid1(VALU_DEP_3)
	v_add_co_ci_u32_e64 v3, null, 0, s3, s2
	v_add_co_u32 v74, s3, v57, s24
	v_add_co_u32 v7, vcc_lo, v1, 4
	s_delay_alu instid0(VALU_DEP_3) | instskip(SKIP_3) | instid1(VALU_DEP_4)
	v_add_co_ci_u32_e32 v4, vcc_lo, 0, v3, vcc_lo
	v_add_co_u32 v8, vcc_lo, v1, 8
	v_add_co_ci_u32_e32 v5, vcc_lo, 0, v3, vcc_lo
	v_add_co_u32 v11, vcc_lo, v1, 12
	v_mul_lo_u32 v9, s6, v4
	v_add_co_ci_u32_e32 v4, vcc_lo, 0, v3, vcc_lo
	v_add_co_u32 v14, vcc_lo, v1, 16
	v_mul_lo_u32 v12, s6, v5
	;; [unrolled: 3-line block ×4, first 2 shown]
	v_add_co_ci_u32_e32 v5, vcc_lo, 0, v3, vcc_lo
	v_add_co_ci_u32_e64 v75, null, 0, 0, s3
	v_add_co_u32 v1, vcc_lo, v1, 28
	v_mul_lo_u32 v21, s6, v4
	s_delay_alu instid0(VALU_DEP_4) | instskip(SKIP_4) | instid1(VALU_DEP_4)
	v_mul_lo_u32 v23, s6, v5
	v_add_co_ci_u32_e32 v5, vcc_lo, 0, v3, vcc_lo
	v_mul_lo_u32 v6, s7, v74
	v_mul_lo_u32 v41, s6, v75
	v_mad_u64_u32 v[3:4], null, s6, v74, 0
	v_mul_lo_u32 v60, s6, v5
	v_mad_u64_u32 v[27:28], null, s6, v7, s[8:9]
	;; [unrolled: 2-line block ×3, first 2 shown]
	v_add3_u32 v4, v4, v41, v6
	v_mad_u64_u32 v[41:42], null, s6, v7, s[10:11]
	v_mul_lo_u32 v13, s7, v8
	v_mad_u64_u32 v[43:44], null, s6, v8, s[10:11]
	s_delay_alu instid0(VALU_DEP_4)
	v_lshlrev_b64 v[5:6], 2, v[3:4]
	v_add3_u32 v28, v10, v28, v9
	v_mad_u64_u32 v[31:32], null, s6, v11, s[8:9]
	v_add3_u32 v42, v10, v42, v9
	v_add3_u32 v30, v13, v30, v12
	v_add_co_u32 v58, vcc_lo, s8, v5
	v_add_co_ci_u32_e32 v59, vcc_lo, s9, v6, vcc_lo
	v_add_co_u32 v9, vcc_lo, v74, 7
	v_add_co_ci_u32_e32 v7, vcc_lo, 0, v75, vcc_lo
	v_add3_u32 v44, v13, v44, v12
	v_add_co_u32 v12, vcc_lo, v74, 6
	v_mul_lo_u32 v16, s7, v11
	v_mad_u64_u32 v[39:40], null, s6, v1, s[8:9]
	v_mul_lo_u32 v61, s7, v1
	v_mad_u64_u32 v[45:46], null, s6, v11, s[10:11]
	v_mad_u64_u32 v[53:54], null, s6, v1, s[10:11]
	v_mul_lo_u32 v1, s7, v9
	v_mul_lo_u32 v11, s6, v7
	v_mad_u64_u32 v[7:8], null, s6, v9, 0
	v_add_co_ci_u32_e32 v10, vcc_lo, 0, v75, vcc_lo
	v_mad_u64_u32 v[33:34], null, s6, v14, s[8:9]
	v_mul_lo_u32 v19, s7, v14
	v_mad_u64_u32 v[47:48], null, s6, v14, s[10:11]
	v_mul_lo_u32 v13, s7, v12
	v_mul_lo_u32 v14, s6, v10
	v_mad_u64_u32 v[9:10], null, s6, v12, 0
	v_add3_u32 v8, v8, v11, v1
	v_add3_u32 v40, v61, v40, v60
	;; [unrolled: 1-line block ×3, first 2 shown]
	v_add_co_u32 v60, vcc_lo, s10, v5
	v_add_co_ci_u32_e32 v61, vcc_lo, s11, v6, vcc_lo
	v_lshlrev_b64 v[5:6], 2, v[7:8]
	v_add3_u32 v10, v10, v14, v13
	v_add_co_u32 v1, vcc_lo, v74, 5
	v_add_co_ci_u32_e32 v11, vcc_lo, 0, v75, vcc_lo
	s_delay_alu instid0(VALU_DEP_4) | instskip(NEXT) | instid1(VALU_DEP_4)
	v_add_co_u32 v62, vcc_lo, s8, v5
	v_lshlrev_b64 v[7:8], 2, v[9:10]
	v_add_co_ci_u32_e32 v63, vcc_lo, s9, v6, vcc_lo
	v_mul_lo_u32 v12, s7, v1
	v_mul_lo_u32 v11, s6, v11
	v_mad_u64_u32 v[9:10], null, s6, v1, 0
	v_add_co_u32 v64, vcc_lo, s10, v5
	v_add_co_ci_u32_e32 v65, vcc_lo, s11, v6, vcc_lo
	v_add_co_u32 v66, vcc_lo, s8, v7
	v_add_co_ci_u32_e32 v67, vcc_lo, s9, v8, vcc_lo
	s_mul_hi_u32 s2, s6, s15
	v_add_co_u32 v1, vcc_lo, v74, 4
	v_add3_u32 v10, v10, v11, v12
	s_add_i32 s3, s2, s16
	v_add_co_u32 v68, s2, s10, v7
	v_add_co_ci_u32_e32 v7, vcc_lo, 0, v75, vcc_lo
	v_add_co_u32 v12, vcc_lo, v74, 3
	v_lshlrev_b64 v[5:6], 2, v[9:10]
	v_add_co_ci_u32_e32 v9, vcc_lo, 0, v75, vcc_lo
	v_add_co_ci_u32_e64 v69, s2, s11, v8, s2
	v_mul_lo_u32 v11, s7, v1
	v_mul_lo_u32 v13, s6, v7
	v_mad_u64_u32 v[7:8], null, s6, v1, 0
	v_mul_lo_u32 v1, s7, v12
	v_mul_lo_u32 v14, s6, v9
	v_mad_u64_u32 v[9:10], null, s6, v12, 0
	v_add_co_u32 v70, vcc_lo, s8, v5
	v_add_co_ci_u32_e32 v71, vcc_lo, s9, v6, vcc_lo
	v_add3_u32 v8, v8, v13, v11
	v_add_co_u32 v72, vcc_lo, s10, v5
	v_add_co_ci_u32_e32 v73, vcc_lo, s11, v6, vcc_lo
	v_add3_u32 v10, v10, v14, v1
	v_add_co_u32 v1, vcc_lo, v74, 2
	v_lshlrev_b64 v[5:6], 2, v[7:8]
	v_add_co_ci_u32_e32 v11, vcc_lo, 0, v75, vcc_lo
	s_delay_alu instid0(VALU_DEP_4) | instskip(NEXT) | instid1(VALU_DEP_4)
	v_lshlrev_b64 v[7:8], 2, v[9:10]
	v_mul_lo_u32 v12, s7, v1
	v_mad_u64_u32 v[9:10], null, s6, v1, 0
	v_add_co_u32 v74, vcc_lo, s8, v5
	v_mul_lo_u32 v11, s6, v11
	v_add_co_ci_u32_e32 v75, vcc_lo, s9, v6, vcc_lo
	v_add_co_u32 v76, vcc_lo, s10, v5
	v_add_co_ci_u32_e32 v77, vcc_lo, s11, v6, vcc_lo
	v_add_co_u32 v78, vcc_lo, s8, v7
	v_add_co_ci_u32_e32 v79, vcc_lo, s9, v8, vcc_lo
	v_add3_u32 v10, v10, v11, v12
	v_add_co_u32 v80, vcc_lo, s10, v7
	v_add_co_ci_u32_e32 v81, vcc_lo, s11, v8, vcc_lo
	v_add_co_u32 v3, vcc_lo, v3, s6
	s_delay_alu instid0(VALU_DEP_4) | instskip(SKIP_3) | instid1(VALU_DEP_4)
	v_lshlrev_b64 v[5:6], 2, v[9:10]
	v_add_co_ci_u32_e32 v4, vcc_lo, s7, v4, vcc_lo
	v_mad_u64_u32 v[35:36], null, s6, v18, s[8:9]
	v_mul_lo_u32 v22, s7, v18
	v_add_co_u32 v82, vcc_lo, s8, v5
	s_delay_alu instid0(VALU_DEP_4)
	v_lshlrev_b64 v[3:4], 2, v[3:4]
	v_add_co_ci_u32_e32 v83, vcc_lo, s9, v6, vcc_lo
	v_mad_u64_u32 v[37:38], null, s6, v20, s[8:9]
	v_mul_lo_u32 v24, s7, v20
	v_mad_u64_u32 v[49:50], null, s6, v18, s[10:11]
	v_mad_u64_u32 v[51:52], null, s6, v20, s[10:11]
	v_add_co_u32 v84, vcc_lo, s10, v5
	v_add_co_ci_u32_e32 v85, vcc_lo, s11, v6, vcc_lo
	v_add_co_u32 v86, vcc_lo, s8, v3
	v_add_co_ci_u32_e32 v87, vcc_lo, s9, v4, vcc_lo
	v_add_co_u32 v88, vcc_lo, s10, v3
	v_add3_u32 v32, v16, v32, v15
	v_add3_u32 v34, v19, v34, v17
	;; [unrolled: 1-line block ×8, first 2 shown]
	v_add_co_ci_u32_e32 v89, vcc_lo, s11, v4, vcc_lo
	s_mul_i32 s2, s6, s15
	s_mov_b32 s16, 0
	s_lshl_b64 s[2:3], s[2:3], 2
.LBB161_53:                             ; =>This Inner Loop Header: Depth=1
	v_cmp_ge_i64_e64 s8, s[28:29], s[4:5]
	v_add_co_u32 v91, s9, v57, s28
	s_delay_alu instid0(VALU_DEP_1) | instskip(NEXT) | instid1(VALU_DEP_3)
	v_add_co_ci_u32_e64 v92, null, 0, s29, s9
	s_and_b32 vcc_lo, exec_lo, s8
	s_cbranch_vccz .LBB161_75
; %bb.54:                               ;   in Loop: Header=BB161_53 Depth=1
	s_load_b32 s8, s[26:27], 0xc
	v_mov_b32_e32 v93, 0
	s_waitcnt lgkmcnt(0)
	s_and_b32 s8, s8, 0xffff
	s_delay_alu instid0(SALU_CYCLE_1) | instskip(SKIP_1) | instid1(VALU_DEP_1)
	v_mad_u32_u24 v1, v56, s8, v55
	s_mov_b32 s8, exec_lo
	v_and_b32_e32 v1, 31, v1
	s_delay_alu instid0(VALU_DEP_1)
	v_cmpx_gt_u32_e32 8, v1
	s_cbranch_execz .LBB161_58
; %bb.55:                               ;   in Loop: Header=BB161_53 Depth=1
	v_add_co_u32 v1, vcc_lo, v91, v1
	v_add_co_ci_u32_e32 v4, vcc_lo, 0, v92, vcc_lo
	v_mov_b32_e32 v93, 0
	s_delay_alu instid0(VALU_DEP_3) | instskip(NEXT) | instid1(VALU_DEP_3)
	v_add_co_u32 v3, vcc_lo, 0xffffff01, v1
	v_add_co_ci_u32_e32 v4, vcc_lo, -1, v4, vcc_lo
	s_mov_b32 s9, exec_lo
	s_delay_alu instid0(VALU_DEP_1)
	v_cmpx_gt_i64_e64 s[4:5], v[3:4]
	s_cbranch_execz .LBB161_57
; %bb.56:                               ;   in Loop: Header=BB161_53 Depth=1
	v_lshlrev_b64 v[3:4], 2, v[3:4]
	s_delay_alu instid0(VALU_DEP_1) | instskip(NEXT) | instid1(VALU_DEP_2)
	v_add_co_u32 v3, vcc_lo, s12, v3
	v_add_co_ci_u32_e32 v4, vcc_lo, s13, v4, vcc_lo
	global_load_b32 v93, v[3:4], off
.LBB161_57:                             ;   in Loop: Header=BB161_53 Depth=1
	s_or_b32 exec_lo, exec_lo, s9
.LBB161_58:                             ;   in Loop: Header=BB161_53 Depth=1
	s_delay_alu instid0(SALU_CYCLE_1)
	s_or_b32 exec_lo, exec_lo, s8
	s_mov_b32 s22, s16
	s_mov_b32 s23, s16
	s_mov_b32 s17, s16
	s_mov_b32 s18, s16
	s_mov_b32 s19, s16
	s_mov_b32 s20, s16
	s_mov_b32 s21, s16
	v_dual_mov_b32 v9, s16 :: v_dual_mov_b32 v10, s17
	v_dual_mov_b32 v15, s22 :: v_dual_mov_b32 v16, s23
	;; [unrolled: 1-line block ×4, first 2 shown]
	v_add_co_u32 v3, vcc_lo, 0xffffff01, v91
	s_delay_alu instid0(VALU_DEP_4) | instskip(SKIP_1) | instid1(VALU_DEP_4)
	v_dual_mov_b32 v24, v16 :: v_dual_mov_b32 v23, v15
	v_add_co_ci_u32_e32 v4, vcc_lo, -1, v92, vcc_lo
	v_dual_mov_b32 v22, v14 :: v_dual_mov_b32 v21, v13
	v_dual_mov_b32 v20, v12 :: v_dual_mov_b32 v19, v11
	;; [unrolled: 1-line block ×3, first 2 shown]
	s_mov_b32 s8, exec_lo
	v_cmpx_gt_i64_e64 s[4:5], v[3:4]
	s_cbranch_execz .LBB161_60
; %bb.59:                               ;   in Loop: Header=BB161_53 Depth=1
	v_add_co_u32 v3, vcc_lo, v58, v25
	v_add_co_ci_u32_e32 v4, vcc_lo, v59, v26, vcc_lo
	v_mov_b32_e32 v8, v2
	v_mov_b32_e32 v5, v2
	v_mov_b32_e32 v6, v2
	global_load_b32 v1, v[3:4], off
	v_add_co_u32 v3, vcc_lo, v60, v25
	v_add_co_ci_u32_e32 v4, vcc_lo, v61, v26, vcc_lo
	v_mov_b32_e32 v7, v2
	v_mov_b32_e32 v15, v2
	global_load_b32 v9, v[3:4], off
	v_mov_b32_e32 v3, v2
	v_mov_b32_e32 v4, v2
	s_waitcnt vmcnt(1)
	v_dual_mov_b32 v11, v2 :: v_dual_mov_b32 v24, v8
	v_dual_mov_b32 v10, v2 :: v_dual_mov_b32 v23, v7
	;; [unrolled: 1-line block ×5, first 2 shown]
	v_mov_b32_e32 v16, v2
	v_mov_b32_e32 v22, v6
	v_dual_mov_b32 v18, v2 :: v_dual_mov_b32 v17, v1
.LBB161_60:                             ;   in Loop: Header=BB161_53 Depth=1
	s_or_b32 exec_lo, exec_lo, s8
	v_add_co_u32 v3, vcc_lo, 0xffffff02, v91
	v_add_co_ci_u32_e32 v4, vcc_lo, -1, v92, vcc_lo
	s_mov_b32 s8, exec_lo
	s_delay_alu instid0(VALU_DEP_1)
	v_cmpx_gt_i64_e64 s[4:5], v[3:4]
	s_cbranch_execz .LBB161_62
; %bb.61:                               ;   in Loop: Header=BB161_53 Depth=1
	v_add_co_u32 v3, vcc_lo, v86, v25
	v_add_co_ci_u32_e32 v4, vcc_lo, v87, v26, vcc_lo
	v_add_co_u32 v5, vcc_lo, v88, v25
	v_add_co_ci_u32_e32 v6, vcc_lo, v89, v26, vcc_lo
	global_load_b32 v18, v[3:4], off
	global_load_b32 v10, v[5:6], off
.LBB161_62:                             ;   in Loop: Header=BB161_53 Depth=1
	s_or_b32 exec_lo, exec_lo, s8
	v_add_co_u32 v3, vcc_lo, 0xffffff03, v91
	v_add_co_ci_u32_e32 v4, vcc_lo, -1, v92, vcc_lo
	s_mov_b32 s8, exec_lo
	s_delay_alu instid0(VALU_DEP_1)
	v_cmpx_gt_i64_e64 s[4:5], v[3:4]
	s_cbranch_execz .LBB161_64
; %bb.63:                               ;   in Loop: Header=BB161_53 Depth=1
	v_add_co_u32 v3, vcc_lo, v82, v25
	v_add_co_ci_u32_e32 v4, vcc_lo, v83, v26, vcc_lo
	v_add_co_u32 v5, vcc_lo, v84, v25
	v_add_co_ci_u32_e32 v6, vcc_lo, v85, v26, vcc_lo
	global_load_b32 v19, v[3:4], off
	global_load_b32 v11, v[5:6], off
.LBB161_64:                             ;   in Loop: Header=BB161_53 Depth=1
	;; [unrolled: 15-line block ×7, first 2 shown]
	s_or_b32 exec_lo, exec_lo, s8
	s_waitcnt vmcnt(0)
	ds_bpermute_b32 v1, v2, v93
	ds_bpermute_b32 v3, v2, v93 offset:4
	ds_bpermute_b32 v4, v2, v93 offset:8
	v_mul_f32_e32 v5, v9, v17
	ds_bpermute_b32 v6, v2, v93 offset:12
	v_mul_f32_e32 v7, v10, v18
	ds_bpermute_b32 v8, v2, v93 offset:16
	ds_bpermute_b32 v9, v2, v93 offset:20
	s_waitcnt lgkmcnt(5)
	v_fma_f32 v1, v5, v1, v90
	v_mul_f32_e32 v5, v11, v19
	s_waitcnt lgkmcnt(4)
	s_delay_alu instid0(VALU_DEP_2)
	v_fmac_f32_e32 v1, v7, v3
	v_mul_f32_e32 v3, v12, v20
	ds_bpermute_b32 v7, v2, v93 offset:24
	s_waitcnt lgkmcnt(4)
	v_fmac_f32_e32 v1, v5, v4
	v_dual_mul_f32 v4, v13, v21 :: v_dual_mul_f32 v5, v14, v22
	s_waitcnt lgkmcnt(3)
	s_delay_alu instid0(VALU_DEP_2) | instskip(SKIP_4) | instid1(VALU_DEP_1)
	v_fmac_f32_e32 v1, v3, v6
	ds_bpermute_b32 v3, v2, v93 offset:28
	s_waitcnt lgkmcnt(3)
	v_dual_fmac_f32 v1, v4, v8 :: v_dual_mul_f32 v4, v15, v23
	s_waitcnt lgkmcnt(2)
	v_fmac_f32_e32 v1, v5, v9
	s_waitcnt lgkmcnt(1)
	s_delay_alu instid0(VALU_DEP_1) | instskip(SKIP_2) | instid1(VALU_DEP_1)
	v_fmac_f32_e32 v1, v4, v7
	v_mul_f32_e32 v4, v16, v24
	s_waitcnt lgkmcnt(0)
	v_fmac_f32_e32 v1, v4, v3
	s_branch .LBB161_81
.LBB161_75:                             ;   in Loop: Header=BB161_53 Depth=1
                                        ; implicit-def: $vgpr1
	s_cbranch_execz .LBB161_81
; %bb.76:                               ;   in Loop: Header=BB161_53 Depth=1
	s_load_b32 s8, s[26:27], 0x0
	s_waitcnt lgkmcnt(0)
	s_cmp_lt_u32 s14, s8
	s_cselect_b32 s8, 12, 18
	s_delay_alu instid0(SALU_CYCLE_1)
	s_add_u32 s8, s26, s8
	s_addc_u32 s9, s27, 0
	global_load_u16 v1, v2, s[8:9]
	s_mov_b32 s8, exec_lo
	s_waitcnt vmcnt(0)
	v_mad_u32_u24 v1, v56, v1, v55
	s_delay_alu instid0(VALU_DEP_1) | instskip(SKIP_1) | instid1(VALU_DEP_2)
	v_and_b32_e32 v3, 31, v1
	v_mov_b32_e32 v1, 0
	v_cmpx_gt_u32_e32 8, v3
	s_cbranch_execz .LBB161_80
; %bb.77:                               ;   in Loop: Header=BB161_53 Depth=1
	v_add_co_u32 v1, vcc_lo, v91, v3
	v_add_co_ci_u32_e32 v4, vcc_lo, 0, v92, vcc_lo
	s_mov_b32 s9, exec_lo
	s_delay_alu instid0(VALU_DEP_2) | instskip(NEXT) | instid1(VALU_DEP_2)
	v_add_co_u32 v3, vcc_lo, 0xffffff01, v1
	v_add_co_ci_u32_e32 v4, vcc_lo, -1, v4, vcc_lo
	v_mov_b32_e32 v1, 0
	s_delay_alu instid0(VALU_DEP_2)
	v_cmpx_gt_i64_e64 s[4:5], v[3:4]
	s_cbranch_execz .LBB161_79
; %bb.78:                               ;   in Loop: Header=BB161_53 Depth=1
	v_lshlrev_b64 v[3:4], 2, v[3:4]
	s_delay_alu instid0(VALU_DEP_1) | instskip(NEXT) | instid1(VALU_DEP_2)
	v_add_co_u32 v3, vcc_lo, s12, v3
	v_add_co_ci_u32_e32 v4, vcc_lo, s13, v4, vcc_lo
	global_load_b32 v1, v[3:4], off
.LBB161_79:                             ;   in Loop: Header=BB161_53 Depth=1
	s_or_b32 exec_lo, exec_lo, s9
.LBB161_80:                             ;   in Loop: Header=BB161_53 Depth=1
	s_delay_alu instid0(SALU_CYCLE_1)
	s_or_b32 exec_lo, exec_lo, s8
	v_add_co_u32 v3, vcc_lo, v58, v25
	v_add_co_ci_u32_e32 v4, vcc_lo, v59, v26, vcc_lo
	v_add_co_u32 v5, vcc_lo, v60, v25
	v_add_co_ci_u32_e32 v6, vcc_lo, v61, v26, vcc_lo
	;; [unrolled: 2-line block ×4, first 2 shown]
	global_load_b32 v13, v[3:4], off
	global_load_b32 v14, v[5:6], off
	;; [unrolled: 1-line block ×4, first 2 shown]
	v_add_co_u32 v3, vcc_lo, v29, v25
	v_add_co_ci_u32_e32 v4, vcc_lo, v30, v26, vcc_lo
	v_add_co_u32 v5, vcc_lo, v43, v25
	v_add_co_ci_u32_e32 v6, vcc_lo, v44, v26, vcc_lo
	;; [unrolled: 2-line block ×5, first 2 shown]
	global_load_b32 v17, v[3:4], off
	global_load_b32 v18, v[5:6], off
	;; [unrolled: 1-line block ×5, first 2 shown]
	v_add_co_u32 v3, vcc_lo, v47, v25
	v_add_co_ci_u32_e32 v4, vcc_lo, v48, v26, vcc_lo
	v_add_co_u32 v5, vcc_lo, v35, v25
	v_add_co_ci_u32_e32 v6, vcc_lo, v36, v26, vcc_lo
	;; [unrolled: 2-line block ×5, first 2 shown]
	global_load_b32 v22, v[3:4], off
	global_load_b32 v23, v[5:6], off
	;; [unrolled: 1-line block ×5, first 2 shown]
	v_add_co_u32 v3, vcc_lo, v39, v25
	v_add_co_ci_u32_e32 v4, vcc_lo, v40, v26, vcc_lo
	v_add_co_u32 v5, vcc_lo, v53, v25
	v_add_co_ci_u32_e32 v6, vcc_lo, v54, v26, vcc_lo
	global_load_b32 v3, v[3:4], off
	global_load_b32 v4, v[5:6], off
	s_waitcnt vmcnt(16)
	ds_bpermute_b32 v5, v2, v1
	ds_bpermute_b32 v6, v2, v1 offset:4
	ds_bpermute_b32 v10, v2, v1 offset:8
	;; [unrolled: 1-line block ×3, first 2 shown]
	s_waitcnt vmcnt(14)
	v_mul_f32_e32 v12, v13, v14
	ds_bpermute_b32 v13, v2, v1 offset:16
	s_waitcnt vmcnt(12)
	v_mul_f32_e32 v14, v15, v16
	s_waitcnt vmcnt(4) lgkmcnt(4)
	v_dual_mul_f32 v7, v23, v7 :: v_dual_fmac_f32 v90, v12, v5
	ds_bpermute_b32 v5, v2, v1 offset:20
	v_mul_f32_e32 v12, v17, v18
	s_waitcnt vmcnt(0)
	v_dual_mul_f32 v8, v8, v9 :: v_dual_mul_f32 v3, v3, v4
	s_waitcnt lgkmcnt(4)
	v_fmac_f32_e32 v90, v14, v6
	ds_bpermute_b32 v6, v2, v1 offset:24
	v_mul_f32_e32 v14, v19, v20
	ds_bpermute_b32 v1, v2, v1 offset:28
	s_waitcnt lgkmcnt(5)
	v_fmac_f32_e32 v90, v12, v10
	v_mul_f32_e32 v10, v21, v22
	s_waitcnt lgkmcnt(4)
	s_delay_alu instid0(VALU_DEP_2) | instskip(SKIP_1) | instid1(VALU_DEP_1)
	v_fmac_f32_e32 v90, v14, v11
	s_waitcnt lgkmcnt(3)
	v_fmac_f32_e32 v90, v10, v13
	s_waitcnt lgkmcnt(2)
	s_delay_alu instid0(VALU_DEP_1) | instskip(SKIP_1) | instid1(VALU_DEP_1)
	v_fmac_f32_e32 v90, v7, v5
	s_waitcnt lgkmcnt(1)
	v_fmac_f32_e32 v90, v8, v6
	s_waitcnt lgkmcnt(0)
	s_delay_alu instid0(VALU_DEP_1) | instskip(NEXT) | instid1(VALU_DEP_1)
	v_fmac_f32_e32 v90, v3, v1
	v_mov_b32_e32 v1, v90
.LBB161_81:                             ;   in Loop: Header=BB161_53 Depth=1
	v_add_co_u32 v27, vcc_lo, v27, s2
	v_add_co_ci_u32_e32 v28, vcc_lo, s3, v28, vcc_lo
	v_add_co_u32 v29, vcc_lo, v29, s2
	v_add_co_ci_u32_e32 v30, vcc_lo, s3, v30, vcc_lo
	;; [unrolled: 2-line block ×27, first 2 shown]
	v_add_co_u32 v84, vcc_lo, v84, s2
	s_add_u32 s24, s24, s15
	v_add_co_ci_u32_e32 v85, vcc_lo, s3, v85, vcc_lo
	s_addc_u32 s25, s25, 0
	v_add_co_u32 v86, vcc_lo, v86, s2
	v_cmp_ge_i64_e64 s8, s[24:25], s[4:5]
	v_add_co_ci_u32_e32 v87, vcc_lo, s3, v87, vcc_lo
	v_add_co_u32 v88, vcc_lo, v88, s2
	v_add_co_ci_u32_e32 v89, vcc_lo, s3, v89, vcc_lo
	s_add_u32 s28, s28, s15
	s_addc_u32 s29, s29, 0
	s_and_b32 vcc_lo, exec_lo, s8
	s_cbranch_vccnz .LBB161_83
; %bb.82:                               ;   in Loop: Header=BB161_53 Depth=1
	v_mov_b32_e32 v90, v1
	s_branch .LBB161_53
.LBB161_83:
	v_and_b32_e32 v2, 0x3ff, v0
	v_bfe_u32 v0, v0, 10, 10
	s_mov_b32 s15, 0
	s_mov_b32 s2, exec_lo
	s_delay_alu instid0(VALU_DEP_2) | instskip(NEXT) | instid1(VALU_DEP_2)
	v_lshrrev_b32_e32 v3, 5, v2
	v_mad_u32_u24 v4, v0, 33, v2
	s_delay_alu instid0(VALU_DEP_2) | instskip(NEXT) | instid1(VALU_DEP_2)
	v_add_nc_u32_e32 v0, v3, v0
	v_lshl_add_u32 v3, v4, 2, 0
	v_mov_b32_e32 v4, 0
	ds_store_b32 v3, v1
	ds_store_b32 v3, v4 offset:4224
	s_waitcnt lgkmcnt(0)
	s_barrier
	buffer_gl0_inv
	v_cmpx_gt_u32_e32 32, v0
	s_cbranch_execz .LBB161_86
; %bb.84:
	v_and_b32_e32 v1, 31, v2
	v_lshlrev_b32_e32 v3, 2, v0
	s_load_b64 s[2:3], s[0:1], 0x30
	s_lshl_b64 s[0:1], s[14:15], 5
	s_delay_alu instid0(SALU_CYCLE_1) | instskip(SKIP_2) | instid1(VALU_DEP_2)
	v_or_b32_e32 v0, s0, v0
	v_mul_u32_u24_e32 v1, 0x84, v1
	v_cmp_eq_u32_e64 s0, 0, v2
	v_add3_u32 v1, 0, v3, v1
	v_mbcnt_lo_u32_b32 v3, -1, 0
	ds_load_b32 v1, v1
	v_xor_b32_e32 v4, 16, v3
	v_xor_b32_e32 v5, 8, v3
	s_delay_alu instid0(VALU_DEP_2) | instskip(SKIP_4) | instid1(VALU_DEP_2)
	v_cmp_gt_i32_e32 vcc_lo, 32, v4
	s_waitcnt lgkmcnt(0)
	s_cmp_lg_u64 s[2:3], 0
	v_cndmask_b32_e32 v4, v3, v4, vcc_lo
	v_cmp_gt_i32_e32 vcc_lo, 32, v5
	v_dual_cndmask_b32 v5, v3, v5 :: v_dual_lshlrev_b32 v4, 2, v4
	ds_bpermute_b32 v4, v4, v1
	v_lshlrev_b32_e32 v5, 2, v5
	s_waitcnt lgkmcnt(0)
	v_add_f32_e32 v1, v1, v4
	ds_bpermute_b32 v4, v5, v1
	v_xor_b32_e32 v5, 4, v3
	s_delay_alu instid0(VALU_DEP_1) | instskip(SKIP_1) | instid1(VALU_DEP_1)
	v_cmp_gt_i32_e32 vcc_lo, 32, v5
	v_cndmask_b32_e32 v5, v3, v5, vcc_lo
	v_lshlrev_b32_e32 v5, 2, v5
	s_waitcnt lgkmcnt(0)
	v_add_f32_e32 v1, v1, v4
	ds_bpermute_b32 v4, v5, v1
	v_xor_b32_e32 v5, 2, v3
	s_delay_alu instid0(VALU_DEP_1) | instskip(SKIP_1) | instid1(VALU_DEP_1)
	v_cmp_gt_i32_e32 vcc_lo, 32, v5
	v_cndmask_b32_e32 v5, v3, v5, vcc_lo
	v_lshlrev_b32_e32 v5, 2, v5
	s_waitcnt lgkmcnt(0)
	v_add_f32_e32 v1, v1, v4
	ds_bpermute_b32 v4, v5, v1
	v_xor_b32_e32 v5, 1, v3
	s_delay_alu instid0(VALU_DEP_1) | instskip(SKIP_3) | instid1(VALU_DEP_2)
	v_cmp_gt_i32_e32 vcc_lo, 32, v5
	v_cndmask_b32_e32 v5, v3, v5, vcc_lo
	s_waitcnt lgkmcnt(0)
	v_add_f32_e32 v3, v1, v4
	v_lshlrev_b32_e32 v1, 2, v5
	ds_bpermute_b32 v4, v1, v3
	v_mov_b32_e32 v1, s1
	s_cselect_b32 s1, -1, 0
	s_delay_alu instid0(VALU_DEP_1) | instskip(SKIP_1) | instid1(SALU_CYCLE_1)
	v_cmp_gt_i64_e32 vcc_lo, s[6:7], v[0:1]
	s_and_b32 s0, s0, vcc_lo
	s_and_b32 s0, s1, s0
	s_delay_alu instid0(SALU_CYCLE_1)
	s_and_b32 exec_lo, exec_lo, s0
	s_cbranch_execz .LBB161_86
; %bb.85:
	v_lshlrev_b64 v[0:1], 2, v[0:1]
	s_waitcnt lgkmcnt(0)
	v_add_f32_e32 v2, v3, v4
	s_delay_alu instid0(VALU_DEP_2) | instskip(NEXT) | instid1(VALU_DEP_3)
	v_add_co_u32 v0, vcc_lo, s2, v0
	v_add_co_ci_u32_e32 v1, vcc_lo, s3, v1, vcc_lo
	global_store_b32 v[0:1], v2, off
.LBB161_86:
	s_nop 0
	s_sendmsg sendmsg(MSG_DEALLOC_VGPRS)
	s_endpgm
	.section	.rodata,"a",@progbits
	.p2align	6, 0x0
	.amdhsa_kernel _ZN2at6native12_GLOBAL__N_135GammaBetaBackwardCUDAKernelTemplateIffLj32ELj32ELj256ELb0ELb0ELb1EEEvllPKT_S5_PKT0_S8_PS3_S9_
		.amdhsa_group_segment_fixed_size 0
		.amdhsa_private_segment_fixed_size 0
		.amdhsa_kernarg_size 320
		.amdhsa_user_sgpr_count 14
		.amdhsa_user_sgpr_dispatch_ptr 0
		.amdhsa_user_sgpr_queue_ptr 0
		.amdhsa_user_sgpr_kernarg_segment_ptr 1
		.amdhsa_user_sgpr_dispatch_id 0
		.amdhsa_user_sgpr_private_segment_size 0
		.amdhsa_wavefront_size32 1
		.amdhsa_uses_dynamic_stack 0
		.amdhsa_enable_private_segment 0
		.amdhsa_system_sgpr_workgroup_id_x 1
		.amdhsa_system_sgpr_workgroup_id_y 1
		.amdhsa_system_sgpr_workgroup_id_z 0
		.amdhsa_system_sgpr_workgroup_info 0
		.amdhsa_system_vgpr_workitem_id 1
		.amdhsa_next_free_vgpr 94
		.amdhsa_next_free_sgpr 37
		.amdhsa_reserve_vcc 1
		.amdhsa_float_round_mode_32 0
		.amdhsa_float_round_mode_16_64 0
		.amdhsa_float_denorm_mode_32 3
		.amdhsa_float_denorm_mode_16_64 3
		.amdhsa_dx10_clamp 1
		.amdhsa_ieee_mode 1
		.amdhsa_fp16_overflow 0
		.amdhsa_workgroup_processor_mode 1
		.amdhsa_memory_ordered 1
		.amdhsa_forward_progress 0
		.amdhsa_shared_vgpr_count 0
		.amdhsa_exception_fp_ieee_invalid_op 0
		.amdhsa_exception_fp_denorm_src 0
		.amdhsa_exception_fp_ieee_div_zero 0
		.amdhsa_exception_fp_ieee_overflow 0
		.amdhsa_exception_fp_ieee_underflow 0
		.amdhsa_exception_fp_ieee_inexact 0
		.amdhsa_exception_int_div_zero 0
	.end_amdhsa_kernel
	.section	.text._ZN2at6native12_GLOBAL__N_135GammaBetaBackwardCUDAKernelTemplateIffLj32ELj32ELj256ELb0ELb0ELb1EEEvllPKT_S5_PKT0_S8_PS3_S9_,"axG",@progbits,_ZN2at6native12_GLOBAL__N_135GammaBetaBackwardCUDAKernelTemplateIffLj32ELj32ELj256ELb0ELb0ELb1EEEvllPKT_S5_PKT0_S8_PS3_S9_,comdat
.Lfunc_end161:
	.size	_ZN2at6native12_GLOBAL__N_135GammaBetaBackwardCUDAKernelTemplateIffLj32ELj32ELj256ELb0ELb0ELb1EEEvllPKT_S5_PKT0_S8_PS3_S9_, .Lfunc_end161-_ZN2at6native12_GLOBAL__N_135GammaBetaBackwardCUDAKernelTemplateIffLj32ELj32ELj256ELb0ELb0ELb1EEEvllPKT_S5_PKT0_S8_PS3_S9_
                                        ; -- End function
	.section	.AMDGPU.csdata,"",@progbits
; Kernel info:
; codeLenInByte = 7240
; NumSgprs: 39
; NumVgprs: 94
; ScratchSize: 0
; MemoryBound: 0
; FloatMode: 240
; IeeeMode: 1
; LDSByteSize: 0 bytes/workgroup (compile time only)
; SGPRBlocks: 4
; VGPRBlocks: 11
; NumSGPRsForWavesPerEU: 39
; NumVGPRsForWavesPerEU: 94
; Occupancy: 16
; WaveLimiterHint : 0
; COMPUTE_PGM_RSRC2:SCRATCH_EN: 0
; COMPUTE_PGM_RSRC2:USER_SGPR: 14
; COMPUTE_PGM_RSRC2:TRAP_HANDLER: 0
; COMPUTE_PGM_RSRC2:TGID_X_EN: 1
; COMPUTE_PGM_RSRC2:TGID_Y_EN: 1
; COMPUTE_PGM_RSRC2:TGID_Z_EN: 0
; COMPUTE_PGM_RSRC2:TIDIG_COMP_CNT: 1
	.section	.text._ZN2at6native12_GLOBAL__N_118cuComputeGradInputIN3c104HalfEfLb1EEEvPKT_S7_llPKT0_SA_S7_PS5_,"axG",@progbits,_ZN2at6native12_GLOBAL__N_118cuComputeGradInputIN3c104HalfEfLb1EEEvPKT_S7_llPKT0_SA_S7_PS5_,comdat
	.globl	_ZN2at6native12_GLOBAL__N_118cuComputeGradInputIN3c104HalfEfLb1EEEvPKT_S7_llPKT0_SA_S7_PS5_ ; -- Begin function _ZN2at6native12_GLOBAL__N_118cuComputeGradInputIN3c104HalfEfLb1EEEvPKT_S7_llPKT0_SA_S7_PS5_
	.p2align	8
	.type	_ZN2at6native12_GLOBAL__N_118cuComputeGradInputIN3c104HalfEfLb1EEEvPKT_S7_llPKT0_SA_S7_PS5_,@function
_ZN2at6native12_GLOBAL__N_118cuComputeGradInputIN3c104HalfEfLb1EEEvPKT_S7_llPKT0_SA_S7_PS5_: ; @_ZN2at6native12_GLOBAL__N_118cuComputeGradInputIN3c104HalfEfLb1EEEvPKT_S7_llPKT0_SA_S7_PS5_
; %bb.0:
	s_load_b128 s[8:11], s[0:1], 0x10
	s_mov_b32 s6, s15
	s_ashr_i32 s7, s15, 31
	s_waitcnt lgkmcnt(0)
	v_cmp_ge_i64_e64 s2, s[6:7], s[8:9]
	s_delay_alu instid0(VALU_DEP_1)
	s_and_b32 vcc_lo, exec_lo, s2
	s_cbranch_vccnz .LBB162_47
; %bb.1:
	s_clause 0x2
	s_load_b32 s4, s[0:1], 0x4c
	s_load_b128 s[12:15], s[0:1], 0x30
	s_load_b32 s24, s[0:1], 0x44
	s_cls_i32 s3, s11
	v_and_b32_e32 v9, 0x3ff, v0
	v_bfe_u32 v10, v0, 10, 10
	s_clause 0x1
	s_load_b128 s[16:19], s[0:1], 0x0
	s_load_b64 s[20:21], s[0:1], 0x28
	v_cmp_gt_i64_e64 s28, s[10:11], 0
	v_mbcnt_lo_u32_b32 v12, -1, 0
	v_lshl_add_u32 v13, v9, 3, 0
	v_cmp_eq_u32_e64 s0, 0, v10
	v_cmp_ne_u32_e64 s1, 0, v10
	v_cndmask_b32_e64 v11, 0, 1, s28
	s_waitcnt lgkmcnt(0)
	s_lshr_b32 s25, s4, 16
	s_and_b32 s26, s4, 0xffff
	s_cmp_lg_u64 s[12:13], 0
	v_mad_u32_u24 v0, v10, s26, v9
	s_cselect_b32 s27, -1, 0
	s_xor_b32 s2, s10, s11
	s_add_i32 s3, s3, -1
	s_ashr_i32 s2, s2, 31
	s_mul_i32 s30, s25, s26
	s_add_i32 s2, s2, 32
	s_ashr_i32 s31, s30, 31
	s_min_u32 s5, s3, s2
	v_cmp_gt_u16_e64 s29, s4, 1
	s_lshl_b64 s[2:3], s[10:11], s5
	v_lshl_add_u32 v14, v0, 3, 0
	s_min_u32 s2, s2, 1
	v_cmp_gt_u16_e64 s33, s25, 1
	s_or_b32 s2, s3, s2
	s_delay_alu instid0(SALU_CYCLE_1)
	v_cvt_f32_i32_e32 v1, s2
	s_sub_i32 s2, 32, s5
	s_delay_alu instid0(VALU_DEP_1) | instid1(SALU_CYCLE_1)
	v_ldexp_f32 v8, v1, s2
	s_delay_alu instid0(VALU_DEP_1) | instskip(SKIP_1) | instid1(VALU_DEP_2)
	v_div_scale_f32 v2, null, v8, v8, 1.0
	v_div_scale_f32 v4, vcc_lo, 1.0, v8, 1.0
	v_rcp_f32_e32 v3, v2
	s_waitcnt_depctr 0xfff
	v_fma_f32 v1, -v2, v3, 1.0
	s_delay_alu instid0(VALU_DEP_1) | instskip(SKIP_1) | instid1(VALU_DEP_2)
	v_fmac_f32_e32 v3, v1, v3
	v_mov_b32_e32 v1, 0
	v_mul_f32_e32 v5, v4, v3
	s_delay_alu instid0(VALU_DEP_2) | instskip(NEXT) | instid1(VALU_DEP_2)
	v_cmp_gt_i64_e64 s2, s[10:11], v[0:1]
	v_fma_f32 v6, -v2, v5, v4
	s_delay_alu instid0(VALU_DEP_1) | instskip(NEXT) | instid1(VALU_DEP_1)
	v_dual_fmac_f32 v5, v6, v3 :: v_dual_add_nc_u32 v6, s30, v0
	v_fma_f32 v2, -v2, v5, v4
	s_delay_alu instid0(VALU_DEP_2) | instskip(NEXT) | instid1(VALU_DEP_2)
	v_ashrrev_i32_e32 v4, 31, v6
	v_div_fmas_f32 v5, v2, v3, v5
	v_sub_co_u32 v2, vcc_lo, v6, s30
	s_delay_alu instid0(VALU_DEP_3) | instskip(NEXT) | instid1(VALU_DEP_3)
	v_subrev_co_ci_u32_e32 v3, vcc_lo, s31, v4, vcc_lo
	v_div_fixup_f32 v15, v5, v8, 1.0
	s_branch .LBB162_4
.LBB162_2:                              ;   in Loop: Header=BB162_4 Depth=1
	s_set_inst_prefetch_distance 0x2
	s_or_b32 exec_lo, exec_lo, s22
.LBB162_3:                              ;   in Loop: Header=BB162_4 Depth=1
	s_add_i32 s6, s24, s6
	s_waitcnt_vscnt null, 0x0
	s_ashr_i32 s7, s6, 31
	s_barrier
	v_cmp_ge_i64_e64 s3, s[6:7], s[8:9]
	buffer_gl0_inv
	s_and_b32 vcc_lo, exec_lo, s3
	s_cbranch_vccnz .LBB162_47
.LBB162_4:                              ; =>This Loop Header: Depth=1
                                        ;     Child Loop BB162_8 Depth 2
                                        ;     Child Loop BB162_19 Depth 2
	;; [unrolled: 1-line block ×6, first 2 shown]
	s_mul_i32 s3, s6, s11
	s_mul_hi_u32 s4, s6, s10
	s_mul_i32 s22, s7, s10
	s_add_i32 s3, s4, s3
	s_lshl_b64 s[4:5], s[6:7], 2
	s_add_i32 s23, s3, s22
	s_add_u32 s4, s20, s4
	s_addc_u32 s5, s21, s5
	s_mul_i32 s22, s6, s10
	s_load_b32 s7, s[4:5], 0x0
	s_lshl_b64 s[22:23], s[22:23], 1
	v_cmp_ne_u32_e64 s3, 1, v11
	s_add_u32 s34, s18, s22
	s_addc_u32 s35, s19, s23
	s_add_u32 s36, s16, s22
	s_addc_u32 s37, s17, s23
	s_and_not1_b32 vcc_lo, exec_lo, s27
	s_cbranch_vccnz .LBB162_15
; %bb.5:                                ;   in Loop: Header=BB162_4 Depth=1
	v_mov_b32_e32 v16, 0
	s_and_b32 vcc_lo, exec_lo, s3
	s_cbranch_vccnz .LBB162_14
; %bb.6:                                ;   in Loop: Header=BB162_4 Depth=1
	s_mov_b32 s4, 0
	s_set_inst_prefetch_distance 0x1
	s_branch .LBB162_8
	.p2align	6
.LBB162_7:                              ;   in Loop: Header=BB162_8 Depth=2
	s_or_b32 exec_lo, exec_lo, s3
	s_waitcnt vmcnt(0)
	v_cvt_f32_f16_e32 v4, v6
	v_cvt_f32_f16_e32 v5, v17
	;; [unrolled: 1-line block ×3, first 2 shown]
	s_add_i32 s4, s4, s30
	s_delay_alu instid0(SALU_CYCLE_1) | instskip(NEXT) | instid1(VALU_DEP_2)
	s_ashr_i32 s5, s4, 31
	v_mul_f32_e32 v4, v4, v5
	v_cmp_ge_i64_e64 s3, s[4:5], s[10:11]
	s_delay_alu instid0(VALU_DEP_2) | instskip(NEXT) | instid1(VALU_DEP_2)
	v_mul_f32_e32 v4, v4, v6
	s_and_b32 vcc_lo, exec_lo, s3
	s_waitcnt lgkmcnt(0)
	s_delay_alu instid0(VALU_DEP_1)
	v_fmac_f32_e32 v16, s7, v4
	s_cbranch_vccnz .LBB162_14
.LBB162_8:                              ;   Parent Loop BB162_4 Depth=1
                                        ; =>  This Inner Loop Header: Depth=2
	v_add_nc_u32_e32 v4, s4, v0
	v_mov_b32_e32 v6, 0
	s_delay_alu instid0(VALU_DEP_2) | instskip(NEXT) | instid1(VALU_DEP_1)
	v_ashrrev_i32_e32 v5, 31, v4
	v_cmp_gt_i64_e32 vcc_lo, s[10:11], v[4:5]
	v_lshlrev_b64 v[4:5], 1, v[4:5]
	s_and_saveexec_b32 s5, vcc_lo
	s_cbranch_execz .LBB162_10
; %bb.9:                                ;   in Loop: Header=BB162_8 Depth=2
	s_delay_alu instid0(VALU_DEP_1) | instskip(NEXT) | instid1(VALU_DEP_1)
	v_add_co_u32 v6, s3, s12, v4
	v_add_co_ci_u32_e64 v7, s3, s13, v5, s3
	global_load_u16 v6, v[6:7], off
.LBB162_10:                             ;   in Loop: Header=BB162_8 Depth=2
	s_or_b32 exec_lo, exec_lo, s5
	v_mov_b32_e32 v17, 0
	v_mov_b32_e32 v7, 0
	s_and_saveexec_b32 s5, vcc_lo
	s_cbranch_execz .LBB162_12
; %bb.11:                               ;   in Loop: Header=BB162_8 Depth=2
	v_add_co_u32 v18, s3, s34, v4
	s_delay_alu instid0(VALU_DEP_1)
	v_add_co_ci_u32_e64 v19, s3, s35, v5, s3
	global_load_u16 v7, v[18:19], off
.LBB162_12:                             ;   in Loop: Header=BB162_8 Depth=2
	s_or_b32 exec_lo, exec_lo, s5
	s_and_saveexec_b32 s3, vcc_lo
	s_cbranch_execz .LBB162_7
; %bb.13:                               ;   in Loop: Header=BB162_8 Depth=2
	v_add_co_u32 v4, vcc_lo, s36, v4
	v_add_co_ci_u32_e32 v5, vcc_lo, s37, v5, vcc_lo
	global_load_u16 v17, v[4:5], off
	s_branch .LBB162_7
.LBB162_14:                             ;   in Loop: Header=BB162_4 Depth=1
	s_set_inst_prefetch_distance 0x2
	s_cbranch_execz .LBB162_16
	s_branch .LBB162_23
.LBB162_15:                             ;   in Loop: Header=BB162_4 Depth=1
                                        ; implicit-def: $vgpr16
.LBB162_16:                             ;   in Loop: Header=BB162_4 Depth=1
	v_mov_b32_e32 v16, 0
	s_and_not1_b32 vcc_lo, exec_lo, s28
	s_cbranch_vccnz .LBB162_23
; %bb.17:                               ;   in Loop: Header=BB162_4 Depth=1
	s_mov_b32 s4, 0
	s_set_inst_prefetch_distance 0x1
	s_branch .LBB162_19
	.p2align	6
.LBB162_18:                             ;   in Loop: Header=BB162_19 Depth=2
	s_or_b32 exec_lo, exec_lo, s3
	s_waitcnt vmcnt(0)
	v_cvt_f32_f16_e32 v4, v6
	v_cvt_f32_f16_e32 v5, v7
	s_add_i32 s4, s4, s30
	s_delay_alu instid0(SALU_CYCLE_1) | instskip(NEXT) | instid1(VALU_DEP_1)
	s_ashr_i32 s5, s4, 31
	v_mul_f32_e32 v4, v4, v5
	v_cmp_ge_i64_e64 s3, s[4:5], s[10:11]
	s_waitcnt lgkmcnt(0)
	s_delay_alu instid0(VALU_DEP_2) | instskip(NEXT) | instid1(VALU_DEP_2)
	v_fmac_f32_e32 v16, s7, v4
	s_and_b32 vcc_lo, exec_lo, s3
	s_cbranch_vccnz .LBB162_23
.LBB162_19:                             ;   Parent Loop BB162_4 Depth=1
                                        ; =>  This Inner Loop Header: Depth=2
	v_add_nc_u32_e32 v4, s4, v0
	v_mov_b32_e32 v6, 0
	s_delay_alu instid0(VALU_DEP_2) | instskip(NEXT) | instid1(VALU_DEP_1)
	v_ashrrev_i32_e32 v5, 31, v4
	v_cmp_gt_i64_e32 vcc_lo, s[10:11], v[4:5]
	v_lshlrev_b64 v[4:5], 1, v[4:5]
	s_and_saveexec_b32 s5, vcc_lo
	s_cbranch_execz .LBB162_21
; %bb.20:                               ;   in Loop: Header=BB162_19 Depth=2
	s_delay_alu instid0(VALU_DEP_1) | instskip(NEXT) | instid1(VALU_DEP_1)
	v_add_co_u32 v6, s3, s34, v4
	v_add_co_ci_u32_e64 v7, s3, s35, v5, s3
	global_load_u16 v6, v[6:7], off
.LBB162_21:                             ;   in Loop: Header=BB162_19 Depth=2
	s_or_b32 exec_lo, exec_lo, s5
	v_mov_b32_e32 v7, 0
	s_and_saveexec_b32 s3, vcc_lo
	s_cbranch_execz .LBB162_18
; %bb.22:                               ;   in Loop: Header=BB162_19 Depth=2
	v_add_co_u32 v4, vcc_lo, s36, v4
	v_add_co_ci_u32_e32 v5, vcc_lo, s37, v5, vcc_lo
	global_load_u16 v7, v[4:5], off
	s_branch .LBB162_18
.LBB162_23:                             ;   in Loop: Header=BB162_4 Depth=1
	s_set_inst_prefetch_distance 0x2
	s_and_not1_b32 vcc_lo, exec_lo, s29
	s_cbranch_vccnz .LBB162_26
; %bb.24:                               ;   in Loop: Header=BB162_4 Depth=1
	s_mov_b32 s3, s26
.LBB162_25:                             ;   Parent Loop BB162_4 Depth=1
                                        ; =>  This Inner Loop Header: Depth=2
	s_delay_alu instid0(SALU_CYCLE_1) | instskip(SKIP_3) | instid1(VALU_DEP_1)
	s_lshr_b32 s4, s3, 1
	s_cmp_lt_u32 s3, 4
	v_xor_b32_e32 v4, s4, v12
	s_mov_b32 s3, s4
	v_cmp_gt_i32_e32 vcc_lo, 32, v4
	v_cndmask_b32_e32 v4, v12, v4, vcc_lo
	s_delay_alu instid0(VALU_DEP_1)
	v_lshlrev_b32_e32 v4, 2, v4
	ds_bpermute_b32 v4, v4, v16
	s_waitcnt lgkmcnt(0)
	v_add_f32_e32 v16, v16, v4
	s_cbranch_scc0 .LBB162_25
.LBB162_26:                             ;   in Loop: Header=BB162_4 Depth=1
	s_and_not1_b32 vcc_lo, exec_lo, s33
	s_mov_b32 s5, s25
	s_cbranch_vccnz .LBB162_38
	.p2align	6
.LBB162_27:                             ;   Parent Loop BB162_4 Depth=1
                                        ; =>  This Inner Loop Header: Depth=2
	s_lshr_b32 s38, s5, 1
	s_and_b32 s4, s5, 0xfffe
	v_cmp_le_u32_e64 s3, s38, v10
	v_cmp_gt_u32_e64 s4, s4, v10
	v_cmp_gt_u32_e32 vcc_lo, s38, v10
	s_delay_alu instid0(VALU_DEP_2) | instskip(NEXT) | instid1(SALU_CYCLE_1)
	s_and_b32 s4, s3, s4
	s_and_saveexec_b32 s3, s4
	s_cbranch_execz .LBB162_29
; %bb.28:                               ;   in Loop: Header=BB162_27 Depth=2
	v_subrev_nc_u32_e32 v4, s38, v10
	s_delay_alu instid0(VALU_DEP_1) | instskip(NEXT) | instid1(VALU_DEP_1)
	v_mad_i32_i24 v4, v4, s26, v9
	v_lshl_add_u32 v4, v4, 3, 0
	ds_store_b32 v4, v16 offset:4
.LBB162_29:                             ;   in Loop: Header=BB162_27 Depth=2
	s_or_b32 exec_lo, exec_lo, s3
	s_waitcnt lgkmcnt(0)
	s_barrier
	buffer_gl0_inv
	s_and_saveexec_b32 s3, vcc_lo
	s_cbranch_execz .LBB162_31
; %bb.30:                               ;   in Loop: Header=BB162_27 Depth=2
	ds_load_b32 v4, v14 offset:4
	s_waitcnt lgkmcnt(0)
	v_add_f32_e32 v16, v16, v4
.LBB162_31:                             ;   in Loop: Header=BB162_27 Depth=2
	s_or_b32 exec_lo, exec_lo, s3
	s_cmp_lt_u32 s5, 4
	s_barrier
	buffer_gl0_inv
	s_cbranch_scc1 .LBB162_33
; %bb.32:                               ;   in Loop: Header=BB162_27 Depth=2
	s_mov_b32 s5, s38
	s_branch .LBB162_27
.LBB162_33:                             ;   in Loop: Header=BB162_4 Depth=1
	s_and_saveexec_b32 s3, s0
	s_cbranch_execz .LBB162_35
; %bb.34:                               ;   in Loop: Header=BB162_4 Depth=1
	ds_store_b32 v13, v16 offset:4
.LBB162_35:                             ;   in Loop: Header=BB162_4 Depth=1
	s_or_b32 exec_lo, exec_lo, s3
	s_waitcnt lgkmcnt(0)
	s_barrier
	buffer_gl0_inv
	s_and_saveexec_b32 s3, s1
	s_cbranch_execz .LBB162_37
; %bb.36:                               ;   in Loop: Header=BB162_4 Depth=1
	ds_load_b32 v16, v13 offset:4
.LBB162_37:                             ;   in Loop: Header=BB162_4 Depth=1
	s_or_b32 exec_lo, exec_lo, s3
.LBB162_38:                             ;   in Loop: Header=BB162_4 Depth=1
	s_waitcnt lgkmcnt(0)
	v_mul_f32_e32 v17, s7, v15
	s_add_u32 s4, s14, s22
	s_addc_u32 s5, s15, s23
	s_and_not1_b32 vcc_lo, exec_lo, s27
	s_cbranch_vccnz .LBB162_43
; %bb.39:                               ;   in Loop: Header=BB162_4 Depth=1
	s_and_saveexec_b32 s22, s2
	s_cbranch_execz .LBB162_42
; %bb.40:                               ;   in Loop: Header=BB162_4 Depth=1
	v_dual_mov_b32 v5, v3 :: v_dual_mov_b32 v4, v2
	v_dual_mov_b32 v7, v1 :: v_dual_mov_b32 v6, v0
	s_mov_b32 s23, 0
	s_set_inst_prefetch_distance 0x1
	.p2align	6
.LBB162_41:                             ;   Parent Loop BB162_4 Depth=1
                                        ; =>  This Inner Loop Header: Depth=2
	s_delay_alu instid0(VALU_DEP_1) | instskip(NEXT) | instid1(VALU_DEP_1)
	v_lshlrev_b64 v[18:19], 1, v[6:7]
	v_add_co_u32 v6, vcc_lo, s34, v18
	s_delay_alu instid0(VALU_DEP_2)
	v_add_co_ci_u32_e32 v7, vcc_lo, s35, v19, vcc_lo
	v_add_co_u32 v20, vcc_lo, s36, v18
	v_add_co_ci_u32_e32 v21, vcc_lo, s37, v19, vcc_lo
	global_load_u16 v22, v[6:7], off
	global_load_u16 v20, v[20:21], off
	v_add_co_u32 v6, vcc_lo, s12, v18
	v_add_co_ci_u32_e32 v7, vcc_lo, s13, v19, vcc_lo
	v_add_co_u32 v4, vcc_lo, v4, s30
	v_add_co_ci_u32_e32 v5, vcc_lo, s31, v5, vcc_lo
	global_load_u16 v6, v[6:7], off
	v_add_co_u32 v18, s3, s4, v18
	v_cmp_le_i64_e32 vcc_lo, s[10:11], v[4:5]
	v_add_co_ci_u32_e64 v19, s3, s5, v19, s3
	s_or_b32 s23, vcc_lo, s23
	s_waitcnt vmcnt(2)
	v_cvt_f32_f16_e32 v7, v22
	s_waitcnt vmcnt(1)
	v_cvt_f32_f16_e32 v20, v20
	s_delay_alu instid0(VALU_DEP_1) | instskip(NEXT) | instid1(VALU_DEP_1)
	v_dual_mul_f32 v7, s7, v7 :: v_dual_mul_f32 v20, v8, v20
	v_mul_f32_e32 v21, v16, v7
	v_ashrrev_i32_e32 v7, 31, v4
	s_waitcnt vmcnt(0)
	s_delay_alu instid0(VALU_DEP_2) | instskip(NEXT) | instid1(VALU_DEP_1)
	v_fma_mix_f32 v6, v20, v6, -v21 op_sel_hi:[0,1,0]
	v_fma_mixlo_f16 v20, v17, v6, 0
	v_mov_b32_e32 v6, v4
	global_store_b16 v[18:19], v20, off
	s_and_not1_b32 exec_lo, exec_lo, s23
	s_cbranch_execnz .LBB162_41
.LBB162_42:                             ;   in Loop: Header=BB162_4 Depth=1
	s_set_inst_prefetch_distance 0x2
	s_or_b32 exec_lo, exec_lo, s22
	s_cbranch_execnz .LBB162_3
	s_branch .LBB162_44
.LBB162_43:                             ;   in Loop: Header=BB162_4 Depth=1
.LBB162_44:                             ;   in Loop: Header=BB162_4 Depth=1
	s_and_saveexec_b32 s22, s2
	s_cbranch_execz .LBB162_2
; %bb.45:                               ;   in Loop: Header=BB162_4 Depth=1
	v_dual_mov_b32 v5, v3 :: v_dual_mov_b32 v4, v2
	v_dual_mov_b32 v7, v1 :: v_dual_mov_b32 v6, v0
	s_mov_b32 s23, 0
	s_set_inst_prefetch_distance 0x1
	.p2align	6
.LBB162_46:                             ;   Parent Loop BB162_4 Depth=1
                                        ; =>  This Inner Loop Header: Depth=2
	s_delay_alu instid0(VALU_DEP_1) | instskip(NEXT) | instid1(VALU_DEP_1)
	v_lshlrev_b64 v[18:19], 1, v[6:7]
	v_add_co_u32 v6, vcc_lo, s34, v18
	s_delay_alu instid0(VALU_DEP_2)
	v_add_co_ci_u32_e32 v7, vcc_lo, s35, v19, vcc_lo
	global_load_u16 v20, v[6:7], off
	v_add_co_u32 v6, vcc_lo, s36, v18
	v_add_co_ci_u32_e32 v7, vcc_lo, s37, v19, vcc_lo
	v_add_co_u32 v4, vcc_lo, v4, s30
	v_add_co_ci_u32_e32 v5, vcc_lo, s31, v5, vcc_lo
	global_load_u16 v6, v[6:7], off
	v_add_co_u32 v18, s3, s4, v18
	v_cmp_le_i64_e32 vcc_lo, s[10:11], v[4:5]
	v_add_co_ci_u32_e64 v19, s3, s5, v19, s3
	s_or_b32 s23, vcc_lo, s23
	s_waitcnt vmcnt(1)
	v_cvt_f32_f16_e32 v7, v20
	s_delay_alu instid0(VALU_DEP_1) | instskip(NEXT) | instid1(VALU_DEP_1)
	v_mul_f32_e32 v7, s7, v7
	v_mul_f32_e32 v20, v16, v7
	v_ashrrev_i32_e32 v7, 31, v4
	s_waitcnt vmcnt(0)
	s_delay_alu instid0(VALU_DEP_2) | instskip(NEXT) | instid1(VALU_DEP_1)
	v_fma_mix_f32 v6, v8, v6, -v20 op_sel_hi:[0,1,0]
	v_fma_mixlo_f16 v20, v17, v6, 0
	v_mov_b32_e32 v6, v4
	global_store_b16 v[18:19], v20, off
	s_and_not1_b32 exec_lo, exec_lo, s23
	s_cbranch_execnz .LBB162_46
	s_branch .LBB162_2
.LBB162_47:
	s_endpgm
	.section	.rodata,"a",@progbits
	.p2align	6, 0x0
	.amdhsa_kernel _ZN2at6native12_GLOBAL__N_118cuComputeGradInputIN3c104HalfEfLb1EEEvPKT_S7_llPKT0_SA_S7_PS5_
		.amdhsa_group_segment_fixed_size 0
		.amdhsa_private_segment_fixed_size 0
		.amdhsa_kernarg_size 320
		.amdhsa_user_sgpr_count 14
		.amdhsa_user_sgpr_dispatch_ptr 0
		.amdhsa_user_sgpr_queue_ptr 0
		.amdhsa_user_sgpr_kernarg_segment_ptr 1
		.amdhsa_user_sgpr_dispatch_id 0
		.amdhsa_user_sgpr_private_segment_size 0
		.amdhsa_wavefront_size32 1
		.amdhsa_uses_dynamic_stack 0
		.amdhsa_enable_private_segment 0
		.amdhsa_system_sgpr_workgroup_id_x 1
		.amdhsa_system_sgpr_workgroup_id_y 1
		.amdhsa_system_sgpr_workgroup_id_z 0
		.amdhsa_system_sgpr_workgroup_info 0
		.amdhsa_system_vgpr_workitem_id 1
		.amdhsa_next_free_vgpr 23
		.amdhsa_next_free_sgpr 39
		.amdhsa_reserve_vcc 1
		.amdhsa_float_round_mode_32 0
		.amdhsa_float_round_mode_16_64 0
		.amdhsa_float_denorm_mode_32 3
		.amdhsa_float_denorm_mode_16_64 3
		.amdhsa_dx10_clamp 1
		.amdhsa_ieee_mode 1
		.amdhsa_fp16_overflow 0
		.amdhsa_workgroup_processor_mode 1
		.amdhsa_memory_ordered 1
		.amdhsa_forward_progress 0
		.amdhsa_shared_vgpr_count 0
		.amdhsa_exception_fp_ieee_invalid_op 0
		.amdhsa_exception_fp_denorm_src 0
		.amdhsa_exception_fp_ieee_div_zero 0
		.amdhsa_exception_fp_ieee_overflow 0
		.amdhsa_exception_fp_ieee_underflow 0
		.amdhsa_exception_fp_ieee_inexact 0
		.amdhsa_exception_int_div_zero 0
	.end_amdhsa_kernel
	.section	.text._ZN2at6native12_GLOBAL__N_118cuComputeGradInputIN3c104HalfEfLb1EEEvPKT_S7_llPKT0_SA_S7_PS5_,"axG",@progbits,_ZN2at6native12_GLOBAL__N_118cuComputeGradInputIN3c104HalfEfLb1EEEvPKT_S7_llPKT0_SA_S7_PS5_,comdat
.Lfunc_end162:
	.size	_ZN2at6native12_GLOBAL__N_118cuComputeGradInputIN3c104HalfEfLb1EEEvPKT_S7_llPKT0_SA_S7_PS5_, .Lfunc_end162-_ZN2at6native12_GLOBAL__N_118cuComputeGradInputIN3c104HalfEfLb1EEEvPKT_S7_llPKT0_SA_S7_PS5_
                                        ; -- End function
	.section	.AMDGPU.csdata,"",@progbits
; Kernel info:
; codeLenInByte = 1744
; NumSgprs: 41
; NumVgprs: 23
; ScratchSize: 0
; MemoryBound: 0
; FloatMode: 240
; IeeeMode: 1
; LDSByteSize: 0 bytes/workgroup (compile time only)
; SGPRBlocks: 5
; VGPRBlocks: 2
; NumSGPRsForWavesPerEU: 41
; NumVGPRsForWavesPerEU: 23
; Occupancy: 16
; WaveLimiterHint : 0
; COMPUTE_PGM_RSRC2:SCRATCH_EN: 0
; COMPUTE_PGM_RSRC2:USER_SGPR: 14
; COMPUTE_PGM_RSRC2:TRAP_HANDLER: 0
; COMPUTE_PGM_RSRC2:TGID_X_EN: 1
; COMPUTE_PGM_RSRC2:TGID_Y_EN: 1
; COMPUTE_PGM_RSRC2:TGID_Z_EN: 0
; COMPUTE_PGM_RSRC2:TIDIG_COMP_CNT: 1
	.section	.text._ZN2at6native12_GLOBAL__N_128layer_norm_grad_input_kernelIN3c104HalfEfLb1EEEvPKT_S7_PKT0_SA_S7_PS5_i,"axG",@progbits,_ZN2at6native12_GLOBAL__N_128layer_norm_grad_input_kernelIN3c104HalfEfLb1EEEvPKT_S7_PKT0_SA_S7_PS5_i,comdat
	.globl	_ZN2at6native12_GLOBAL__N_128layer_norm_grad_input_kernelIN3c104HalfEfLb1EEEvPKT_S7_PKT0_SA_S7_PS5_i ; -- Begin function _ZN2at6native12_GLOBAL__N_128layer_norm_grad_input_kernelIN3c104HalfEfLb1EEEvPKT_S7_PKT0_SA_S7_PS5_i
	.p2align	8
	.type	_ZN2at6native12_GLOBAL__N_128layer_norm_grad_input_kernelIN3c104HalfEfLb1EEEvPKT_S7_PKT0_SA_S7_PS5_i,@function
_ZN2at6native12_GLOBAL__N_128layer_norm_grad_input_kernelIN3c104HalfEfLb1EEEvPKT_S7_PKT0_SA_S7_PS5_i: ; @_ZN2at6native12_GLOBAL__N_128layer_norm_grad_input_kernelIN3c104HalfEfLb1EEEvPKT_S7_PKT0_SA_S7_PS5_i
; %bb.0:
	s_clause 0x2
	s_load_b32 s12, s[0:1], 0x30
	s_load_b128 s[4:7], s[0:1], 0x18
	s_load_b128 s[8:11], s[0:1], 0x0
	s_mov_b32 s2, s15
	s_mov_b32 s3, 0
	v_lshlrev_b32_e32 v1, 2, v0
	v_mov_b32_e32 v9, 0
	s_delay_alu instid0(VALU_DEP_2)
	v_or_b32_e32 v2, 3, v1
	s_waitcnt lgkmcnt(0)
	s_ashr_i32 s13, s12, 31
	s_mul_hi_u32 s16, s12, s15
	s_mul_i32 s13, s13, s15
	s_lshl_b64 s[14:15], s[2:3], 2
	s_add_i32 s17, s16, s13
	s_add_u32 s4, s4, s14
	s_addc_u32 s5, s5, s15
	s_mul_i32 s16, s12, s2
	s_load_b32 s13, s[4:5], 0x0
	s_lshl_b64 s[4:5], s[16:17], 1
	s_mov_b32 s2, exec_lo
	s_add_u32 s14, s10, s4
	s_addc_u32 s15, s11, s5
	s_add_u32 s16, s8, s4
	s_addc_u32 s17, s9, s5
	v_cmpx_gt_u32_e64 s12, v2
	s_cbranch_execz .LBB163_12
; %bb.1:
	s_load_b32 s19, s[0:1], 0x44
	s_cmp_lg_u64 s[6:7], 0
	v_dual_mov_b32 v2, 0 :: v_dual_mov_b32 v9, 0
	s_cselect_b32 s18, -1, 0
	s_waitcnt lgkmcnt(0)
	s_and_b32 s19, s19, 0xffff
	s_delay_alu instid0(SALU_CYCLE_1)
	s_lshl_b32 s19, s19, 2
	s_add_u32 s20, s6, 2
	s_addc_u32 s21, s7, 0
	s_add_u32 s22, s6, 4
	s_addc_u32 s23, s7, 0
	;; [unrolled: 2-line block ×3, first 2 shown]
	s_branch .LBB163_3
.LBB163_2:                              ;   in Loop: Header=BB163_3 Depth=1
	global_load_u16 v5, v[5:6], off offset:6
	global_load_u16 v3, v[3:4], off offset:6
	s_waitcnt vmcnt(6)
	v_cvt_f32_f16_e32 v4, v13
	v_cvt_f32_f16_e32 v6, v12
	s_waitcnt vmcnt(4)
	v_cvt_f32_f16_e32 v7, v16
	s_waitcnt vmcnt(2)
	v_cvt_f32_f16_e32 v8, v19
	v_dual_mul_f32 v4, v11, v4 :: v_dual_add_nc_u32 v1, s19, v1
	s_delay_alu instid0(VALU_DEP_1) | instskip(SKIP_1) | instid1(VALU_DEP_1)
	v_dual_mul_f32 v7, v10, v7 :: v_dual_mul_f32 v4, v4, v6
	v_cvt_f32_f16_e32 v6, v15
	v_dual_fmac_f32 v9, s13, v4 :: v_dual_mul_f32 v4, v7, v6
	v_cvt_f32_f16_e32 v6, v18
	v_mul_f32_e32 v7, v17, v8
	s_delay_alu instid0(VALU_DEP_1) | instskip(NEXT) | instid1(VALU_DEP_1)
	v_dual_fmac_f32 v9, s13, v4 :: v_dual_mul_f32 v4, v7, v6
	v_dual_fmac_f32 v9, s13, v4 :: v_dual_add_nc_u32 v6, 3, v1
	s_delay_alu instid0(VALU_DEP_1)
	v_cmp_le_u32_e32 vcc_lo, s12, v6
	s_or_b32 s3, vcc_lo, s3
	s_waitcnt vmcnt(1)
	v_cvt_f32_f16_e32 v5, v5
	s_waitcnt vmcnt(0)
	v_cvt_f32_f16_e32 v3, v3
	s_delay_alu instid0(VALU_DEP_2) | instskip(NEXT) | instid1(VALU_DEP_1)
	v_mul_f32_e32 v5, v14, v5
	v_mul_f32_e32 v3, v5, v3
	s_delay_alu instid0(VALU_DEP_1)
	v_fmac_f32_e32 v9, s13, v3
	s_and_not1_b32 exec_lo, exec_lo, s3
	s_cbranch_execz .LBB163_11
.LBB163_3:                              ; =>This Inner Loop Header: Depth=1
	v_lshlrev_b64 v[7:8], 1, v[1:2]
	v_dual_mov_b32 v10, 1.0 :: v_dual_mov_b32 v11, 1.0
	s_and_b32 vcc_lo, exec_lo, s18
	s_cbranch_vccz .LBB163_5
; %bb.4:                                ;   in Loop: Header=BB163_3 Depth=1
	s_delay_alu instid0(VALU_DEP_2) | instskip(NEXT) | instid1(VALU_DEP_3)
	v_add_co_u32 v3, vcc_lo, s6, v7
	v_add_co_ci_u32_e32 v4, vcc_lo, s7, v8, vcc_lo
	global_load_u16 v3, v[3:4], off
	s_waitcnt vmcnt(0)
	v_cvt_f32_f16_e32 v11, v3
.LBB163_5:                              ;   in Loop: Header=BB163_3 Depth=1
	s_delay_alu instid0(VALU_DEP_2) | instskip(NEXT) | instid1(VALU_DEP_3)
	v_add_co_u32 v3, vcc_lo, s14, v7
	v_add_co_ci_u32_e32 v4, vcc_lo, s15, v8, vcc_lo
	v_add_co_u32 v5, vcc_lo, s16, v7
	v_add_co_ci_u32_e32 v6, vcc_lo, s17, v8, vcc_lo
	s_and_not1_b32 vcc_lo, exec_lo, s18
	global_load_u16 v12, v[3:4], off
	global_load_u16 v13, v[5:6], off
	s_cbranch_vccnz .LBB163_7
; %bb.6:                                ;   in Loop: Header=BB163_3 Depth=1
	v_add_co_u32 v14, vcc_lo, s20, v7
	v_add_co_ci_u32_e32 v15, vcc_lo, s21, v8, vcc_lo
	global_load_u16 v10, v[14:15], off
	s_waitcnt vmcnt(0)
	v_cvt_f32_f16_e32 v10, v10
.LBB163_7:                              ;   in Loop: Header=BB163_3 Depth=1
	global_load_u16 v15, v[3:4], off offset:2
	global_load_u16 v16, v[5:6], off offset:2
	v_dual_mov_b32 v14, 1.0 :: v_dual_mov_b32 v17, 1.0
	s_and_not1_b32 vcc_lo, exec_lo, s18
	s_cbranch_vccnz .LBB163_9
; %bb.8:                                ;   in Loop: Header=BB163_3 Depth=1
	v_add_co_u32 v17, vcc_lo, s22, v7
	v_add_co_ci_u32_e32 v18, vcc_lo, s23, v8, vcc_lo
	global_load_u16 v17, v[17:18], off
	s_waitcnt vmcnt(0)
	v_cvt_f32_f16_e32 v17, v17
.LBB163_9:                              ;   in Loop: Header=BB163_3 Depth=1
	global_load_u16 v18, v[3:4], off offset:4
	global_load_u16 v19, v[5:6], off offset:4
	s_and_not1_b32 vcc_lo, exec_lo, s18
	s_cbranch_vccnz .LBB163_2
; %bb.10:                               ;   in Loop: Header=BB163_3 Depth=1
	v_add_co_u32 v7, vcc_lo, s24, v7
	v_add_co_ci_u32_e32 v8, vcc_lo, s25, v8, vcc_lo
	global_load_u16 v7, v[7:8], off
	s_waitcnt vmcnt(0)
	v_cvt_f32_f16_e32 v14, v7
	s_branch .LBB163_2
.LBB163_11:
	s_or_b32 exec_lo, exec_lo, s3
.LBB163_12:
	s_delay_alu instid0(SALU_CYCLE_1) | instskip(NEXT) | instid1(SALU_CYCLE_1)
	s_or_b32 exec_lo, exec_lo, s2
	s_mov_b32 s3, exec_lo
	v_cmpx_gt_u32_e64 s12, v1
	s_cbranch_execz .LBB163_19
; %bb.13:
	v_mov_b32_e32 v2, 0
	s_cmp_lg_u64 s[6:7], 0
	s_delay_alu instid0(VALU_DEP_1) | instskip(NEXT) | instid1(VALU_DEP_1)
	v_lshlrev_b64 v[2:3], 1, v[1:2]
	v_add_co_u32 v6, vcc_lo, s4, v2
	s_delay_alu instid0(VALU_DEP_2) | instskip(SKIP_2) | instid1(VALU_DEP_4)
	v_add_co_ci_u32_e32 v7, vcc_lo, s5, v3, vcc_lo
	v_add_co_u32 v2, vcc_lo, s6, v2
	v_add_co_ci_u32_e32 v3, vcc_lo, s7, v3, vcc_lo
	v_add_co_u32 v4, vcc_lo, s10, v6
	s_delay_alu instid0(VALU_DEP_4)
	v_add_co_ci_u32_e32 v5, vcc_lo, s11, v7, vcc_lo
	v_add_co_u32 v6, vcc_lo, s8, v6
	v_add_co_ci_u32_e32 v7, vcc_lo, s9, v7, vcc_lo
	s_cselect_b32 s8, -1, 0
	s_mov_b32 s9, 0
	s_set_inst_prefetch_distance 0x1
	s_branch .LBB163_16
	.p2align	6
.LBB163_14:                             ;   in Loop: Header=BB163_16 Depth=1
	global_load_u16 v8, v[2:3], off
	s_waitcnt vmcnt(0)
	v_cvt_f32_f16_e32 v8, v8
.LBB163_15:                             ;   in Loop: Header=BB163_16 Depth=1
	global_load_u16 v10, v[6:7], off
	global_load_u16 v11, v[4:5], off
	v_add_co_u32 v2, vcc_lo, v2, 2
	v_add_co_ci_u32_e32 v3, vcc_lo, 0, v3, vcc_lo
	v_add_co_u32 v4, vcc_lo, v4, 2
	v_add_co_ci_u32_e32 v5, vcc_lo, 0, v5, vcc_lo
	v_add_co_u32 v6, s2, v6, 2
	s_delay_alu instid0(VALU_DEP_1)
	v_add_co_ci_u32_e64 v7, s2, 0, v7, s2
	s_waitcnt vmcnt(1)
	v_cvt_f32_f16_e32 v10, v10
	v_add_nc_u32_e32 v1, 1, v1
	s_waitcnt vmcnt(0)
	v_cvt_f32_f16_e32 v11, v11
	s_delay_alu instid0(VALU_DEP_3) | instskip(NEXT) | instid1(VALU_DEP_3)
	v_mul_f32_e32 v8, v8, v10
	v_cmp_le_u32_e32 vcc_lo, s12, v1
	s_delay_alu instid0(VALU_DEP_2) | instskip(SKIP_2) | instid1(VALU_DEP_1)
	v_mul_f32_e32 v8, v8, v11
	s_or_b32 s9, vcc_lo, s9
	s_waitcnt lgkmcnt(0)
	v_fmac_f32_e32 v9, s13, v8
	s_and_not1_b32 exec_lo, exec_lo, s9
	s_cbranch_execz .LBB163_18
.LBB163_16:                             ; =>This Inner Loop Header: Depth=1
	s_and_not1_b32 vcc_lo, exec_lo, s8
	s_cbranch_vccz .LBB163_14
; %bb.17:                               ;   in Loop: Header=BB163_16 Depth=1
	v_mov_b32_e32 v8, 1.0
	s_branch .LBB163_15
.LBB163_18:
	s_set_inst_prefetch_distance 0x2
	s_or_b32 exec_lo, exec_lo, s9
.LBB163_19:
	s_delay_alu instid0(SALU_CYCLE_1)
	s_or_b32 exec_lo, exec_lo, s3
	v_mbcnt_lo_u32_b32 v5, -1, 0
	s_mov_b32 s2, exec_lo
	s_waitcnt lgkmcnt(0)
	s_barrier
	buffer_gl0_inv
	v_cmp_gt_u32_e32 vcc_lo, 16, v5
	v_cndmask_b32_e64 v1, 0, 1, vcc_lo
	v_cmp_gt_u32_e32 vcc_lo, 24, v5
	s_delay_alu instid0(VALU_DEP_2) | instskip(SKIP_2) | instid1(VALU_DEP_3)
	v_lshlrev_b32_e32 v1, 4, v1
	v_cndmask_b32_e64 v2, 0, 1, vcc_lo
	v_cmp_gt_u32_e32 vcc_lo, 28, v5
	v_add_lshl_u32 v1, v1, v5, 2
	s_delay_alu instid0(VALU_DEP_3)
	v_lshlrev_b32_e32 v2, 3, v2
	ds_bpermute_b32 v3, v1, v9
	v_add_lshl_u32 v2, v2, v5, 2
	s_waitcnt lgkmcnt(0)
	v_add_f32_e32 v4, v9, v3
	v_cndmask_b32_e64 v3, 0, 1, vcc_lo
	v_cmp_gt_u32_e32 vcc_lo, 30, v5
	ds_bpermute_b32 v6, v2, v4
	s_waitcnt lgkmcnt(0)
	v_dual_add_f32 v6, v4, v6 :: v_dual_lshlrev_b32 v3, 2, v3
	s_delay_alu instid0(VALU_DEP_1) | instskip(SKIP_4) | instid1(VALU_DEP_1)
	v_add_lshl_u32 v3, v3, v5, 2
	v_cndmask_b32_e64 v4, 0, 1, vcc_lo
	v_cmp_ne_u32_e32 vcc_lo, 31, v5
	ds_bpermute_b32 v7, v3, v6
	v_lshlrev_b32_e32 v4, 1, v4
	v_add_lshl_u32 v4, v4, v5, 2
	v_add_co_ci_u32_e32 v5, vcc_lo, 0, v5, vcc_lo
	s_waitcnt lgkmcnt(0)
	s_delay_alu instid0(VALU_DEP_1)
	v_dual_add_f32 v6, v6, v7 :: v_dual_lshlrev_b32 v5, 2, v5
	ds_bpermute_b32 v7, v4, v6
	s_waitcnt lgkmcnt(0)
	v_dual_add_f32 v7, v6, v7 :: v_dual_and_b32 v6, 31, v0
	ds_bpermute_b32 v8, v5, v7
	v_cmpx_eq_u32_e32 0, v6
	s_cbranch_execz .LBB163_21
; %bb.20:
	v_lshrrev_b32_e32 v9, 3, v0
	s_waitcnt lgkmcnt(0)
	v_add_f32_e32 v7, v7, v8
	s_delay_alu instid0(VALU_DEP_2)
	v_add_nc_u32_e32 v9, 0, v9
	ds_store_b32 v9, v7
.LBB163_21:
	s_or_b32 exec_lo, exec_lo, s2
	s_waitcnt lgkmcnt(0)
	s_barrier
	buffer_gl0_inv
	s_load_b32 s2, s[0:1], 0x44
	v_mov_b32_e32 v7, 0
	s_waitcnt lgkmcnt(0)
	s_bfe_u32 s3, s2, 0xb0005
	s_delay_alu instid0(SALU_CYCLE_1)
	v_cmp_gt_u32_e32 vcc_lo, s3, v0
	s_and_saveexec_b32 s3, vcc_lo
	s_cbranch_execz .LBB163_23
; %bb.22:
	v_lshl_add_u32 v6, v6, 2, 0
	ds_load_b32 v7, v6
.LBB163_23:
	s_or_b32 exec_lo, exec_lo, s3
	s_delay_alu instid0(SALU_CYCLE_1)
	s_mov_b32 s3, exec_lo
	v_cmpx_gt_u32_e32 32, v0
	s_cbranch_execz .LBB163_25
; %bb.24:
	s_waitcnt lgkmcnt(0)
	ds_bpermute_b32 v1, v1, v7
	s_waitcnt lgkmcnt(0)
	v_add_f32_e32 v1, v7, v1
	ds_bpermute_b32 v2, v2, v1
	s_waitcnt lgkmcnt(0)
	v_add_f32_e32 v1, v1, v2
	;; [unrolled: 3-line block ×5, first 2 shown]
.LBB163_25:
	s_or_b32 exec_lo, exec_lo, s3
	s_delay_alu instid0(SALU_CYCLE_1)
	s_mov_b32 s3, exec_lo
	v_cmpx_eq_u32_e32 0, v0
	s_cbranch_execz .LBB163_27
; %bb.26:
	v_mov_b32_e32 v1, 0
	s_waitcnt lgkmcnt(0)
	ds_store_b32 v1, v7 offset:4
.LBB163_27:
	s_or_b32 exec_lo, exec_lo, s3
	s_waitcnt lgkmcnt(0)
	s_barrier
	buffer_gl0_inv
	s_mov_b32 s3, exec_lo
	v_cmpx_gt_i32_e64 s12, v0
	s_cbranch_execz .LBB163_33
; %bb.28:
	v_cvt_f32_i32_e32 v3, s12
	s_load_b64 s[8:9], s[0:1], 0x28
	s_and_b32 s1, s2, 0xffff
	s_delay_alu instid0(VALU_DEP_1) | instskip(SKIP_1) | instid1(VALU_DEP_2)
	v_div_scale_f32 v1, null, v3, v3, 1.0
	v_div_scale_f32 v5, vcc_lo, 1.0, v3, 1.0
	v_rcp_f32_e32 v2, v1
	s_waitcnt_depctr 0xfff
	v_fma_f32 v4, -v1, v2, 1.0
	s_waitcnt lgkmcnt(0)
	s_add_u32 s2, s8, s4
	s_addc_u32 s3, s9, s5
	s_cmp_lg_u64 s[6:7], 0
	s_mov_b32 s5, 0
	v_fmac_f32_e32 v2, v4, v2
	s_cselect_b32 s4, -1, 0
	s_delay_alu instid0(VALU_DEP_1) | instskip(NEXT) | instid1(VALU_DEP_1)
	v_mul_f32_e32 v6, v5, v2
	v_fma_f32 v4, -v1, v6, v5
	s_delay_alu instid0(VALU_DEP_1) | instskip(SKIP_1) | instid1(VALU_DEP_2)
	v_fmac_f32_e32 v6, v4, v2
	v_mov_b32_e32 v4, 0
	v_fma_f32 v1, -v1, v6, v5
	ds_load_b32 v4, v4 offset:4
	v_div_fmas_f32 v1, v1, v2, v6
	s_delay_alu instid0(VALU_DEP_1) | instskip(NEXT) | instid1(VALU_DEP_1)
	v_div_fixup_f32 v1, v1, v3, 1.0
	v_mul_f32_e32 v5, s13, v1
	s_set_inst_prefetch_distance 0x1
	s_branch .LBB163_31
	.p2align	6
.LBB163_29:                             ;   in Loop: Header=BB163_31 Depth=1
	v_add_co_u32 v8, vcc_lo, s6, v1
	v_add_co_ci_u32_e32 v9, vcc_lo, s7, v2, vcc_lo
	global_load_u16 v8, v[8:9], off
	s_waitcnt vmcnt(0)
	v_cvt_f32_f16_e32 v8, v8
.LBB163_30:                             ;   in Loop: Header=BB163_31 Depth=1
	s_waitcnt vmcnt(1)
	v_cvt_f32_f16_e32 v7, v7
	s_delay_alu instid0(VALU_DEP_2) | instskip(SKIP_1) | instid1(VALU_DEP_1)
	v_mul_f32_e32 v8, v8, v3
	v_add_co_u32 v1, s0, s2, v1
	v_add_co_ci_u32_e64 v2, s0, s3, v2, s0
	s_delay_alu instid0(VALU_DEP_4) | instskip(SKIP_1) | instid1(VALU_DEP_1)
	v_dual_mul_f32 v7, s13, v7 :: v_dual_add_nc_u32 v0, s1, v0
	s_waitcnt lgkmcnt(0)
	v_mul_f32_e32 v7, v4, v7
	s_delay_alu instid0(VALU_DEP_2) | instskip(SKIP_1) | instid1(VALU_DEP_2)
	v_cmp_le_i32_e32 vcc_lo, s12, v0
	s_waitcnt vmcnt(0)
	v_fma_mix_f32 v6, v8, v6, -v7 op_sel_hi:[0,1,0]
	s_or_b32 s5, vcc_lo, s5
	s_delay_alu instid0(VALU_DEP_1)
	v_fma_mixlo_f16 v6, v5, v6, 0
	global_store_b16 v[1:2], v6, off
	s_and_not1_b32 exec_lo, exec_lo, s5
	s_cbranch_execz .LBB163_33
.LBB163_31:                             ; =>This Inner Loop Header: Depth=1
	v_ashrrev_i32_e32 v1, 31, v0
	s_delay_alu instid0(VALU_DEP_1) | instskip(NEXT) | instid1(VALU_DEP_1)
	v_lshlrev_b64 v[1:2], 1, v[0:1]
	v_add_co_u32 v6, vcc_lo, s14, v1
	s_delay_alu instid0(VALU_DEP_2)
	v_add_co_ci_u32_e32 v7, vcc_lo, s15, v2, vcc_lo
	v_add_co_u32 v8, vcc_lo, s16, v1
	v_add_co_ci_u32_e32 v9, vcc_lo, s17, v2, vcc_lo
	s_and_not1_b32 vcc_lo, exec_lo, s4
	global_load_u16 v7, v[6:7], off
	global_load_u16 v6, v[8:9], off
	s_cbranch_vccz .LBB163_29
; %bb.32:                               ;   in Loop: Header=BB163_31 Depth=1
	v_mov_b32_e32 v8, 1.0
	s_branch .LBB163_30
.LBB163_33:
	s_set_inst_prefetch_distance 0x2
	s_nop 0
	s_sendmsg sendmsg(MSG_DEALLOC_VGPRS)
	s_endpgm
	.section	.rodata,"a",@progbits
	.p2align	6, 0x0
	.amdhsa_kernel _ZN2at6native12_GLOBAL__N_128layer_norm_grad_input_kernelIN3c104HalfEfLb1EEEvPKT_S7_PKT0_SA_S7_PS5_i
		.amdhsa_group_segment_fixed_size 0
		.amdhsa_private_segment_fixed_size 0
		.amdhsa_kernarg_size 312
		.amdhsa_user_sgpr_count 15
		.amdhsa_user_sgpr_dispatch_ptr 0
		.amdhsa_user_sgpr_queue_ptr 0
		.amdhsa_user_sgpr_kernarg_segment_ptr 1
		.amdhsa_user_sgpr_dispatch_id 0
		.amdhsa_user_sgpr_private_segment_size 0
		.amdhsa_wavefront_size32 1
		.amdhsa_uses_dynamic_stack 0
		.amdhsa_enable_private_segment 0
		.amdhsa_system_sgpr_workgroup_id_x 1
		.amdhsa_system_sgpr_workgroup_id_y 0
		.amdhsa_system_sgpr_workgroup_id_z 0
		.amdhsa_system_sgpr_workgroup_info 0
		.amdhsa_system_vgpr_workitem_id 0
		.amdhsa_next_free_vgpr 20
		.amdhsa_next_free_sgpr 26
		.amdhsa_reserve_vcc 1
		.amdhsa_float_round_mode_32 0
		.amdhsa_float_round_mode_16_64 0
		.amdhsa_float_denorm_mode_32 3
		.amdhsa_float_denorm_mode_16_64 3
		.amdhsa_dx10_clamp 1
		.amdhsa_ieee_mode 1
		.amdhsa_fp16_overflow 0
		.amdhsa_workgroup_processor_mode 1
		.amdhsa_memory_ordered 1
		.amdhsa_forward_progress 0
		.amdhsa_shared_vgpr_count 0
		.amdhsa_exception_fp_ieee_invalid_op 0
		.amdhsa_exception_fp_denorm_src 0
		.amdhsa_exception_fp_ieee_div_zero 0
		.amdhsa_exception_fp_ieee_overflow 0
		.amdhsa_exception_fp_ieee_underflow 0
		.amdhsa_exception_fp_ieee_inexact 0
		.amdhsa_exception_int_div_zero 0
	.end_amdhsa_kernel
	.section	.text._ZN2at6native12_GLOBAL__N_128layer_norm_grad_input_kernelIN3c104HalfEfLb1EEEvPKT_S7_PKT0_SA_S7_PS5_i,"axG",@progbits,_ZN2at6native12_GLOBAL__N_128layer_norm_grad_input_kernelIN3c104HalfEfLb1EEEvPKT_S7_PKT0_SA_S7_PS5_i,comdat
.Lfunc_end163:
	.size	_ZN2at6native12_GLOBAL__N_128layer_norm_grad_input_kernelIN3c104HalfEfLb1EEEvPKT_S7_PKT0_SA_S7_PS5_i, .Lfunc_end163-_ZN2at6native12_GLOBAL__N_128layer_norm_grad_input_kernelIN3c104HalfEfLb1EEEvPKT_S7_PKT0_SA_S7_PS5_i
                                        ; -- End function
	.section	.AMDGPU.csdata,"",@progbits
; Kernel info:
; codeLenInByte = 1804
; NumSgprs: 28
; NumVgprs: 20
; ScratchSize: 0
; MemoryBound: 0
; FloatMode: 240
; IeeeMode: 1
; LDSByteSize: 0 bytes/workgroup (compile time only)
; SGPRBlocks: 3
; VGPRBlocks: 2
; NumSGPRsForWavesPerEU: 28
; NumVGPRsForWavesPerEU: 20
; Occupancy: 16
; WaveLimiterHint : 0
; COMPUTE_PGM_RSRC2:SCRATCH_EN: 0
; COMPUTE_PGM_RSRC2:USER_SGPR: 15
; COMPUTE_PGM_RSRC2:TRAP_HANDLER: 0
; COMPUTE_PGM_RSRC2:TGID_X_EN: 1
; COMPUTE_PGM_RSRC2:TGID_Y_EN: 0
; COMPUTE_PGM_RSRC2:TGID_Z_EN: 0
; COMPUTE_PGM_RSRC2:TIDIG_COMP_CNT: 0
	.section	.text._ZN2at6native12_GLOBAL__N_133GammaBetaBackwardSimpleCUDAKernelIN3c104HalfEfLb1EEEvllPKT_S7_PKT0_SA_PS5_SB_,"axG",@progbits,_ZN2at6native12_GLOBAL__N_133GammaBetaBackwardSimpleCUDAKernelIN3c104HalfEfLb1EEEvllPKT_S7_PKT0_SA_PS5_SB_,comdat
	.globl	_ZN2at6native12_GLOBAL__N_133GammaBetaBackwardSimpleCUDAKernelIN3c104HalfEfLb1EEEvllPKT_S7_PKT0_SA_PS5_SB_ ; -- Begin function _ZN2at6native12_GLOBAL__N_133GammaBetaBackwardSimpleCUDAKernelIN3c104HalfEfLb1EEEvllPKT_S7_PKT0_SA_PS5_SB_
	.p2align	8
	.type	_ZN2at6native12_GLOBAL__N_133GammaBetaBackwardSimpleCUDAKernelIN3c104HalfEfLb1EEEvllPKT_S7_PKT0_SA_PS5_SB_,@function
_ZN2at6native12_GLOBAL__N_133GammaBetaBackwardSimpleCUDAKernelIN3c104HalfEfLb1EEEvllPKT_S7_PKT0_SA_PS5_SB_: ; @_ZN2at6native12_GLOBAL__N_133GammaBetaBackwardSimpleCUDAKernelIN3c104HalfEfLb1EEEvllPKT_S7_PKT0_SA_PS5_SB_
; %bb.0:
	s_clause 0x1
	s_load_b32 s2, s[0:1], 0x4c
	s_load_b256 s[4:11], s[0:1], 0x0
	v_mov_b32_e32 v1, 0
	s_waitcnt lgkmcnt(0)
	s_and_b32 s2, s2, 0xffff
	s_delay_alu instid0(VALU_DEP_1) | instid1(SALU_CYCLE_1)
	v_mad_u64_u32 v[2:3], null, s2, s15, v[0:1]
	s_mov_b32 s2, exec_lo
	s_delay_alu instid0(VALU_DEP_1)
	v_cmpx_gt_i64_e64 s[6:7], v[2:3]
	s_cbranch_execz .LBB164_9
; %bb.1:
	s_load_b128 s[0:3], s[0:1], 0x28
	v_cmp_lt_i64_e64 s12, s[4:5], 1
	v_lshlrev_b64 v[2:3], 1, v[2:3]
	s_delay_alu instid0(VALU_DEP_2)
	s_and_b32 vcc_lo, exec_lo, s12
	s_cbranch_vccnz .LBB164_7
; %bb.2:
	s_delay_alu instid0(VALU_DEP_1) | instskip(NEXT) | instid1(VALU_DEP_2)
	v_mov_b32_e32 v0, v2
	v_dual_mov_b32 v4, 0 :: v_dual_mov_b32 v1, v3
	s_waitcnt lgkmcnt(0)
	s_cmp_lg_u64 s[2:3], 0
	s_cselect_b32 s12, -1, 0
	s_lshl_b64 s[6:7], s[6:7], 1
	s_set_inst_prefetch_distance 0x1
	s_branch .LBB164_4
	.p2align	6
.LBB164_3:                              ;   in Loop: Header=BB164_4 Depth=1
	v_add_co_u32 v0, vcc_lo, v0, s6
	s_add_u32 s4, s4, -1
	s_delay_alu instid0(VALU_DEP_2)
	v_add_f32_e32 v4, v4, v5
	s_addc_u32 s5, s5, -1
	v_add_co_ci_u32_e32 v1, vcc_lo, s7, v1, vcc_lo
	s_add_u32 s0, s0, 4
	s_addc_u32 s1, s1, 0
	s_cmp_eq_u64 s[4:5], 0
	s_cbranch_scc1 .LBB164_6
.LBB164_4:                              ; =>This Inner Loop Header: Depth=1
	v_mov_b32_e32 v5, 0
	s_and_not1_b32 vcc_lo, exec_lo, s12
	s_cbranch_vccnz .LBB164_3
; %bb.5:                                ;   in Loop: Header=BB164_4 Depth=1
	v_add_co_u32 v5, vcc_lo, s8, v0
	v_add_co_ci_u32_e32 v6, vcc_lo, s9, v1, vcc_lo
	v_add_co_u32 v7, vcc_lo, s10, v0
	v_add_co_ci_u32_e32 v8, vcc_lo, s11, v1, vcc_lo
	global_load_u16 v5, v[5:6], off
	global_load_u16 v6, v[7:8], off
	s_load_b32 s13, s[0:1], 0x0
	s_waitcnt vmcnt(1)
	v_cvt_f32_f16_e32 v5, v5
	s_waitcnt vmcnt(0)
	v_cvt_f32_f16_e32 v6, v6
	s_delay_alu instid0(VALU_DEP_1) | instskip(SKIP_1) | instid1(VALU_DEP_1)
	v_mul_f32_e32 v5, v5, v6
	s_waitcnt lgkmcnt(0)
	v_mul_f32_e32 v5, s13, v5
	s_branch .LBB164_3
.LBB164_6:
	s_set_inst_prefetch_distance 0x2
	v_cvt_f16_f32_e32 v1, v4
.LBB164_7:
	s_waitcnt lgkmcnt(0)
	s_cmp_lg_u64 s[2:3], 0
	s_cbranch_scc0 .LBB164_9
; %bb.8:
	v_add_co_u32 v2, vcc_lo, s2, v2
	v_add_co_ci_u32_e32 v3, vcc_lo, s3, v3, vcc_lo
	global_store_b16 v[2:3], v1, off
.LBB164_9:
	s_nop 0
	s_sendmsg sendmsg(MSG_DEALLOC_VGPRS)
	s_endpgm
	.section	.rodata,"a",@progbits
	.p2align	6, 0x0
	.amdhsa_kernel _ZN2at6native12_GLOBAL__N_133GammaBetaBackwardSimpleCUDAKernelIN3c104HalfEfLb1EEEvllPKT_S7_PKT0_SA_PS5_SB_
		.amdhsa_group_segment_fixed_size 0
		.amdhsa_private_segment_fixed_size 0
		.amdhsa_kernarg_size 320
		.amdhsa_user_sgpr_count 15
		.amdhsa_user_sgpr_dispatch_ptr 0
		.amdhsa_user_sgpr_queue_ptr 0
		.amdhsa_user_sgpr_kernarg_segment_ptr 1
		.amdhsa_user_sgpr_dispatch_id 0
		.amdhsa_user_sgpr_private_segment_size 0
		.amdhsa_wavefront_size32 1
		.amdhsa_uses_dynamic_stack 0
		.amdhsa_enable_private_segment 0
		.amdhsa_system_sgpr_workgroup_id_x 1
		.amdhsa_system_sgpr_workgroup_id_y 0
		.amdhsa_system_sgpr_workgroup_id_z 0
		.amdhsa_system_sgpr_workgroup_info 0
		.amdhsa_system_vgpr_workitem_id 0
		.amdhsa_next_free_vgpr 9
		.amdhsa_next_free_sgpr 16
		.amdhsa_reserve_vcc 1
		.amdhsa_float_round_mode_32 0
		.amdhsa_float_round_mode_16_64 0
		.amdhsa_float_denorm_mode_32 3
		.amdhsa_float_denorm_mode_16_64 3
		.amdhsa_dx10_clamp 1
		.amdhsa_ieee_mode 1
		.amdhsa_fp16_overflow 0
		.amdhsa_workgroup_processor_mode 1
		.amdhsa_memory_ordered 1
		.amdhsa_forward_progress 0
		.amdhsa_shared_vgpr_count 0
		.amdhsa_exception_fp_ieee_invalid_op 0
		.amdhsa_exception_fp_denorm_src 0
		.amdhsa_exception_fp_ieee_div_zero 0
		.amdhsa_exception_fp_ieee_overflow 0
		.amdhsa_exception_fp_ieee_underflow 0
		.amdhsa_exception_fp_ieee_inexact 0
		.amdhsa_exception_int_div_zero 0
	.end_amdhsa_kernel
	.section	.text._ZN2at6native12_GLOBAL__N_133GammaBetaBackwardSimpleCUDAKernelIN3c104HalfEfLb1EEEvllPKT_S7_PKT0_SA_PS5_SB_,"axG",@progbits,_ZN2at6native12_GLOBAL__N_133GammaBetaBackwardSimpleCUDAKernelIN3c104HalfEfLb1EEEvllPKT_S7_PKT0_SA_PS5_SB_,comdat
.Lfunc_end164:
	.size	_ZN2at6native12_GLOBAL__N_133GammaBetaBackwardSimpleCUDAKernelIN3c104HalfEfLb1EEEvllPKT_S7_PKT0_SA_PS5_SB_, .Lfunc_end164-_ZN2at6native12_GLOBAL__N_133GammaBetaBackwardSimpleCUDAKernelIN3c104HalfEfLb1EEEvllPKT_S7_PKT0_SA_PS5_SB_
                                        ; -- End function
	.section	.AMDGPU.csdata,"",@progbits
; Kernel info:
; codeLenInByte = 336
; NumSgprs: 18
; NumVgprs: 9
; ScratchSize: 0
; MemoryBound: 0
; FloatMode: 240
; IeeeMode: 1
; LDSByteSize: 0 bytes/workgroup (compile time only)
; SGPRBlocks: 2
; VGPRBlocks: 1
; NumSGPRsForWavesPerEU: 18
; NumVGPRsForWavesPerEU: 9
; Occupancy: 16
; WaveLimiterHint : 0
; COMPUTE_PGM_RSRC2:SCRATCH_EN: 0
; COMPUTE_PGM_RSRC2:USER_SGPR: 15
; COMPUTE_PGM_RSRC2:TRAP_HANDLER: 0
; COMPUTE_PGM_RSRC2:TGID_X_EN: 1
; COMPUTE_PGM_RSRC2:TGID_Y_EN: 0
; COMPUTE_PGM_RSRC2:TGID_Z_EN: 0
; COMPUTE_PGM_RSRC2:TIDIG_COMP_CNT: 0
	.section	.text._ZN2at6native12_GLOBAL__N_135GammaBetaBackwardCUDAKernelTemplateIN3c104HalfEfLj64ELj1ELj32ELb1ELb1ELb1EEEvllPKT_S7_PKT0_SA_PS5_SB_,"axG",@progbits,_ZN2at6native12_GLOBAL__N_135GammaBetaBackwardCUDAKernelTemplateIN3c104HalfEfLj64ELj1ELj32ELb1ELb1ELb1EEEvllPKT_S7_PKT0_SA_PS5_SB_,comdat
	.globl	_ZN2at6native12_GLOBAL__N_135GammaBetaBackwardCUDAKernelTemplateIN3c104HalfEfLj64ELj1ELj32ELb1ELb1ELb1EEEvllPKT_S7_PKT0_SA_PS5_SB_ ; -- Begin function _ZN2at6native12_GLOBAL__N_135GammaBetaBackwardCUDAKernelTemplateIN3c104HalfEfLj64ELj1ELj32ELb1ELb1ELb1EEEvllPKT_S7_PKT0_SA_PS5_SB_
	.p2align	8
	.type	_ZN2at6native12_GLOBAL__N_135GammaBetaBackwardCUDAKernelTemplateIN3c104HalfEfLj64ELj1ELj32ELb1ELb1ELb1EEEvllPKT_S7_PKT0_SA_PS5_SB_,@function
_ZN2at6native12_GLOBAL__N_135GammaBetaBackwardCUDAKernelTemplateIN3c104HalfEfLj64ELj1ELj32ELb1ELb1ELb1EEEvllPKT_S7_PKT0_SA_PS5_SB_: ; @_ZN2at6native12_GLOBAL__N_135GammaBetaBackwardCUDAKernelTemplateIN3c104HalfEfLj64ELj1ELj32ELb1ELb1ELb1EEEvllPKT_S7_PKT0_SA_PS5_SB_
; %bb.0:
	s_clause 0x1
	s_load_b128 s[4:7], s[0:1], 0x0
	s_load_b64 s[2:3], s[0:1], 0x30
	s_mov_b32 s13, 0
	s_lshl_b32 s12, s15, 5
	v_mov_b32_e32 v3, 0
	v_bfe_u32 v1, v0, 10, 10
	v_and_b32_e32 v0, 0x3ff, v0
	s_waitcnt lgkmcnt(0)
	v_cmp_ge_i64_e64 s8, s[12:13], s[4:5]
	s_delay_alu instid0(VALU_DEP_1)
	s_and_b32 vcc_lo, exec_lo, s8
	s_cbranch_vccnz .LBB165_6
; %bb.1:
	s_clause 0x3
	s_load_b32 s16, s[0:1], 0x4c
	s_load_b32 s17, s[0:1], 0x44
	s_load_b128 s[8:11], s[0:1], 0x10
	s_load_b64 s[18:19], s[0:1], 0x28
	v_dual_mov_b32 v3, 0 :: v_dual_lshlrev_b32 v4, 5, v1
	v_lshl_or_b32 v2, s14, 6, v0
	v_dual_mov_b32 v8, 4 :: v_dual_mov_b32 v9, 8
	v_dual_mov_b32 v10, 12 :: v_dual_mov_b32 v11, 16
	;; [unrolled: 1-line block ×7, first 2 shown]
	s_waitcnt lgkmcnt(0)
	s_and_b32 s16, s16, 0xffff
	v_dual_mov_b32 v22, 60 :: v_dual_mov_b32 v23, 64
	v_mad_u32_u24 v5, v1, s16, v0
	v_add_co_u32 v40, s16, v4, s12
	s_delay_alu instid0(VALU_DEP_1) | instskip(NEXT) | instid1(VALU_DEP_3)
	v_add_co_ci_u32_e64 v41, null, 0, 0, s16
	v_dual_mov_b32 v24, 0x44 :: v_dual_and_b32 v39, 31, v5
	s_delay_alu instid0(VALU_DEP_3) | instskip(NEXT) | instid1(VALU_DEP_3)
	v_mul_lo_u32 v6, s7, v40
	v_mul_lo_u32 v7, s6, v41
	v_mad_u64_u32 v[4:5], null, s6, v40, 0
	s_lshl_b32 s16, s17, 5
	v_mov_b32_e32 v25, 0x48
	s_mul_i32 s20, s7, s16
	s_mul_hi_u32 s21, s6, s16
	v_mov_b32_e32 v26, 0x4c
	v_mov_b32_e32 v27, 0x50
	s_delay_alu instid0(VALU_DEP_4)
	v_add3_u32 v5, v5, v7, v6
	v_mov_b32_e32 v28, 0x54
	v_mov_b32_e32 v29, 0x58
	;; [unrolled: 1-line block ×4, first 2 shown]
	v_lshlrev_b64 v[6:7], 1, v[4:5]
	v_add_co_u32 v4, vcc_lo, v40, v39
	v_add_co_ci_u32_e32 v5, vcc_lo, 0, v41, vcc_lo
	v_lshlrev_b64 v[39:40], 1, v[2:3]
	v_mov_b32_e32 v32, 0x64
	v_mov_b32_e32 v33, 0x68
	s_delay_alu instid0(VALU_DEP_4)
	v_lshlrev_b64 v[41:42], 2, v[4:5]
	v_mov_b32_e32 v34, 0x6c
	v_mov_b32_e32 v35, 0x70
	v_add_co_u32 v2, vcc_lo, v6, v39
	v_add_co_ci_u32_e32 v39, vcc_lo, v7, v40, vcc_lo
	v_mov_b32_e32 v40, 0
	v_add_co_u32 v6, vcc_lo, s18, v41
	v_mov_b32_e32 v36, 0x74
	v_mov_b32_e32 v37, 0x78
	;; [unrolled: 1-line block ×3, first 2 shown]
	v_add_co_ci_u32_e32 v7, vcc_lo, s19, v42, vcc_lo
	s_mov_b32 s17, s13
	s_add_i32 s21, s21, s20
	s_mul_i32 s20, s6, s16
	s_lshl_b64 s[22:23], s[6:7], 1
	s_lshl_b64 s[18:19], s[20:21], 1
	;; [unrolled: 1-line block ×3, first 2 shown]
	s_branch .LBB165_3
.LBB165_2:                              ;   in Loop: Header=BB165_3 Depth=1
	s_or_b32 exec_lo, exec_lo, s17
	v_add_co_u32 v42, vcc_lo, s8, v2
	v_add_co_ci_u32_e32 v43, vcc_lo, s9, v39, vcc_lo
	v_add_co_u32 v44, vcc_lo, s10, v2
	v_add_co_ci_u32_e32 v45, vcc_lo, s11, v39, vcc_lo
	s_add_u32 s12, s12, s16
	global_load_u16 v52, v[42:43], off
	global_load_u16 v53, v[44:45], off
	v_add_co_u32 v42, vcc_lo, v42, s22
	v_add_co_ci_u32_e32 v43, vcc_lo, s23, v43, vcc_lo
	v_add_co_u32 v44, vcc_lo, v44, s22
	v_add_co_ci_u32_e32 v45, vcc_lo, s23, v45, vcc_lo
	global_load_u16 v54, v[42:43], off
	global_load_u16 v55, v[44:45], off
	v_add_co_u32 v42, vcc_lo, v42, s22
	v_add_co_ci_u32_e32 v43, vcc_lo, s23, v43, vcc_lo
	v_add_co_u32 v44, vcc_lo, v44, s22
	v_add_co_ci_u32_e32 v45, vcc_lo, s23, v45, vcc_lo
	;; [unrolled: 6-line block ×4, first 2 shown]
	global_load_u16 v60, v[42:43], off
	v_add_co_u32 v42, vcc_lo, v42, s22
	v_add_co_ci_u32_e32 v43, vcc_lo, s23, v43, vcc_lo
	v_add_co_u32 v46, vcc_lo, v44, s22
	v_add_co_ci_u32_e32 v47, vcc_lo, s23, v45, vcc_lo
	s_delay_alu instid0(VALU_DEP_4) | instskip(NEXT) | instid1(VALU_DEP_4)
	v_add_co_u32 v48, vcc_lo, v42, s22
	v_add_co_ci_u32_e32 v49, vcc_lo, s23, v43, vcc_lo
	s_delay_alu instid0(VALU_DEP_4) | instskip(NEXT) | instid1(VALU_DEP_4)
	v_add_co_u32 v50, vcc_lo, v46, s22
	v_add_co_ci_u32_e32 v51, vcc_lo, s23, v47, vcc_lo
	global_load_u16 v61, v[44:45], off
	global_load_u16 v62, v[42:43], off
	global_load_u16 v63, v[46:47], off
	global_load_u16 v64, v[48:49], off
	global_load_u16 v65, v[50:51], off
	v_add_co_u32 v42, vcc_lo, v48, s22
	v_add_co_ci_u32_e32 v43, vcc_lo, s23, v49, vcc_lo
	v_add_co_u32 v44, vcc_lo, v50, s22
	v_add_co_ci_u32_e32 v45, vcc_lo, s23, v51, vcc_lo
	global_load_u16 v66, v[42:43], off
	v_add_co_u32 v42, vcc_lo, v42, s22
	v_add_co_ci_u32_e32 v43, vcc_lo, s23, v43, vcc_lo
	v_add_co_u32 v46, vcc_lo, v44, s22
	v_add_co_ci_u32_e32 v47, vcc_lo, s23, v45, vcc_lo
	s_delay_alu instid0(VALU_DEP_4) | instskip(NEXT) | instid1(VALU_DEP_4)
	v_add_co_u32 v48, vcc_lo, v42, s22
	v_add_co_ci_u32_e32 v49, vcc_lo, s23, v43, vcc_lo
	s_delay_alu instid0(VALU_DEP_4) | instskip(NEXT) | instid1(VALU_DEP_4)
	v_add_co_u32 v50, vcc_lo, v46, s22
	v_add_co_ci_u32_e32 v51, vcc_lo, s23, v47, vcc_lo
	global_load_u16 v67, v[44:45], off
	global_load_u16 v68, v[42:43], off
	global_load_u16 v69, v[46:47], off
	global_load_u16 v70, v[48:49], off
	global_load_u16 v71, v[50:51], off
	v_add_co_u32 v42, vcc_lo, v48, s22
	v_add_co_ci_u32_e32 v43, vcc_lo, s23, v49, vcc_lo
	v_add_co_u32 v44, vcc_lo, v50, s22
	v_add_co_ci_u32_e32 v45, vcc_lo, s23, v51, vcc_lo
	;; [unrolled: 20-line block ×6, first 2 shown]
	global_load_u16 v48, v[42:43], off
	v_add_co_u32 v42, vcc_lo, v42, s22
	v_add_co_ci_u32_e32 v43, vcc_lo, s23, v43, vcc_lo
	v_add_co_u32 v46, vcc_lo, v44, s22
	v_add_co_ci_u32_e32 v47, vcc_lo, s23, v45, vcc_lo
	global_load_u16 v49, v[44:45], off
	v_add_co_u32 v44, vcc_lo, v42, s22
	v_add_co_ci_u32_e32 v45, vcc_lo, s23, v43, vcc_lo
	global_load_u16 v50, v[42:43], off
	global_load_u16 v51, v[46:47], off
	s_addc_u32 s13, s13, 0
	s_delay_alu instid0(SALU_CYCLE_1)
	v_cmp_lt_i64_e64 s17, s[12:13], s[4:5]
	s_waitcnt vmcnt(47)
	v_cvt_f32_f16_e32 v42, v52
	s_waitcnt vmcnt(46)
	v_cvt_f32_f16_e32 v43, v53
	global_load_u16 v52, v[44:45], off
	v_mul_f32_e32 v42, v42, v43
	ds_bpermute_b32 v43, v3, v41
	s_waitcnt lgkmcnt(0)
	v_fmac_f32_e32 v40, v42, v43
	v_add_co_u32 v42, vcc_lo, v46, s22
	v_add_co_ci_u32_e32 v43, vcc_lo, s23, v47, vcc_lo
	v_add_co_u32 v46, vcc_lo, v44, s22
	v_add_co_ci_u32_e32 v47, vcc_lo, s23, v45, vcc_lo
	s_waitcnt vmcnt(46)
	v_cvt_f32_f16_e32 v44, v54
	s_waitcnt vmcnt(45)
	v_cvt_f32_f16_e32 v45, v55
	global_load_u16 v53, v[42:43], off
	global_load_u16 v54, v[46:47], off
	v_mul_f32_e32 v44, v44, v45
	ds_bpermute_b32 v45, v8, v41
	s_waitcnt lgkmcnt(0)
	v_fmac_f32_e32 v40, v44, v45
	v_add_co_u32 v44, vcc_lo, v42, s22
	v_add_co_ci_u32_e32 v45, vcc_lo, s23, v43, vcc_lo
	v_add_co_u32 v42, vcc_lo, v46, s22
	v_add_co_ci_u32_e32 v43, vcc_lo, s23, v47, vcc_lo
	s_waitcnt vmcnt(46)
	v_cvt_f32_f16_e32 v46, v56
	s_waitcnt vmcnt(45)
	v_cvt_f32_f16_e32 v47, v57
	global_load_u16 v55, v[44:45], off
	;; [unrolled: 14-line block ×5, first 2 shown]
	global_load_u16 v62, v[42:43], off
	v_mul_f32_e32 v46, v46, v47
	ds_bpermute_b32 v47, v12, v41
	s_waitcnt vmcnt(14)
	v_cvt_f32_f16_e32 v48, v48
	s_waitcnt lgkmcnt(0)
	v_fmac_f32_e32 v40, v46, v47
	v_add_co_u32 v46, vcc_lo, v44, s22
	v_add_co_ci_u32_e32 v47, vcc_lo, s23, v45, vcc_lo
	v_add_co_u32 v44, vcc_lo, v42, s22
	v_add_co_ci_u32_e32 v45, vcc_lo, s23, v43, vcc_lo
	v_cvt_f32_f16_e32 v42, v64
	v_cvt_f32_f16_e32 v43, v65
	global_load_u16 v63, v[46:47], off
	global_load_u16 v64, v[44:45], off
	v_cvt_f32_f16_e32 v65, v69
	v_cvt_f32_f16_e32 v69, v72
	v_mul_f32_e32 v42, v42, v43
	ds_bpermute_b32 v43, v13, v41
	s_waitcnt vmcnt(14)
	v_cvt_f32_f16_e32 v50, v50
	s_waitcnt lgkmcnt(0)
	v_fmac_f32_e32 v40, v42, v43
	v_add_co_u32 v42, vcc_lo, v46, s22
	v_add_co_ci_u32_e32 v43, vcc_lo, s23, v47, vcc_lo
	v_add_co_u32 v46, vcc_lo, v44, s22
	v_add_co_ci_u32_e32 v47, vcc_lo, s23, v45, vcc_lo
	s_delay_alu instid0(VALU_DEP_4) | instskip(NEXT) | instid1(VALU_DEP_4)
	v_add_co_u32 v44, vcc_lo, v42, s22
	v_add_co_ci_u32_e32 v45, vcc_lo, s23, v43, vcc_lo
	global_load_u16 v42, v[42:43], off
	global_load_u16 v43, v[46:47], off
	;; [unrolled: 1-line block ×3, first 2 shown]
	ds_bpermute_b32 v45, v14, v41
	v_cvt_f32_f16_e32 v46, v66
	v_cvt_f32_f16_e32 v47, v67
	ds_bpermute_b32 v66, v17, v41
	v_cvt_f32_f16_e32 v67, v70
	v_add_co_u32 v2, vcc_lo, v2, s18
	v_mul_f32_e32 v46, v46, v47
	ds_bpermute_b32 v47, v15, v41
	v_add_co_ci_u32_e32 v39, vcc_lo, s19, v39, vcc_lo
	v_add_co_u32 v6, vcc_lo, v6, s20
	v_add_co_ci_u32_e32 v7, vcc_lo, s21, v7, vcc_lo
	v_add_co_u32 v4, vcc_lo, v4, s16
	v_add_co_ci_u32_e32 v5, vcc_lo, 0, v5, vcc_lo
	s_and_b32 vcc_lo, exec_lo, s17
	s_waitcnt lgkmcnt(2)
	v_fmac_f32_e32 v40, v46, v45
	ds_bpermute_b32 v45, v16, v41
	v_cvt_f32_f16_e32 v46, v68
	ds_bpermute_b32 v68, v18, v41
	v_mul_f32_e32 v46, v46, v65
	v_cvt_f32_f16_e32 v65, v71
	s_waitcnt lgkmcnt(2)
	s_delay_alu instid0(VALU_DEP_2) | instskip(NEXT) | instid1(VALU_DEP_2)
	v_fmac_f32_e32 v40, v46, v47
	v_mul_f32_e32 v46, v67, v65
	v_cvt_f32_f16_e32 v47, v73
	ds_bpermute_b32 v65, v19, v41
	v_cvt_f32_f16_e32 v67, v74
	s_waitcnt lgkmcnt(2)
	v_dual_fmac_f32 v40, v46, v45 :: v_dual_mul_f32 v45, v69, v47
	v_cvt_f32_f16_e32 v46, v75
	ds_bpermute_b32 v47, v20, v41
	v_cvt_f32_f16_e32 v69, v76
	v_fmac_f32_e32 v40, v45, v66
	v_mul_f32_e32 v45, v67, v46
	v_cvt_f32_f16_e32 v46, v77
	ds_bpermute_b32 v66, v21, v41
	v_cvt_f32_f16_e32 v67, v78
	s_waitcnt lgkmcnt(3)
	v_fmac_f32_e32 v40, v45, v68
	v_mul_f32_e32 v45, v69, v46
	v_cvt_f32_f16_e32 v46, v79
	ds_bpermute_b32 v68, v22, v41
	v_cvt_f32_f16_e32 v69, v80
	s_waitcnt lgkmcnt(3)
	v_dual_fmac_f32 v40, v45, v65 :: v_dual_mul_f32 v45, v67, v46
	v_cvt_f32_f16_e32 v46, v81
	ds_bpermute_b32 v65, v23, v41
	v_cvt_f32_f16_e32 v67, v82
	s_waitcnt lgkmcnt(3)
	v_fmac_f32_e32 v40, v45, v47
	v_mul_f32_e32 v45, v69, v46
	v_cvt_f32_f16_e32 v46, v83
	ds_bpermute_b32 v47, v24, v41
	v_cvt_f32_f16_e32 v69, v84
	s_waitcnt lgkmcnt(3)
	v_fmac_f32_e32 v40, v45, v66
	v_mul_f32_e32 v45, v67, v46
	;; [unrolled: 6-line block ×3, first 2 shown]
	v_cvt_f32_f16_e32 v46, v87
	ds_bpermute_b32 v68, v26, v41
	v_cvt_f32_f16_e32 v69, v88
	s_waitcnt lgkmcnt(3)
	v_dual_fmac_f32 v40, v45, v65 :: v_dual_mul_f32 v45, v67, v46
	v_cvt_f32_f16_e32 v46, v89
	ds_bpermute_b32 v65, v27, v41
	v_cvt_f32_f16_e32 v67, v90
	s_waitcnt lgkmcnt(3)
	v_fmac_f32_e32 v40, v45, v47
	v_mul_f32_e32 v45, v69, v46
	v_cvt_f32_f16_e32 v46, v91
	ds_bpermute_b32 v47, v28, v41
	v_cvt_f32_f16_e32 v69, v92
	s_waitcnt lgkmcnt(3)
	v_fmac_f32_e32 v40, v45, v66
	v_mul_f32_e32 v45, v67, v46
	;; [unrolled: 6-line block ×3, first 2 shown]
	v_cvt_f32_f16_e32 v46, v95
	ds_bpermute_b32 v68, v30, v41
	s_waitcnt lgkmcnt(3)
	v_dual_fmac_f32 v40, v45, v65 :: v_dual_mul_f32 v45, v67, v46
	v_cvt_f32_f16_e32 v46, v49
	ds_bpermute_b32 v49, v31, v41
	s_waitcnt lgkmcnt(3)
	v_dual_fmac_f32 v40, v45, v47 :: v_dual_mul_f32 v45, v48, v46
	s_waitcnt vmcnt(16)
	v_cvt_f32_f16_e32 v46, v51
	ds_bpermute_b32 v47, v32, v41
	s_waitcnt vmcnt(15)
	v_cvt_f32_f16_e32 v48, v52
	s_waitcnt vmcnt(13)
	v_cvt_f32_f16_e32 v51, v54
	s_waitcnt lgkmcnt(3)
	v_fmac_f32_e32 v40, v45, v66
	v_mul_f32_e32 v45, v50, v46
	v_cvt_f32_f16_e32 v46, v53
	ds_bpermute_b32 v50, v33, v41
	s_waitcnt lgkmcnt(3)
	v_dual_fmac_f32 v40, v45, v68 :: v_dual_mul_f32 v45, v48, v46
	ds_bpermute_b32 v48, v34, v41
	s_waitcnt lgkmcnt(3)
	v_fmac_f32_e32 v40, v45, v49
	ds_bpermute_b32 v49, v35, v41
	s_waitcnt vmcnt(12)
	v_cvt_f32_f16_e32 v46, v55
	s_waitcnt vmcnt(11)
	v_cvt_f32_f16_e32 v52, v56
	s_delay_alu instid0(VALU_DEP_2) | instskip(SKIP_1) | instid1(VALU_DEP_1)
	v_mul_f32_e32 v45, v51, v46
	s_waitcnt lgkmcnt(3)
	v_fmac_f32_e32 v40, v45, v47
	ds_bpermute_b32 v47, v36, v41
	s_waitcnt vmcnt(10)
	v_cvt_f32_f16_e32 v46, v57
	s_waitcnt vmcnt(9)
	v_cvt_f32_f16_e32 v51, v58
	s_delay_alu instid0(VALU_DEP_2) | instskip(SKIP_1) | instid1(VALU_DEP_1)
	v_mul_f32_e32 v45, v52, v46
	s_waitcnt lgkmcnt(3)
	v_fmac_f32_e32 v40, v45, v50
	ds_bpermute_b32 v50, v37, v41
	ds_bpermute_b32 v41, v38, v41
	s_waitcnt vmcnt(8)
	v_cvt_f32_f16_e32 v46, v59
	s_waitcnt vmcnt(7)
	v_cvt_f32_f16_e32 v52, v60
	s_delay_alu instid0(VALU_DEP_2) | instskip(SKIP_1) | instid1(VALU_DEP_1)
	v_mul_f32_e32 v45, v51, v46
	s_waitcnt lgkmcnt(4)
	v_fmac_f32_e32 v40, v45, v48
	s_waitcnt vmcnt(6)
	v_cvt_f32_f16_e32 v46, v61
	s_waitcnt vmcnt(5)
	v_cvt_f32_f16_e32 v51, v62
	s_delay_alu instid0(VALU_DEP_2) | instskip(SKIP_1) | instid1(VALU_DEP_1)
	v_mul_f32_e32 v45, v52, v46
	s_waitcnt lgkmcnt(3)
	v_fmac_f32_e32 v40, v45, v49
	;; [unrolled: 8-line block ×3, first 2 shown]
	s_waitcnt vmcnt(2)
	v_cvt_f32_f16_e32 v42, v42
	s_waitcnt vmcnt(1)
	v_cvt_f32_f16_e32 v43, v43
	;; [unrolled: 2-line block ×3, first 2 shown]
	v_mul_f32_e32 v42, v48, v42
	s_waitcnt lgkmcnt(1)
	s_delay_alu instid0(VALU_DEP_1) | instskip(NEXT) | instid1(VALU_DEP_3)
	v_fmac_f32_e32 v40, v42, v50
	v_mul_f32_e32 v42, v43, v44
	s_waitcnt lgkmcnt(0)
	s_delay_alu instid0(VALU_DEP_1)
	v_fmac_f32_e32 v40, v42, v41
	s_cbranch_vccz .LBB165_5
.LBB165_3:                              ; =>This Inner Loop Header: Depth=1
	v_mov_b32_e32 v41, 0
	s_mov_b32 s17, exec_lo
	v_cmpx_gt_i64_e64 s[4:5], v[4:5]
	s_cbranch_execz .LBB165_2
; %bb.4:                                ;   in Loop: Header=BB165_3 Depth=1
	global_load_b32 v41, v[6:7], off
	s_branch .LBB165_2
.LBB165_5:
	s_delay_alu instid0(VALU_DEP_1)
	v_cvt_f16_f32_e32 v3, v40
.LBB165_6:
	s_cmp_eq_u64 s[2:3], 0
	s_cbranch_scc1 .LBB165_8
; %bb.7:
	s_load_b32 s0, s[0:1], 0x4c
	v_mov_b32_e32 v2, 0
	v_lshlrev_b32_e32 v0, 1, v0
	s_waitcnt lgkmcnt(0)
	s_lshr_b32 s0, s0, 16
	s_delay_alu instid0(VALU_DEP_2) | instid1(SALU_CYCLE_1)
	v_mad_u64_u32 v[4:5], null, s0, s15, v[1:2]
	s_mov_b32 s15, 0
	s_delay_alu instid0(SALU_CYCLE_1) | instskip(NEXT) | instid1(SALU_CYCLE_1)
	s_lshl_b64 s[0:1], s[14:15], 7
	s_add_u32 s0, s0, s2
	s_addc_u32 s1, s1, s3
	s_delay_alu instid0(VALU_DEP_1) | instskip(NEXT) | instid1(VALU_DEP_2)
	v_mul_lo_u32 v5, v5, s6
	v_mul_lo_u32 v6, v4, s7
	v_mad_u64_u32 v[1:2], null, v4, s6, 0
	s_delay_alu instid0(VALU_DEP_1) | instskip(NEXT) | instid1(VALU_DEP_1)
	v_add3_u32 v2, v2, v6, v5
	v_lshlrev_b64 v[1:2], 1, v[1:2]
	s_delay_alu instid0(VALU_DEP_1) | instskip(NEXT) | instid1(VALU_DEP_2)
	v_add_co_u32 v1, vcc_lo, s0, v1
	v_add_co_ci_u32_e32 v2, vcc_lo, s1, v2, vcc_lo
	s_delay_alu instid0(VALU_DEP_2) | instskip(NEXT) | instid1(VALU_DEP_2)
	v_add_co_u32 v0, vcc_lo, v1, v0
	v_add_co_ci_u32_e32 v1, vcc_lo, 0, v2, vcc_lo
	global_store_b16 v[0:1], v3, off
.LBB165_8:
	s_nop 0
	s_sendmsg sendmsg(MSG_DEALLOC_VGPRS)
	s_endpgm
	.section	.rodata,"a",@progbits
	.p2align	6, 0x0
	.amdhsa_kernel _ZN2at6native12_GLOBAL__N_135GammaBetaBackwardCUDAKernelTemplateIN3c104HalfEfLj64ELj1ELj32ELb1ELb1ELb1EEEvllPKT_S7_PKT0_SA_PS5_SB_
		.amdhsa_group_segment_fixed_size 0
		.amdhsa_private_segment_fixed_size 0
		.amdhsa_kernarg_size 320
		.amdhsa_user_sgpr_count 14
		.amdhsa_user_sgpr_dispatch_ptr 0
		.amdhsa_user_sgpr_queue_ptr 0
		.amdhsa_user_sgpr_kernarg_segment_ptr 1
		.amdhsa_user_sgpr_dispatch_id 0
		.amdhsa_user_sgpr_private_segment_size 0
		.amdhsa_wavefront_size32 1
		.amdhsa_uses_dynamic_stack 0
		.amdhsa_enable_private_segment 0
		.amdhsa_system_sgpr_workgroup_id_x 1
		.amdhsa_system_sgpr_workgroup_id_y 1
		.amdhsa_system_sgpr_workgroup_id_z 0
		.amdhsa_system_sgpr_workgroup_info 0
		.amdhsa_system_vgpr_workitem_id 1
		.amdhsa_next_free_vgpr 96
		.amdhsa_next_free_sgpr 24
		.amdhsa_reserve_vcc 1
		.amdhsa_float_round_mode_32 0
		.amdhsa_float_round_mode_16_64 0
		.amdhsa_float_denorm_mode_32 3
		.amdhsa_float_denorm_mode_16_64 3
		.amdhsa_dx10_clamp 1
		.amdhsa_ieee_mode 1
		.amdhsa_fp16_overflow 0
		.amdhsa_workgroup_processor_mode 1
		.amdhsa_memory_ordered 1
		.amdhsa_forward_progress 0
		.amdhsa_shared_vgpr_count 0
		.amdhsa_exception_fp_ieee_invalid_op 0
		.amdhsa_exception_fp_denorm_src 0
		.amdhsa_exception_fp_ieee_div_zero 0
		.amdhsa_exception_fp_ieee_overflow 0
		.amdhsa_exception_fp_ieee_underflow 0
		.amdhsa_exception_fp_ieee_inexact 0
		.amdhsa_exception_int_div_zero 0
	.end_amdhsa_kernel
	.section	.text._ZN2at6native12_GLOBAL__N_135GammaBetaBackwardCUDAKernelTemplateIN3c104HalfEfLj64ELj1ELj32ELb1ELb1ELb1EEEvllPKT_S7_PKT0_SA_PS5_SB_,"axG",@progbits,_ZN2at6native12_GLOBAL__N_135GammaBetaBackwardCUDAKernelTemplateIN3c104HalfEfLj64ELj1ELj32ELb1ELb1ELb1EEEvllPKT_S7_PKT0_SA_PS5_SB_,comdat
.Lfunc_end165:
	.size	_ZN2at6native12_GLOBAL__N_135GammaBetaBackwardCUDAKernelTemplateIN3c104HalfEfLj64ELj1ELj32ELb1ELb1ELb1EEEvllPKT_S7_PKT0_SA_PS5_SB_, .Lfunc_end165-_ZN2at6native12_GLOBAL__N_135GammaBetaBackwardCUDAKernelTemplateIN3c104HalfEfLj64ELj1ELj32ELb1ELb1ELb1EEEvllPKT_S7_PKT0_SA_PS5_SB_
                                        ; -- End function
	.section	.AMDGPU.csdata,"",@progbits
; Kernel info:
; codeLenInByte = 3148
; NumSgprs: 26
; NumVgprs: 96
; ScratchSize: 0
; MemoryBound: 0
; FloatMode: 240
; IeeeMode: 1
; LDSByteSize: 0 bytes/workgroup (compile time only)
; SGPRBlocks: 3
; VGPRBlocks: 11
; NumSGPRsForWavesPerEU: 26
; NumVGPRsForWavesPerEU: 96
; Occupancy: 16
; WaveLimiterHint : 0
; COMPUTE_PGM_RSRC2:SCRATCH_EN: 0
; COMPUTE_PGM_RSRC2:USER_SGPR: 14
; COMPUTE_PGM_RSRC2:TRAP_HANDLER: 0
; COMPUTE_PGM_RSRC2:TGID_X_EN: 1
; COMPUTE_PGM_RSRC2:TGID_Y_EN: 1
; COMPUTE_PGM_RSRC2:TGID_Z_EN: 0
; COMPUTE_PGM_RSRC2:TIDIG_COMP_CNT: 1
	.section	.text._ZN2at6native12_GLOBAL__N_135GammaBetaBackwardCUDAKernelTemplateIN3c104HalfEfLj64ELj1ELj32ELb1ELb0ELb1EEEvllPKT_S7_PKT0_SA_PS5_SB_,"axG",@progbits,_ZN2at6native12_GLOBAL__N_135GammaBetaBackwardCUDAKernelTemplateIN3c104HalfEfLj64ELj1ELj32ELb1ELb0ELb1EEEvllPKT_S7_PKT0_SA_PS5_SB_,comdat
	.globl	_ZN2at6native12_GLOBAL__N_135GammaBetaBackwardCUDAKernelTemplateIN3c104HalfEfLj64ELj1ELj32ELb1ELb0ELb1EEEvllPKT_S7_PKT0_SA_PS5_SB_ ; -- Begin function _ZN2at6native12_GLOBAL__N_135GammaBetaBackwardCUDAKernelTemplateIN3c104HalfEfLj64ELj1ELj32ELb1ELb0ELb1EEEvllPKT_S7_PKT0_SA_PS5_SB_
	.p2align	8
	.type	_ZN2at6native12_GLOBAL__N_135GammaBetaBackwardCUDAKernelTemplateIN3c104HalfEfLj64ELj1ELj32ELb1ELb0ELb1EEEvllPKT_S7_PKT0_SA_PS5_SB_,@function
_ZN2at6native12_GLOBAL__N_135GammaBetaBackwardCUDAKernelTemplateIN3c104HalfEfLj64ELj1ELj32ELb1ELb0ELb1EEEvllPKT_S7_PKT0_SA_PS5_SB_: ; @_ZN2at6native12_GLOBAL__N_135GammaBetaBackwardCUDAKernelTemplateIN3c104HalfEfLj64ELj1ELj32ELb1ELb0ELb1EEEvllPKT_S7_PKT0_SA_PS5_SB_
; %bb.0:
	s_clause 0x1
	s_load_b256 s[16:23], s[0:1], 0x0
	s_load_b64 s[6:7], s[0:1], 0x28
	s_mov_b32 s2, s15
	s_lshl_b32 s15, s14, 6
	s_mov_b32 s9, 0
	s_or_b32 s8, s15, 63
	v_mov_b32_e32 v207, v0
	s_waitcnt lgkmcnt(0)
	v_cmp_ge_i64_e64 s3, s[8:9], s[18:19]
	s_lshl_b32 s8, s2, 5
	s_delay_alu instid0(SALU_CYCLE_1) | instskip(NEXT) | instid1(VALU_DEP_2)
	v_cmp_lt_i64_e64 s26, s[8:9], s[16:17]
	s_and_b32 vcc_lo, exec_lo, s3
	s_delay_alu instid0(VALU_DEP_1) | instskip(NEXT) | instid1(VALU_DEP_1)
	v_cndmask_b32_e64 v0, 0, 1, s26
	v_cmp_ne_u32_e64 s3, 1, v0
	s_cbranch_vccz .LBB166_141
; %bb.1:
	v_mov_b32_e32 v144, 0
	s_delay_alu instid0(VALU_DEP_2)
	s_and_b32 vcc_lo, exec_lo, s3
	s_cbranch_vccnz .LBB166_142
; %bb.2:
	v_bfe_u32 v9, v207, 10, 10
	s_load_b32 s4, s[0:1], 0x44
	v_dual_mov_b32 v2, 0 :: v_dual_and_b32 v11, 0x3ff, v207
	s_add_u32 s10, s0, 64
	s_delay_alu instid0(VALU_DEP_2) | instskip(NEXT) | instid1(VALU_DEP_2)
	v_dual_mov_b32 v139, 0 :: v_dual_lshlrev_b32 v10, 5, v9
	v_dual_mov_b32 v12, v2 :: v_dual_add_nc_u32 v1, s15, v11
	s_addc_u32 s11, s1, 0
	s_delay_alu instid0(VALU_DEP_2) | instskip(NEXT) | instid1(VALU_DEP_1)
	v_add_co_u32 v5, s3, v10, s8
	v_add_co_ci_u32_e64 v6, null, 0, 0, s3
	s_delay_alu instid0(VALU_DEP_3) | instskip(NEXT) | instid1(VALU_DEP_3)
	v_cmp_gt_i64_e64 s3, s[18:19], v[1:2]
	v_add_co_u32 v0, vcc_lo, v5, 31
	s_delay_alu instid0(VALU_DEP_3) | instskip(SKIP_1) | instid1(VALU_DEP_3)
	v_add_co_ci_u32_e32 v3, vcc_lo, 0, v6, vcc_lo
	v_mul_lo_u32 v130, s19, v5
	v_mul_lo_u32 v4, s19, v0
	v_mad_u64_u32 v[7:8], null, s18, v0, 0
	s_delay_alu instid0(VALU_DEP_4) | instskip(SKIP_4) | instid1(VALU_DEP_2)
	v_mul_lo_u32 v3, s18, v3
	v_add_co_u32 v0, vcc_lo, v5, 30
	v_add_co_ci_u32_e32 v13, vcc_lo, 0, v6, vcc_lo
	s_waitcnt lgkmcnt(0)
	s_lshl_b32 s27, s4, 5
	v_mul_lo_u32 v14, s19, v0
	v_mad_u64_u32 v[16:17], null, s18, v0, 0
	v_add3_u32 v8, v8, v3, v4
	v_mul_lo_u32 v15, s18, v13
	v_lshlrev_b64 v[3:4], 1, v[1:2]
	s_mul_i32 s4, s19, s27
	s_mul_hi_u32 s5, s18, s27
	v_lshlrev_b64 v[7:8], 1, v[7:8]
	s_add_i32 s13, s5, s4
	v_mad_u64_u32 v[133:134], null, s18, v5, 0
	s_delay_alu instid0(VALU_DEP_4) | instskip(SKIP_1) | instid1(VALU_DEP_3)
	v_add3_u32 v17, v17, v15, v14
	s_mul_i32 s12, s18, s27
	v_add_co_u32 v1, vcc_lo, s20, v7
	v_add_co_ci_u32_e32 v13, vcc_lo, s21, v8, vcc_lo
	v_add_co_u32 v0, vcc_lo, v5, 29
	v_add_co_u32 v14, s4, s22, v7
	s_delay_alu instid0(VALU_DEP_1)
	v_add_co_ci_u32_e64 v15, s4, s23, v8, s4
	v_lshlrev_b64 v[7:8], 1, v[16:17]
	v_add_co_ci_u32_e32 v16, vcc_lo, 0, v6, vcc_lo
	v_add_co_u32 v17, vcc_lo, v5, 28
	v_add_co_ci_u32_e32 v19, vcc_lo, 0, v6, vcc_lo
	v_mul_lo_u32 v18, s19, v0
	s_delay_alu instid0(VALU_DEP_4)
	v_mul_lo_u32 v24, s18, v16
	v_mad_u64_u32 v[20:21], null, s18, v0, 0
	v_mul_lo_u32 v0, s19, v17
	v_mul_lo_u32 v25, s18, v19
	v_mad_u64_u32 v[22:23], null, s18, v17, 0
	v_add_co_u32 v16, vcc_lo, s20, v7
	v_add_co_ci_u32_e32 v17, vcc_lo, s21, v8, vcc_lo
	v_add3_u32 v21, v21, v24, v18
	v_add_co_u32 v18, vcc_lo, s22, v7
	v_add_co_ci_u32_e32 v19, vcc_lo, s23, v8, vcc_lo
	v_add3_u32 v23, v23, v25, v0
	v_add_co_u32 v0, vcc_lo, v5, 27
	v_add_co_ci_u32_e32 v24, vcc_lo, 0, v6, vcc_lo
	v_lshlrev_b64 v[7:8], 1, v[20:21]
	s_delay_alu instid0(VALU_DEP_3) | instskip(SKIP_1) | instid1(VALU_DEP_4)
	v_mul_lo_u32 v30, s19, v0
	v_mad_u64_u32 v[28:29], null, s18, v0, 0
	v_mul_lo_u32 v31, s18, v24
	v_lshlrev_b64 v[26:27], 1, v[22:23]
	v_add_co_u32 v20, vcc_lo, s20, v7
	v_add_co_ci_u32_e32 v21, vcc_lo, s21, v8, vcc_lo
	v_add_co_u32 v22, vcc_lo, s22, v7
	v_add_co_ci_u32_e32 v23, vcc_lo, s23, v8, vcc_lo
	v_add_co_u32 v24, vcc_lo, s20, v26
	v_add3_u32 v29, v29, v31, v30
	v_add_co_ci_u32_e32 v25, vcc_lo, s21, v27, vcc_lo
	v_add_co_u32 v0, vcc_lo, v5, 26
	s_delay_alu instid0(VALU_DEP_3) | instskip(SKIP_4) | instid1(VALU_DEP_4)
	v_lshlrev_b64 v[7:8], 1, v[28:29]
	v_add_co_ci_u32_e32 v28, vcc_lo, 0, v6, vcc_lo
	v_add_co_u32 v29, vcc_lo, v5, 25
	v_add_co_ci_u32_e32 v31, vcc_lo, 0, v6, vcc_lo
	v_mul_lo_u32 v30, s19, v0
	v_mul_lo_u32 v36, s18, v28
	v_mad_u64_u32 v[32:33], null, s18, v0, 0
	v_mul_lo_u32 v0, s19, v29
	v_mul_lo_u32 v37, s18, v31
	v_mad_u64_u32 v[34:35], null, s18, v29, 0
	v_add_co_u32 v28, vcc_lo, s20, v7
	v_add_co_ci_u32_e32 v29, vcc_lo, s21, v8, vcc_lo
	v_add3_u32 v33, v33, v36, v30
	v_add_co_u32 v30, vcc_lo, s22, v7
	v_add_co_ci_u32_e32 v31, vcc_lo, s23, v8, vcc_lo
	v_add3_u32 v35, v35, v37, v0
	v_add_co_u32 v0, vcc_lo, v5, 24
	v_add_co_ci_u32_e32 v36, vcc_lo, 0, v6, vcc_lo
	v_lshlrev_b64 v[7:8], 1, v[32:33]
	s_delay_alu instid0(VALU_DEP_3) | instskip(SKIP_1) | instid1(VALU_DEP_4)
	v_mul_lo_u32 v42, s19, v0
	v_mad_u64_u32 v[40:41], null, s18, v0, 0
	v_mul_lo_u32 v43, s18, v36
	v_lshlrev_b64 v[38:39], 1, v[34:35]
	v_add_co_u32 v32, vcc_lo, s20, v7
	v_add_co_ci_u32_e32 v33, vcc_lo, s21, v8, vcc_lo
	v_add_co_u32 v34, vcc_lo, s22, v7
	v_add_co_ci_u32_e32 v35, vcc_lo, s23, v8, vcc_lo
	v_add_co_u32 v36, vcc_lo, s20, v38
	v_add3_u32 v41, v41, v43, v42
	v_add_co_ci_u32_e32 v37, vcc_lo, s21, v39, vcc_lo
	v_add_co_u32 v0, vcc_lo, v5, 23
	s_delay_alu instid0(VALU_DEP_3) | instskip(SKIP_4) | instid1(VALU_DEP_4)
	v_lshlrev_b64 v[7:8], 1, v[40:41]
	v_add_co_ci_u32_e32 v40, vcc_lo, 0, v6, vcc_lo
	v_add_co_u32 v41, vcc_lo, v5, 22
	v_add_co_ci_u32_e32 v43, vcc_lo, 0, v6, vcc_lo
	v_mul_lo_u32 v42, s19, v0
	;; [unrolled: 33-line block ×3, first 2 shown]
	v_mul_lo_u32 v60, s18, v52
	v_mad_u64_u32 v[56:57], null, s18, v0, 0
	v_mul_lo_u32 v0, s19, v53
	v_mul_lo_u32 v61, s18, v55
	v_mad_u64_u32 v[58:59], null, s18, v53, 0
	v_add_co_u32 v52, vcc_lo, s20, v7
	v_add_co_ci_u32_e32 v53, vcc_lo, s21, v8, vcc_lo
	v_add3_u32 v57, v57, v60, v54
	v_add_co_u32 v54, vcc_lo, s22, v7
	v_add_co_ci_u32_e32 v55, vcc_lo, s23, v8, vcc_lo
	v_add3_u32 v59, v59, v61, v0
	v_add_co_u32 v0, vcc_lo, v5, 18
	v_add_co_ci_u32_e32 v60, vcc_lo, 0, v6, vcc_lo
	v_lshlrev_b64 v[7:8], 1, v[56:57]
	s_delay_alu instid0(VALU_DEP_3) | instskip(SKIP_1) | instid1(VALU_DEP_4)
	v_mul_lo_u32 v66, s19, v0
	v_mad_u64_u32 v[64:65], null, s18, v0, 0
	v_mul_lo_u32 v67, s18, v60
	v_lshlrev_b64 v[62:63], 1, v[58:59]
	v_add_co_u32 v56, vcc_lo, s20, v7
	v_add_co_ci_u32_e32 v57, vcc_lo, s21, v8, vcc_lo
	v_add_co_u32 v58, vcc_lo, s22, v7
	v_add_co_ci_u32_e32 v59, vcc_lo, s23, v8, vcc_lo
	v_add_co_u32 v60, vcc_lo, s20, v62
	v_add3_u32 v65, v65, v67, v66
	v_add_co_ci_u32_e32 v61, vcc_lo, s21, v63, vcc_lo
	v_add_co_u32 v0, vcc_lo, v5, 17
	s_delay_alu instid0(VALU_DEP_3) | instskip(SKIP_2) | instid1(VALU_DEP_4)
	v_lshlrev_b64 v[7:8], 1, v[64:65]
	v_add_co_ci_u32_e32 v64, vcc_lo, 0, v6, vcc_lo
	v_add_co_u32 v65, vcc_lo, v5, 16
	v_mul_lo_u32 v66, s19, v0
	v_add_co_ci_u32_e32 v67, vcc_lo, 0, v6, vcc_lo
	s_delay_alu instid0(VALU_DEP_4) | instskip(SKIP_2) | instid1(VALU_DEP_4)
	v_mul_lo_u32 v72, s18, v64
	v_mad_u64_u32 v[68:69], null, s18, v0, 0
	v_mul_lo_u32 v0, s19, v65
	v_mul_lo_u32 v73, s18, v67
	v_mad_u64_u32 v[70:71], null, s18, v65, 0
	v_add_co_u32 v64, vcc_lo, s20, v7
	v_add3_u32 v69, v69, v72, v66
	v_add_co_ci_u32_e32 v65, vcc_lo, s21, v8, vcc_lo
	v_add_co_u32 v66, vcc_lo, s22, v7
	v_add_co_ci_u32_e32 v67, vcc_lo, s23, v8, vcc_lo
	s_delay_alu instid0(VALU_DEP_4) | instskip(SKIP_4) | instid1(VALU_DEP_1)
	v_lshlrev_b64 v[7:8], 1, v[68:69]
	v_add3_u32 v71, v71, v73, v0
	v_add_co_u32 v0, vcc_lo, v5, 15
	v_add_co_ci_u32_e32 v72, vcc_lo, 0, v6, vcc_lo
	v_add_co_u32 v26, s4, s22, v26
	v_add_co_ci_u32_e64 v27, s4, s23, v27, s4
	v_add_co_u32 v38, s4, s22, v38
	v_add_co_u32 v68, vcc_lo, s20, v7
	v_lshlrev_b64 v[74:75], 1, v[70:71]
	v_mul_lo_u32 v78, s19, v0
	v_mul_lo_u32 v79, s18, v72
	v_mad_u64_u32 v[76:77], null, s18, v0, 0
	v_add_co_ci_u32_e64 v39, s4, s23, v39, s4
	v_add_co_ci_u32_e32 v69, vcc_lo, s21, v8, vcc_lo
	v_add_co_u32 v50, s4, s22, v50
	v_add_co_u32 v70, vcc_lo, s22, v7
	v_add_co_ci_u32_e64 v51, s4, s23, v51, s4
	v_add_co_ci_u32_e32 v71, vcc_lo, s23, v8, vcc_lo
	v_add_co_u32 v62, s4, s22, v62
	v_add_co_u32 v72, vcc_lo, s20, v74
	v_add_co_ci_u32_e64 v63, s4, s23, v63, s4
	v_add_co_ci_u32_e32 v73, vcc_lo, s21, v75, vcc_lo
	v_add3_u32 v77, v77, v79, v78
	v_add_co_u32 v78, vcc_lo, v5, 14
	v_add_co_u32 v0, s4, s22, v74
	s_delay_alu instid0(VALU_DEP_1)
	v_add_co_ci_u32_e64 v74, s4, s23, v75, s4
	v_add_co_ci_u32_e32 v75, vcc_lo, 0, v6, vcc_lo
	v_lshlrev_b64 v[7:8], 1, v[76:77]
	v_add_co_u32 v76, vcc_lo, v5, 13
	v_mul_lo_u32 v77, s19, v78
	v_add_co_ci_u32_e32 v81, vcc_lo, 0, v6, vcc_lo
	v_mul_lo_u32 v83, s18, v75
	v_mad_u64_u32 v[79:80], null, s18, v78, 0
	v_mul_lo_u32 v84, s19, v76
	s_delay_alu instid0(VALU_DEP_4)
	v_mul_lo_u32 v85, s18, v81
	v_mad_u64_u32 v[81:82], null, s18, v76, 0
	v_add_co_u32 v75, vcc_lo, s20, v7
	v_add_co_ci_u32_e32 v76, vcc_lo, s21, v8, vcc_lo
	v_add3_u32 v80, v80, v83, v77
	v_add_co_u32 v77, vcc_lo, s22, v7
	v_add_co_ci_u32_e32 v78, vcc_lo, s23, v8, vcc_lo
	v_add_co_u32 v83, vcc_lo, v5, 12
	v_add3_u32 v82, v82, v85, v84
	v_add_co_ci_u32_e32 v84, vcc_lo, 0, v6, vcc_lo
	v_lshlrev_b64 v[7:8], 1, v[79:80]
	s_delay_alu instid0(VALU_DEP_4) | instskip(SKIP_1) | instid1(VALU_DEP_4)
	v_mul_lo_u32 v89, s19, v83
	v_mad_u64_u32 v[87:88], null, s18, v83, 0
	v_mul_lo_u32 v90, s18, v84
	v_lshlrev_b64 v[85:86], 1, v[81:82]
	v_add_co_u32 v79, vcc_lo, s20, v7
	v_add_co_ci_u32_e32 v80, vcc_lo, s21, v8, vcc_lo
	v_add_co_u32 v81, vcc_lo, s22, v7
	v_add_co_ci_u32_e32 v82, vcc_lo, s23, v8, vcc_lo
	v_add_co_u32 v83, vcc_lo, s20, v85
	v_add3_u32 v88, v88, v90, v89
	v_add_co_ci_u32_e32 v84, vcc_lo, s21, v86, vcc_lo
	v_add_co_u32 v89, vcc_lo, v5, 11
	s_delay_alu instid0(VALU_DEP_3) | instskip(SKIP_4) | instid1(VALU_DEP_4)
	v_lshlrev_b64 v[7:8], 1, v[87:88]
	v_add_co_ci_u32_e32 v87, vcc_lo, 0, v6, vcc_lo
	v_add_co_u32 v88, vcc_lo, v5, 10
	v_add_co_ci_u32_e32 v93, vcc_lo, 0, v6, vcc_lo
	v_mul_lo_u32 v90, s19, v89
	v_mul_lo_u32 v95, s18, v87
	v_mad_u64_u32 v[91:92], null, s18, v89, 0
	v_mul_lo_u32 v96, s19, v88
	v_mul_lo_u32 v97, s18, v93
	v_mad_u64_u32 v[93:94], null, s18, v88, 0
	v_add_co_u32 v87, vcc_lo, s20, v7
	v_add_co_ci_u32_e32 v88, vcc_lo, s21, v8, vcc_lo
	v_add_co_u32 v89, vcc_lo, s22, v7
	v_add3_u32 v92, v92, v95, v90
	v_add_co_ci_u32_e32 v90, vcc_lo, s23, v8, vcc_lo
	v_add_co_u32 v95, vcc_lo, v5, 9
	v_add3_u32 v94, v94, v97, v96
	v_add_co_ci_u32_e32 v96, vcc_lo, 0, v6, vcc_lo
	v_lshlrev_b64 v[7:8], 1, v[91:92]
	s_delay_alu instid0(VALU_DEP_4) | instskip(SKIP_1) | instid1(VALU_DEP_4)
	v_mul_lo_u32 v101, s19, v95
	v_mad_u64_u32 v[99:100], null, s18, v95, 0
	v_mul_lo_u32 v102, s18, v96
	v_lshlrev_b64 v[97:98], 1, v[93:94]
	v_add_co_u32 v91, vcc_lo, s20, v7
	v_add_co_ci_u32_e32 v92, vcc_lo, s21, v8, vcc_lo
	v_add_co_u32 v93, vcc_lo, s22, v7
	v_add_co_ci_u32_e32 v94, vcc_lo, s23, v8, vcc_lo
	v_add_co_u32 v95, vcc_lo, s20, v97
	v_add3_u32 v100, v100, v102, v101
	v_add_co_ci_u32_e32 v96, vcc_lo, s21, v98, vcc_lo
	v_add_co_u32 v101, vcc_lo, v5, 8
	s_delay_alu instid0(VALU_DEP_3) | instskip(SKIP_4) | instid1(VALU_DEP_4)
	v_lshlrev_b64 v[7:8], 1, v[99:100]
	v_add_co_ci_u32_e32 v99, vcc_lo, 0, v6, vcc_lo
	v_add_co_u32 v100, vcc_lo, v5, 7
	v_add_co_ci_u32_e32 v105, vcc_lo, 0, v6, vcc_lo
	v_mul_lo_u32 v102, s19, v101
	v_mul_lo_u32 v107, s18, v99
	v_mad_u64_u32 v[103:104], null, s18, v101, 0
	v_mul_lo_u32 v108, s19, v100
	v_mul_lo_u32 v109, s18, v105
	v_mad_u64_u32 v[105:106], null, s18, v100, 0
	v_add_co_u32 v99, vcc_lo, s20, v7
	v_add_co_ci_u32_e32 v100, vcc_lo, s21, v8, vcc_lo
	v_add_co_u32 v101, vcc_lo, s22, v7
	v_add3_u32 v104, v104, v107, v102
	v_add_co_ci_u32_e32 v102, vcc_lo, s23, v8, vcc_lo
	v_add_co_u32 v107, vcc_lo, v5, 6
	v_add3_u32 v106, v106, v109, v108
	v_add_co_ci_u32_e32 v108, vcc_lo, 0, v6, vcc_lo
	v_lshlrev_b64 v[7:8], 1, v[103:104]
	s_delay_alu instid0(VALU_DEP_4) | instskip(SKIP_1) | instid1(VALU_DEP_4)
	v_mul_lo_u32 v113, s19, v107
	v_mad_u64_u32 v[111:112], null, s18, v107, 0
	v_mul_lo_u32 v114, s18, v108
	v_lshlrev_b64 v[109:110], 1, v[105:106]
	v_add_co_u32 v103, vcc_lo, s20, v7
	v_add_co_ci_u32_e32 v104, vcc_lo, s21, v8, vcc_lo
	v_add_co_u32 v105, vcc_lo, s22, v7
	v_add_co_ci_u32_e32 v106, vcc_lo, s23, v8, vcc_lo
	v_add_co_u32 v107, vcc_lo, s20, v109
	v_add3_u32 v112, v112, v114, v113
	v_add_co_ci_u32_e32 v108, vcc_lo, s21, v110, vcc_lo
	v_add_co_u32 v113, vcc_lo, v5, 5
	s_delay_alu instid0(VALU_DEP_3) | instskip(SKIP_2) | instid1(VALU_DEP_4)
	v_lshlrev_b64 v[7:8], 1, v[111:112]
	v_add_co_ci_u32_e32 v111, vcc_lo, 0, v6, vcc_lo
	v_add_co_u32 v112, vcc_lo, v5, 4
	v_mul_lo_u32 v114, s19, v113
	s_delay_alu instid0(VALU_DEP_3) | instskip(SKIP_4) | instid1(VALU_DEP_3)
	v_mul_lo_u32 v119, s18, v111
	v_mad_u64_u32 v[115:116], null, s18, v113, 0
	v_add_co_ci_u32_e32 v117, vcc_lo, 0, v6, vcc_lo
	v_mul_lo_u32 v120, s19, v112
	v_add_co_u32 v111, vcc_lo, s20, v7
	v_mul_lo_u32 v121, s18, v117
	v_mad_u64_u32 v[117:118], null, s18, v112, 0
	v_add3_u32 v116, v116, v119, v114
	v_add_co_ci_u32_e32 v112, vcc_lo, s21, v8, vcc_lo
	v_add_co_u32 v113, vcc_lo, s22, v7
	v_add_co_ci_u32_e32 v114, vcc_lo, s23, v8, vcc_lo
	s_delay_alu instid0(VALU_DEP_4) | instskip(SKIP_3) | instid1(VALU_DEP_4)
	v_lshlrev_b64 v[7:8], 1, v[115:116]
	v_add_co_u32 v119, vcc_lo, v5, 3
	v_add3_u32 v118, v118, v121, v120
	v_add_co_ci_u32_e32 v120, vcc_lo, 0, v6, vcc_lo
	v_add_co_u32 v115, vcc_lo, s20, v7
	s_delay_alu instid0(VALU_DEP_3) | instskip(SKIP_1) | instid1(VALU_DEP_4)
	v_lshlrev_b64 v[121:122], 1, v[117:118]
	v_mul_lo_u32 v125, s19, v119
	v_mul_lo_u32 v126, s18, v120
	v_mad_u64_u32 v[123:124], null, s18, v119, 0
	v_add_co_ci_u32_e32 v116, vcc_lo, s21, v8, vcc_lo
	v_add_co_u32 v117, vcc_lo, s22, v7
	v_add_co_ci_u32_e32 v118, vcc_lo, s23, v8, vcc_lo
	v_add_co_u32 v119, vcc_lo, s20, v121
	v_add_co_ci_u32_e32 v120, vcc_lo, s21, v122, vcc_lo
	v_add3_u32 v124, v124, v126, v125
	v_add_co_u32 v125, vcc_lo, v5, 2
	v_add_co_ci_u32_e32 v126, vcc_lo, 0, v6, vcc_lo
	s_delay_alu instid0(VALU_DEP_3) | instskip(NEXT) | instid1(VALU_DEP_3)
	v_lshlrev_b64 v[7:8], 1, v[123:124]
	v_mul_lo_u32 v129, s19, v125
	v_mad_u64_u32 v[127:128], null, s18, v125, 0
	s_delay_alu instid0(VALU_DEP_4)
	v_mul_lo_u32 v126, s18, v126
	v_mul_lo_u32 v6, s18, v6
	v_add_co_u32 v121, vcc_lo, s22, v121
	v_add_co_ci_u32_e32 v122, vcc_lo, s23, v122, vcc_lo
	v_add_co_u32 v123, vcc_lo, s20, v7
	v_add_co_ci_u32_e32 v124, vcc_lo, s21, v8, vcc_lo
	v_add3_u32 v128, v128, v126, v129
	v_add_co_u32 v125, vcc_lo, s22, v7
	v_add3_u32 v134, v134, v6, v130
	v_add_co_ci_u32_e32 v126, vcc_lo, s23, v8, vcc_lo
	v_add_co_u32 v7, vcc_lo, v133, s18
	v_lshlrev_b64 v[5:6], 1, v[127:128]
	s_delay_alu instid0(VALU_DEP_4) | instskip(SKIP_1) | instid1(VALU_DEP_1)
	v_add_co_ci_u32_e32 v8, vcc_lo, s19, v134, vcc_lo
	v_add_co_u32 v85, s4, s22, v85
	v_add_co_ci_u32_e64 v86, s4, s23, v86, s4
	s_delay_alu instid0(VALU_DEP_4) | instskip(NEXT) | instid1(VALU_DEP_4)
	v_add_co_u32 v127, vcc_lo, s20, v5
	v_lshlrev_b64 v[7:8], 1, v[7:8]
	v_add_co_ci_u32_e32 v128, vcc_lo, s21, v6, vcc_lo
	v_add_co_u32 v129, vcc_lo, s22, v5
	v_add_co_ci_u32_e32 v130, vcc_lo, s23, v6, vcc_lo
	s_delay_alu instid0(VALU_DEP_4)
	v_add_co_u32 v131, vcc_lo, s20, v7
	v_lshlrev_b64 v[5:6], 1, v[133:134]
	v_add_co_ci_u32_e32 v132, vcc_lo, s21, v8, vcc_lo
	v_add_co_u32 v133, vcc_lo, s22, v7
	v_add_co_ci_u32_e32 v134, vcc_lo, s23, v8, vcc_lo
	v_add_co_u32 v97, s4, s22, v97
	v_add_co_u32 v135, vcc_lo, s20, v5
	v_add_co_ci_u32_e64 v98, s4, s23, v98, s4
	v_add_co_ci_u32_e32 v136, vcc_lo, s21, v6, vcc_lo
	v_add_co_u32 v109, s4, s22, v109
	v_add_co_u32 v137, vcc_lo, s22, v5
	v_add_co_ci_u32_e64 v110, s4, s23, v110, s4
	v_add_co_ci_u32_e32 v138, vcc_lo, s23, v6, vcc_lo
	s_mov_b64 s[4:5], 31
	s_lshl_b64 s[12:13], s[12:13], 1
	s_mov_b64 s[24:25], s[8:9]
.LBB166_3:                              ; =>This Inner Loop Header: Depth=1
	s_add_u32 s28, s8, s4
	s_addc_u32 s29, 0, s5
	v_add_co_u32 v5, vcc_lo, s8, v10
	v_cmp_ge_i64_e64 s28, s[28:29], s[16:17]
	v_add_co_ci_u32_e32 v6, vcc_lo, 0, v12, vcc_lo
	s_delay_alu instid0(VALU_DEP_2)
	s_and_b32 vcc_lo, exec_lo, s28
	s_cbranch_vccz .LBB166_71
; %bb.4:                                ;   in Loop: Header=BB166_3 Depth=1
	s_load_b32 s28, s[10:11], 0xc
	v_dual_mov_b32 v141, 0 :: v_dual_mov_b32 v140, 0
	s_waitcnt lgkmcnt(0)
	s_and_b32 s28, s28, 0xffff
	s_delay_alu instid0(SALU_CYCLE_1) | instskip(SKIP_1) | instid1(VALU_DEP_1)
	v_mad_u32_u24 v7, v9, s28, v11
	s_mov_b32 s28, exec_lo
	v_and_b32_e32 v7, 31, v7
	s_delay_alu instid0(VALU_DEP_1) | instskip(SKIP_1) | instid1(VALU_DEP_1)
	v_add_co_u32 v7, vcc_lo, v5, v7
	v_add_co_ci_u32_e32 v8, vcc_lo, 0, v6, vcc_lo
	v_cmpx_gt_i64_e64 s[16:17], v[7:8]
	s_cbranch_execz .LBB166_6
; %bb.5:                                ;   in Loop: Header=BB166_3 Depth=1
	v_lshlrev_b64 v[7:8], 2, v[7:8]
	s_delay_alu instid0(VALU_DEP_1) | instskip(NEXT) | instid1(VALU_DEP_2)
	v_add_co_u32 v7, vcc_lo, s6, v7
	v_add_co_ci_u32_e32 v8, vcc_lo, s7, v8, vcc_lo
	global_load_b32 v140, v[7:8], off
.LBB166_6:                              ;   in Loop: Header=BB166_3 Depth=1
	s_or_b32 exec_lo, exec_lo, s28
	v_cmp_gt_i64_e32 vcc_lo, s[16:17], v[5:6]
	v_mov_b32_e32 v7, 0
	s_and_b32 s29, s3, vcc_lo
	s_delay_alu instid0(SALU_CYCLE_1)
	s_and_saveexec_b32 s28, s29
	s_cbranch_execz .LBB166_8
; %bb.7:                                ;   in Loop: Header=BB166_3 Depth=1
	v_add_co_u32 v7, vcc_lo, v135, v3
	v_add_co_ci_u32_e32 v8, vcc_lo, v136, v4, vcc_lo
	v_add_co_u32 v141, vcc_lo, v137, v3
	v_add_co_ci_u32_e32 v142, vcc_lo, v138, v4, vcc_lo
	global_load_u16 v7, v[7:8], off
	global_load_u16 v8, v[141:142], off
	s_waitcnt vmcnt(1)
	v_cvt_f32_f16_e64 v141, v7
	s_waitcnt vmcnt(0)
	v_cvt_f32_f16_e32 v7, v8
.LBB166_8:                              ;   in Loop: Header=BB166_3 Depth=1
	s_or_b32 exec_lo, exec_lo, s28
	v_add_co_u32 v142, vcc_lo, v5, 1
	v_add_co_ci_u32_e32 v143, vcc_lo, 0, v6, vcc_lo
	v_mov_b32_e32 v8, 0
	s_delay_alu instid0(VALU_DEP_2) | instskip(SKIP_2) | instid1(SALU_CYCLE_1)
	v_cmp_gt_i64_e32 vcc_lo, s[16:17], v[142:143]
	v_dual_mov_b32 v143, 0 :: v_dual_mov_b32 v142, 0
	s_and_b32 s29, s3, vcc_lo
	s_and_saveexec_b32 s28, s29
	s_cbranch_execz .LBB166_10
; %bb.9:                                ;   in Loop: Header=BB166_3 Depth=1
	v_add_co_u32 v142, vcc_lo, v131, v3
	v_add_co_ci_u32_e32 v143, vcc_lo, v132, v4, vcc_lo
	v_add_co_u32 v144, vcc_lo, v133, v3
	v_add_co_ci_u32_e32 v145, vcc_lo, v134, v4, vcc_lo
	global_load_u16 v142, v[142:143], off
	global_load_u16 v143, v[144:145], off
	s_waitcnt vmcnt(1)
	v_cvt_f32_f16_e64 v142, v142
	s_waitcnt vmcnt(0)
	v_cvt_f32_f16_e64 v143, v143
.LBB166_10:                             ;   in Loop: Header=BB166_3 Depth=1
	s_or_b32 exec_lo, exec_lo, s28
	v_add_co_u32 v144, vcc_lo, v5, 2
	v_add_co_ci_u32_e32 v145, vcc_lo, 0, v6, vcc_lo
	s_delay_alu instid0(VALU_DEP_1) | instskip(SKIP_2) | instid1(SALU_CYCLE_1)
	v_cmp_gt_i64_e32 vcc_lo, s[16:17], v[144:145]
	v_mov_b32_e32 v145, 0
	s_and_b32 s29, s3, vcc_lo
	s_and_saveexec_b32 s28, s29
	s_cbranch_execz .LBB166_12
; %bb.11:                               ;   in Loop: Header=BB166_3 Depth=1
	v_add_co_u32 v144, vcc_lo, v127, v3
	v_add_co_ci_u32_e32 v145, vcc_lo, v128, v4, vcc_lo
	v_add_co_u32 v146, vcc_lo, v129, v3
	v_add_co_ci_u32_e32 v147, vcc_lo, v130, v4, vcc_lo
	global_load_u16 v8, v[144:145], off
	global_load_u16 v144, v[146:147], off
	s_waitcnt vmcnt(1)
	v_cvt_f32_f16_e32 v8, v8
	s_waitcnt vmcnt(0)
	v_cvt_f32_f16_e64 v145, v144
.LBB166_12:                             ;   in Loop: Header=BB166_3 Depth=1
	s_or_b32 exec_lo, exec_lo, s28
	v_add_co_u32 v146, vcc_lo, v5, 3
	v_add_co_ci_u32_e32 v147, vcc_lo, 0, v6, vcc_lo
	v_mov_b32_e32 v148, 0
	s_delay_alu instid0(VALU_DEP_2) | instskip(SKIP_2) | instid1(SALU_CYCLE_1)
	v_cmp_gt_i64_e32 vcc_lo, s[16:17], v[146:147]
	v_dual_mov_b32 v146, 0 :: v_dual_mov_b32 v147, 0
	s_and_b32 s29, s3, vcc_lo
	s_and_saveexec_b32 s28, s29
	s_cbranch_execz .LBB166_14
; %bb.13:                               ;   in Loop: Header=BB166_3 Depth=1
	v_add_co_u32 v147, vcc_lo, v123, v3
	v_add_co_ci_u32_e32 v148, vcc_lo, v124, v4, vcc_lo
	v_add_co_u32 v149, vcc_lo, v125, v3
	v_add_co_ci_u32_e32 v150, vcc_lo, v126, v4, vcc_lo
	global_load_u16 v144, v[147:148], off
	global_load_u16 v148, v[149:150], off
	s_waitcnt vmcnt(1)
	v_cvt_f32_f16_e64 v147, v144
	s_waitcnt vmcnt(0)
	v_cvt_f32_f16_e64 v148, v148
.LBB166_14:                             ;   in Loop: Header=BB166_3 Depth=1
	s_or_b32 exec_lo, exec_lo, s28
	v_add_co_u32 v149, vcc_lo, v5, 4
	v_add_co_ci_u32_e32 v150, vcc_lo, 0, v6, vcc_lo
	s_delay_alu instid0(VALU_DEP_1) | instskip(SKIP_2) | instid1(SALU_CYCLE_1)
	v_cmp_gt_i64_e32 vcc_lo, s[16:17], v[149:150]
	v_mov_b32_e32 v149, 0
	s_and_b32 s29, s3, vcc_lo
	s_and_saveexec_b32 s28, s29
	s_cbranch_execz .LBB166_16
; %bb.15:                               ;   in Loop: Header=BB166_3 Depth=1
	v_add_co_u32 v149, vcc_lo, v119, v3
	v_add_co_ci_u32_e32 v150, vcc_lo, v120, v4, vcc_lo
	v_add_co_u32 v151, vcc_lo, v121, v3
	v_add_co_ci_u32_e32 v152, vcc_lo, v122, v4, vcc_lo
	global_load_u16 v144, v[149:150], off
	global_load_u16 v149, v[151:152], off
	s_waitcnt vmcnt(1)
	v_cvt_f32_f16_e64 v146, v144
	s_waitcnt vmcnt(0)
	v_cvt_f32_f16_e64 v149, v149
.LBB166_16:                             ;   in Loop: Header=BB166_3 Depth=1
	s_or_b32 exec_lo, exec_lo, s28
	v_add_co_u32 v150, vcc_lo, v5, 5
	v_add_co_ci_u32_e32 v151, vcc_lo, 0, v6, vcc_lo
	v_mov_b32_e32 v152, 0
	s_delay_alu instid0(VALU_DEP_2) | instskip(SKIP_2) | instid1(SALU_CYCLE_1)
	v_cmp_gt_i64_e32 vcc_lo, s[16:17], v[150:151]
	v_dual_mov_b32 v150, 0 :: v_dual_mov_b32 v151, 0
	s_and_b32 s29, s3, vcc_lo
	s_and_saveexec_b32 s28, s29
	s_cbranch_execz .LBB166_18
; %bb.17:                               ;   in Loop: Header=BB166_3 Depth=1
	v_add_co_u32 v151, vcc_lo, v115, v3
	v_add_co_ci_u32_e32 v152, vcc_lo, v116, v4, vcc_lo
	v_add_co_u32 v153, vcc_lo, v117, v3
	v_add_co_ci_u32_e32 v154, vcc_lo, v118, v4, vcc_lo
	global_load_u16 v144, v[151:152], off
	global_load_u16 v152, v[153:154], off
	s_waitcnt vmcnt(1)
	v_cvt_f32_f16_e64 v151, v144
	s_waitcnt vmcnt(0)
	v_cvt_f32_f16_e64 v152, v152
.LBB166_18:                             ;   in Loop: Header=BB166_3 Depth=1
	s_or_b32 exec_lo, exec_lo, s28
	v_add_co_u32 v153, vcc_lo, v5, 6
	v_add_co_ci_u32_e32 v154, vcc_lo, 0, v6, vcc_lo
	s_delay_alu instid0(VALU_DEP_1) | instskip(SKIP_2) | instid1(SALU_CYCLE_1)
	v_cmp_gt_i64_e32 vcc_lo, s[16:17], v[153:154]
	v_mov_b32_e32 v153, 0
	s_and_b32 s29, s3, vcc_lo
	s_and_saveexec_b32 s28, s29
	s_cbranch_execz .LBB166_20
; %bb.19:                               ;   in Loop: Header=BB166_3 Depth=1
	v_add_co_u32 v153, vcc_lo, v111, v3
	v_add_co_ci_u32_e32 v154, vcc_lo, v112, v4, vcc_lo
	v_add_co_u32 v155, vcc_lo, v113, v3
	v_add_co_ci_u32_e32 v156, vcc_lo, v114, v4, vcc_lo
	global_load_u16 v144, v[153:154], off
	global_load_u16 v153, v[155:156], off
	s_waitcnt vmcnt(1)
	v_cvt_f32_f16_e64 v150, v144
	s_waitcnt vmcnt(0)
	v_cvt_f32_f16_e64 v153, v153
.LBB166_20:                             ;   in Loop: Header=BB166_3 Depth=1
	;; [unrolled: 43-line block ×14, first 2 shown]
	s_or_b32 exec_lo, exec_lo, s28
	v_add_co_u32 v203, vcc_lo, v5, 31
	v_add_co_ci_u32_e32 v204, vcc_lo, 0, v6, vcc_lo
	v_mov_b32_e32 v189, 0
	s_delay_alu instid0(VALU_DEP_2) | instskip(SKIP_1) | instid1(SALU_CYCLE_1)
	v_cmp_gt_i64_e32 vcc_lo, s[16:17], v[203:204]
	s_and_b32 s29, s3, vcc_lo
	s_and_saveexec_b32 s28, s29
	s_cbranch_execz .LBB166_70
; %bb.69:                               ;   in Loop: Header=BB166_3 Depth=1
	v_add_co_u32 v203, vcc_lo, v1, v3
	v_add_co_ci_u32_e32 v204, vcc_lo, v13, v4, vcc_lo
	v_add_co_u32 v205, vcc_lo, v14, v3
	v_add_co_ci_u32_e32 v206, vcc_lo, v15, v4, vcc_lo
	global_load_u16 v144, v[203:204], off
	global_load_u16 v189, v[205:206], off
	s_waitcnt vmcnt(1)
	v_cvt_f32_f16_e64 v144, v144
	s_waitcnt vmcnt(0)
	v_cvt_f32_f16_e64 v189, v189
	s_delay_alu instid0(VALU_DEP_1)
	v_mul_f32_e32 v189, v144, v189
.LBB166_70:                             ;   in Loop: Header=BB166_3 Depth=1
	s_or_b32 exec_lo, exec_lo, s28
	s_waitcnt vmcnt(0)
	ds_bpermute_b32 v144, v2, v140
	ds_bpermute_b32 v203, v2, v140 offset:4
	ds_bpermute_b32 v204, v2, v140 offset:8
	v_mul_f32_e32 v7, v141, v7
	ds_bpermute_b32 v141, v2, v140 offset:12
	v_mul_f32_e32 v142, v142, v143
	ds_bpermute_b32 v143, v2, v140 offset:16
	s_waitcnt lgkmcnt(4)
	v_fma_f32 v144, v7, v144, v139
	v_mul_f32_e32 v7, v8, v145
	ds_bpermute_b32 v8, v2, v140 offset:20
	ds_bpermute_b32 v145, v2, v140 offset:24
	s_waitcnt lgkmcnt(5)
	v_fmac_f32_e32 v144, v142, v203
	v_mul_f32_e32 v142, v147, v148
	s_waitcnt lgkmcnt(4)
	s_delay_alu instid0(VALU_DEP_2)
	v_dual_fmac_f32 v144, v7, v204 :: v_dual_mul_f32 v7, v146, v149
	ds_bpermute_b32 v146, v2, v140 offset:28
	s_waitcnt lgkmcnt(4)
	v_dual_fmac_f32 v144, v142, v141 :: v_dual_mul_f32 v141, v151, v152
	ds_bpermute_b32 v142, v2, v140 offset:32
	s_waitcnt lgkmcnt(4)
	;; [unrolled: 3-line block ×3, first 2 shown]
	v_fmac_f32_e32 v144, v141, v8
	v_mul_f32_e32 v8, v155, v156
	ds_bpermute_b32 v141, v2, v140 offset:40
	s_waitcnt lgkmcnt(4)
	v_fmac_f32_e32 v144, v7, v145
	v_mul_f32_e32 v7, v154, v157
	ds_bpermute_b32 v145, v2, v140 offset:44
	s_waitcnt lgkmcnt(4)
	;; [unrolled: 4-line block ×3, first 2 shown]
	v_dual_fmac_f32 v144, v7, v142 :: v_dual_mul_f32 v7, v158, v161
	ds_bpermute_b32 v142, v2, v140 offset:52
	s_waitcnt lgkmcnt(4)
	v_fmac_f32_e32 v144, v8, v143
	v_mul_f32_e32 v8, v163, v164
	ds_bpermute_b32 v143, v2, v140 offset:56
	s_waitcnt lgkmcnt(4)
	v_fmac_f32_e32 v144, v7, v141
	v_mul_f32_e32 v7, v162, v165
	;; [unrolled: 4-line block ×3, first 2 shown]
	ds_bpermute_b32 v145, v2, v140 offset:64
	s_waitcnt lgkmcnt(4)
	v_dual_fmac_f32 v144, v7, v146 :: v_dual_mul_f32 v7, v166, v169
	ds_bpermute_b32 v146, v2, v140 offset:68
	s_waitcnt lgkmcnt(4)
	v_fmac_f32_e32 v144, v8, v142
	v_mul_f32_e32 v8, v171, v172
	ds_bpermute_b32 v142, v2, v140 offset:72
	s_waitcnt lgkmcnt(4)
	v_dual_fmac_f32 v144, v7, v143 :: v_dual_mul_f32 v7, v170, v173
	ds_bpermute_b32 v143, v2, v140 offset:76
	s_waitcnt lgkmcnt(4)
	v_fmac_f32_e32 v144, v8, v141
	v_mul_f32_e32 v8, v175, v176
	ds_bpermute_b32 v141, v2, v140 offset:80
	s_waitcnt lgkmcnt(4)
	v_fmac_f32_e32 v144, v7, v145
	v_mul_f32_e32 v7, v174, v177
	;; [unrolled: 4-line block ×3, first 2 shown]
	ds_bpermute_b32 v146, v2, v140 offset:88
	s_waitcnt lgkmcnt(4)
	v_dual_fmac_f32 v144, v7, v142 :: v_dual_mul_f32 v7, v178, v181
	ds_bpermute_b32 v142, v2, v140 offset:92
	s_waitcnt lgkmcnt(4)
	v_fmac_f32_e32 v144, v8, v143
	v_mul_f32_e32 v8, v183, v184
	ds_bpermute_b32 v143, v2, v140 offset:96
	s_waitcnt lgkmcnt(4)
	v_fmac_f32_e32 v144, v7, v141
	v_mul_f32_e32 v7, v182, v185
	;; [unrolled: 4-line block ×9, first 2 shown]
	s_waitcnt lgkmcnt(3)
	s_delay_alu instid0(VALU_DEP_2) | instskip(SKIP_1) | instid1(VALU_DEP_1)
	v_fmac_f32_e32 v144, v145, v142
	s_waitcnt lgkmcnt(2)
	v_fmac_f32_e32 v144, v8, v143
	v_mul_f32_e32 v8, v199, v202
	s_waitcnt lgkmcnt(1)
	s_delay_alu instid0(VALU_DEP_1)
	v_fmac_f32_e32 v144, v8, v141
	s_branch .LBB166_137
.LBB166_71:                             ;   in Loop: Header=BB166_3 Depth=1
                                        ; implicit-def: $vgpr144
                                        ; implicit-def: $vgpr189
                                        ; implicit-def: $vgpr7
	s_cbranch_execz .LBB166_137
; %bb.72:                               ;   in Loop: Header=BB166_3 Depth=1
	s_load_b32 s28, s[10:11], 0x0
	v_mov_b32_e32 v8, 0
	s_waitcnt lgkmcnt(0)
	s_cmp_lt_u32 s14, s28
	s_cselect_b32 s28, 12, 18
	s_delay_alu instid0(SALU_CYCLE_1)
	s_add_u32 s28, s10, s28
	s_addc_u32 s29, s11, 0
	global_load_u16 v7, v2, s[28:29]
	s_mov_b32 s28, exec_lo
	s_waitcnt vmcnt(0)
	v_mad_u32_u24 v7, v9, v7, v11
	s_delay_alu instid0(VALU_DEP_1) | instskip(NEXT) | instid1(VALU_DEP_1)
	v_and_b32_e32 v7, 31, v7
	v_add_co_u32 v5, vcc_lo, v5, v7
	v_add_co_ci_u32_e32 v6, vcc_lo, 0, v6, vcc_lo
	v_mov_b32_e32 v7, 0
	s_delay_alu instid0(VALU_DEP_2)
	v_cmpx_gt_i64_e64 s[16:17], v[5:6]
	s_cbranch_execz .LBB166_74
; %bb.73:                               ;   in Loop: Header=BB166_3 Depth=1
	v_lshlrev_b64 v[5:6], 2, v[5:6]
	s_delay_alu instid0(VALU_DEP_1) | instskip(NEXT) | instid1(VALU_DEP_2)
	v_add_co_u32 v5, vcc_lo, s6, v5
	v_add_co_ci_u32_e32 v6, vcc_lo, s7, v6, vcc_lo
	global_load_b32 v7, v[5:6], off
.LBB166_74:                             ;   in Loop: Header=BB166_3 Depth=1
	s_or_b32 exec_lo, exec_lo, s28
	v_mov_b32_e32 v5, 0
	s_and_saveexec_b32 s28, s3
	s_cbranch_execz .LBB166_76
; %bb.75:                               ;   in Loop: Header=BB166_3 Depth=1
	v_add_co_u32 v5, vcc_lo, v135, v3
	v_add_co_ci_u32_e32 v6, vcc_lo, v136, v4, vcc_lo
	v_add_co_u32 v140, vcc_lo, v137, v3
	v_add_co_ci_u32_e32 v141, vcc_lo, v138, v4, vcc_lo
	global_load_u16 v5, v[5:6], off
	global_load_u16 v6, v[140:141], off
	s_waitcnt vmcnt(1)
	v_cvt_f32_f16_e32 v8, v5
	s_waitcnt vmcnt(0)
	v_cvt_f32_f16_e32 v5, v6
.LBB166_76:                             ;   in Loop: Header=BB166_3 Depth=1
	s_or_b32 exec_lo, exec_lo, s28
	v_dual_mov_b32 v6, 0 :: v_dual_mov_b32 v141, 0
	v_mov_b32_e32 v140, 0
	s_and_saveexec_b32 s28, s3
	s_cbranch_execz .LBB166_78
; %bb.77:                               ;   in Loop: Header=BB166_3 Depth=1
	v_add_co_u32 v140, vcc_lo, v131, v3
	v_add_co_ci_u32_e32 v141, vcc_lo, v132, v4, vcc_lo
	v_add_co_u32 v142, vcc_lo, v133, v3
	v_add_co_ci_u32_e32 v143, vcc_lo, v134, v4, vcc_lo
	global_load_u16 v140, v[140:141], off
	global_load_u16 v141, v[142:143], off
	s_waitcnt vmcnt(1)
	v_cvt_f32_f16_e64 v140, v140
	s_waitcnt vmcnt(0)
	v_cvt_f32_f16_e64 v141, v141
.LBB166_78:                             ;   in Loop: Header=BB166_3 Depth=1
	s_or_b32 exec_lo, exec_lo, s28
	v_mov_b32_e32 v142, 0
	s_and_saveexec_b32 s28, s3
	s_cbranch_execz .LBB166_80
; %bb.79:                               ;   in Loop: Header=BB166_3 Depth=1
	v_add_co_u32 v142, vcc_lo, v127, v3
	v_add_co_ci_u32_e32 v143, vcc_lo, v128, v4, vcc_lo
	v_add_co_u32 v144, vcc_lo, v129, v3
	v_add_co_ci_u32_e32 v145, vcc_lo, v130, v4, vcc_lo
	global_load_u16 v6, v[142:143], off
	global_load_u16 v142, v[144:145], off
	s_waitcnt vmcnt(1)
	v_cvt_f32_f16_e32 v6, v6
	s_waitcnt vmcnt(0)
	v_cvt_f32_f16_e64 v142, v142
.LBB166_80:                             ;   in Loop: Header=BB166_3 Depth=1
	s_or_b32 exec_lo, exec_lo, s28
	v_dual_mov_b32 v143, 0 :: v_dual_mov_b32 v144, 0
	v_mov_b32_e32 v145, 0
	s_and_saveexec_b32 s28, s3
	s_cbranch_execz .LBB166_82
; %bb.81:                               ;   in Loop: Header=BB166_3 Depth=1
	v_add_co_u32 v144, vcc_lo, v123, v3
	v_add_co_ci_u32_e32 v145, vcc_lo, v124, v4, vcc_lo
	v_add_co_u32 v146, vcc_lo, v125, v3
	v_add_co_ci_u32_e32 v147, vcc_lo, v126, v4, vcc_lo
	global_load_u16 v144, v[144:145], off
	global_load_u16 v145, v[146:147], off
	s_waitcnt vmcnt(1)
	v_cvt_f32_f16_e64 v144, v144
	s_waitcnt vmcnt(0)
	v_cvt_f32_f16_e64 v145, v145
.LBB166_82:                             ;   in Loop: Header=BB166_3 Depth=1
	s_or_b32 exec_lo, exec_lo, s28
	v_mov_b32_e32 v146, 0
	s_and_saveexec_b32 s28, s3
	s_cbranch_execz .LBB166_84
; %bb.83:                               ;   in Loop: Header=BB166_3 Depth=1
	v_add_co_u32 v146, vcc_lo, v119, v3
	v_add_co_ci_u32_e32 v147, vcc_lo, v120, v4, vcc_lo
	v_add_co_u32 v148, vcc_lo, v121, v3
	v_add_co_ci_u32_e32 v149, vcc_lo, v122, v4, vcc_lo
	global_load_u16 v143, v[146:147], off
	global_load_u16 v146, v[148:149], off
	s_waitcnt vmcnt(1)
	v_cvt_f32_f16_e64 v143, v143
	s_waitcnt vmcnt(0)
	v_cvt_f32_f16_e64 v146, v146
.LBB166_84:                             ;   in Loop: Header=BB166_3 Depth=1
	s_or_b32 exec_lo, exec_lo, s28
	v_dual_mov_b32 v147, 0 :: v_dual_mov_b32 v148, 0
	v_mov_b32_e32 v149, 0
	s_and_saveexec_b32 s28, s3
	s_cbranch_execz .LBB166_86
; %bb.85:                               ;   in Loop: Header=BB166_3 Depth=1
	v_add_co_u32 v148, vcc_lo, v115, v3
	v_add_co_ci_u32_e32 v149, vcc_lo, v116, v4, vcc_lo
	v_add_co_u32 v150, vcc_lo, v117, v3
	v_add_co_ci_u32_e32 v151, vcc_lo, v118, v4, vcc_lo
	global_load_u16 v148, v[148:149], off
	global_load_u16 v149, v[150:151], off
	s_waitcnt vmcnt(1)
	v_cvt_f32_f16_e64 v148, v148
	s_waitcnt vmcnt(0)
	v_cvt_f32_f16_e64 v149, v149
.LBB166_86:                             ;   in Loop: Header=BB166_3 Depth=1
	s_or_b32 exec_lo, exec_lo, s28
	v_mov_b32_e32 v150, 0
	s_and_saveexec_b32 s28, s3
	s_cbranch_execz .LBB166_88
; %bb.87:                               ;   in Loop: Header=BB166_3 Depth=1
	v_add_co_u32 v150, vcc_lo, v111, v3
	v_add_co_ci_u32_e32 v151, vcc_lo, v112, v4, vcc_lo
	v_add_co_u32 v152, vcc_lo, v113, v3
	v_add_co_ci_u32_e32 v153, vcc_lo, v114, v4, vcc_lo
	global_load_u16 v147, v[150:151], off
	global_load_u16 v150, v[152:153], off
	s_waitcnt vmcnt(1)
	v_cvt_f32_f16_e64 v147, v147
	s_waitcnt vmcnt(0)
	v_cvt_f32_f16_e64 v150, v150
.LBB166_88:                             ;   in Loop: Header=BB166_3 Depth=1
	;; [unrolled: 33-line block ×4, first 2 shown]
	s_or_b32 exec_lo, exec_lo, s28
	v_dual_mov_b32 v159, 0 :: v_dual_mov_b32 v160, 0
	v_mov_b32_e32 v161, 0
	s_and_saveexec_b32 s28, s3
	s_cbranch_execz .LBB166_98
; %bb.97:                               ;   in Loop: Header=BB166_3 Depth=1
	v_add_co_u32 v160, vcc_lo, v91, v3
	v_add_co_ci_u32_e32 v161, vcc_lo, v92, v4, vcc_lo
	v_add_co_u32 v162, vcc_lo, v93, v3
	v_add_co_ci_u32_e32 v163, vcc_lo, v94, v4, vcc_lo
	global_load_u16 v160, v[160:161], off
	global_load_u16 v161, v[162:163], off
	s_waitcnt vmcnt(1)
	v_cvt_f32_f16_e64 v160, v160
	s_waitcnt vmcnt(0)
	v_cvt_f32_f16_e64 v161, v161
.LBB166_98:                             ;   in Loop: Header=BB166_3 Depth=1
	s_or_b32 exec_lo, exec_lo, s28
	v_mov_b32_e32 v162, 0
	s_and_saveexec_b32 s28, s3
	s_cbranch_execz .LBB166_100
; %bb.99:                               ;   in Loop: Header=BB166_3 Depth=1
	v_add_co_u32 v162, vcc_lo, v87, v3
	v_add_co_ci_u32_e32 v163, vcc_lo, v88, v4, vcc_lo
	v_add_co_u32 v164, vcc_lo, v89, v3
	v_add_co_ci_u32_e32 v165, vcc_lo, v90, v4, vcc_lo
	global_load_u16 v159, v[162:163], off
	global_load_u16 v162, v[164:165], off
	s_waitcnt vmcnt(1)
	v_cvt_f32_f16_e64 v159, v159
	s_waitcnt vmcnt(0)
	v_cvt_f32_f16_e64 v162, v162
.LBB166_100:                            ;   in Loop: Header=BB166_3 Depth=1
	s_or_b32 exec_lo, exec_lo, s28
	v_dual_mov_b32 v163, 0 :: v_dual_mov_b32 v164, 0
	v_mov_b32_e32 v165, 0
	s_and_saveexec_b32 s28, s3
	s_cbranch_execz .LBB166_102
; %bb.101:                              ;   in Loop: Header=BB166_3 Depth=1
	v_add_co_u32 v164, vcc_lo, v83, v3
	v_add_co_ci_u32_e32 v165, vcc_lo, v84, v4, vcc_lo
	v_add_co_u32 v166, vcc_lo, v85, v3
	v_add_co_ci_u32_e32 v167, vcc_lo, v86, v4, vcc_lo
	global_load_u16 v164, v[164:165], off
	global_load_u16 v165, v[166:167], off
	s_waitcnt vmcnt(1)
	v_cvt_f32_f16_e64 v164, v164
	s_waitcnt vmcnt(0)
	v_cvt_f32_f16_e64 v165, v165
.LBB166_102:                            ;   in Loop: Header=BB166_3 Depth=1
	s_or_b32 exec_lo, exec_lo, s28
	v_mov_b32_e32 v166, 0
	s_and_saveexec_b32 s28, s3
	s_cbranch_execz .LBB166_104
; %bb.103:                              ;   in Loop: Header=BB166_3 Depth=1
	v_add_co_u32 v166, vcc_lo, v79, v3
	v_add_co_ci_u32_e32 v167, vcc_lo, v80, v4, vcc_lo
	v_add_co_u32 v168, vcc_lo, v81, v3
	v_add_co_ci_u32_e32 v169, vcc_lo, v82, v4, vcc_lo
	global_load_u16 v163, v[166:167], off
	global_load_u16 v166, v[168:169], off
	s_waitcnt vmcnt(1)
	v_cvt_f32_f16_e64 v163, v163
	s_waitcnt vmcnt(0)
	v_cvt_f32_f16_e64 v166, v166
.LBB166_104:                            ;   in Loop: Header=BB166_3 Depth=1
	s_or_b32 exec_lo, exec_lo, s28
	v_dual_mov_b32 v167, 0 :: v_dual_mov_b32 v168, 0
	v_mov_b32_e32 v169, 0
	s_and_saveexec_b32 s28, s3
	s_cbranch_execz .LBB166_106
; %bb.105:                              ;   in Loop: Header=BB166_3 Depth=1
	v_add_co_u32 v168, vcc_lo, v75, v3
	v_add_co_ci_u32_e32 v169, vcc_lo, v76, v4, vcc_lo
	v_add_co_u32 v170, vcc_lo, v77, v3
	v_add_co_ci_u32_e32 v171, vcc_lo, v78, v4, vcc_lo
	global_load_u16 v168, v[168:169], off
	global_load_u16 v169, v[170:171], off
	s_waitcnt vmcnt(1)
	v_cvt_f32_f16_e64 v168, v168
	s_waitcnt vmcnt(0)
	v_cvt_f32_f16_e64 v169, v169
.LBB166_106:                            ;   in Loop: Header=BB166_3 Depth=1
	s_or_b32 exec_lo, exec_lo, s28
	v_mov_b32_e32 v170, 0
	s_and_saveexec_b32 s28, s3
	s_cbranch_execz .LBB166_108
; %bb.107:                              ;   in Loop: Header=BB166_3 Depth=1
	v_add_co_u32 v170, vcc_lo, v72, v3
	v_add_co_ci_u32_e32 v171, vcc_lo, v73, v4, vcc_lo
	v_add_co_u32 v172, vcc_lo, v0, v3
	v_add_co_ci_u32_e32 v173, vcc_lo, v74, v4, vcc_lo
	global_load_u16 v167, v[170:171], off
	global_load_u16 v170, v[172:173], off
	s_waitcnt vmcnt(1)
	v_cvt_f32_f16_e64 v167, v167
	s_waitcnt vmcnt(0)
	v_cvt_f32_f16_e64 v170, v170
.LBB166_108:                            ;   in Loop: Header=BB166_3 Depth=1
	;; [unrolled: 33-line block ×8, first 2 shown]
	s_or_b32 exec_lo, exec_lo, s28
	v_dual_mov_b32 v196, 0 :: v_dual_mov_b32 v197, 0
	v_mov_b32_e32 v198, 0
	s_and_saveexec_b32 s28, s3
	s_cbranch_execnz .LBB166_139
; %bb.133:                              ;   in Loop: Header=BB166_3 Depth=1
	s_or_b32 exec_lo, exec_lo, s28
	v_mov_b32_e32 v199, 0
	s_and_saveexec_b32 s28, s3
	s_cbranch_execnz .LBB166_140
.LBB166_134:                            ;   in Loop: Header=BB166_3 Depth=1
	s_or_b32 exec_lo, exec_lo, s28
	v_mov_b32_e32 v189, 0
	s_and_saveexec_b32 s28, s3
	s_cbranch_execz .LBB166_136
.LBB166_135:                            ;   in Loop: Header=BB166_3 Depth=1
	v_add_co_u32 v200, vcc_lo, v1, v3
	v_add_co_ci_u32_e32 v201, vcc_lo, v13, v4, vcc_lo
	v_add_co_u32 v202, vcc_lo, v14, v3
	v_add_co_ci_u32_e32 v203, vcc_lo, v15, v4, vcc_lo
	global_load_u16 v189, v[200:201], off
	global_load_u16 v200, v[202:203], off
	s_waitcnt vmcnt(1)
	v_cvt_f32_f16_e64 v189, v189
	s_waitcnt vmcnt(0)
	v_cvt_f32_f16_e64 v200, v200
	s_delay_alu instid0(VALU_DEP_1)
	v_mul_f32_e32 v189, v189, v200
.LBB166_136:                            ;   in Loop: Header=BB166_3 Depth=1
	s_or_b32 exec_lo, exec_lo, s28
	s_waitcnt vmcnt(0)
	ds_bpermute_b32 v200, v2, v7
	ds_bpermute_b32 v201, v2, v7 offset:4
	ds_bpermute_b32 v202, v2, v7 offset:8
	v_mul_f32_e32 v5, v8, v5
	ds_bpermute_b32 v8, v2, v7 offset:12
	v_mul_f32_e32 v140, v140, v141
	ds_bpermute_b32 v141, v2, v7 offset:16
	s_waitcnt lgkmcnt(4)
	v_fmac_f32_e32 v139, v5, v200
	v_mul_f32_e32 v5, v6, v142
	ds_bpermute_b32 v6, v2, v7 offset:20
	ds_bpermute_b32 v142, v2, v7 offset:24
	s_waitcnt lgkmcnt(5)
	v_fmac_f32_e32 v139, v140, v201
	s_waitcnt lgkmcnt(4)
	s_delay_alu instid0(VALU_DEP_1)
	v_dual_mul_f32 v140, v144, v145 :: v_dual_fmac_f32 v139, v5, v202
	v_mul_f32_e32 v5, v143, v146
	ds_bpermute_b32 v143, v2, v7 offset:28
	s_waitcnt lgkmcnt(4)
	v_fmac_f32_e32 v139, v140, v8
	v_mul_f32_e32 v8, v148, v149
	ds_bpermute_b32 v140, v2, v7 offset:32
	s_waitcnt lgkmcnt(4)
	v_fmac_f32_e32 v139, v5, v141
	;; [unrolled: 4-line block ×4, first 2 shown]
	v_mul_f32_e32 v5, v151, v154
	ds_bpermute_b32 v142, v2, v7 offset:44
	s_waitcnt lgkmcnt(4)
	v_dual_fmac_f32 v139, v6, v143 :: v_dual_mul_f32 v6, v156, v157
	ds_bpermute_b32 v143, v2, v7 offset:48
	s_waitcnt lgkmcnt(4)
	v_fmac_f32_e32 v139, v5, v140
	v_mul_f32_e32 v5, v155, v158
	ds_bpermute_b32 v140, v2, v7 offset:52
	s_waitcnt lgkmcnt(4)
	v_fmac_f32_e32 v139, v6, v141
	v_mul_f32_e32 v6, v160, v161
	;; [unrolled: 4-line block ×3, first 2 shown]
	ds_bpermute_b32 v8, v2, v7 offset:60
	s_waitcnt lgkmcnt(4)
	v_dual_fmac_f32 v139, v6, v142 :: v_dual_mul_f32 v6, v164, v165
	ds_bpermute_b32 v142, v2, v7 offset:64
	s_waitcnt lgkmcnt(4)
	v_fmac_f32_e32 v139, v5, v143
	v_mul_f32_e32 v5, v163, v166
	ds_bpermute_b32 v143, v2, v7 offset:68
	s_waitcnt lgkmcnt(4)
	v_dual_fmac_f32 v139, v6, v140 :: v_dual_mul_f32 v6, v168, v169
	ds_bpermute_b32 v140, v2, v7 offset:72
	s_waitcnt lgkmcnt(4)
	v_fmac_f32_e32 v139, v5, v141
	v_mul_f32_e32 v5, v167, v170
	;; [unrolled: 7-line block ×4, first 2 shown]
	ds_bpermute_b32 v140, v2, v7 offset:92
	s_waitcnt lgkmcnt(4)
	v_fmac_f32_e32 v139, v6, v141
	v_mul_f32_e32 v6, v180, v181
	ds_bpermute_b32 v141, v2, v7 offset:96
	s_waitcnt lgkmcnt(4)
	v_fmac_f32_e32 v139, v5, v8
	v_mul_f32_e32 v5, v179, v182
	ds_bpermute_b32 v8, v2, v7 offset:100
	s_waitcnt lgkmcnt(4)
	v_dual_fmac_f32 v139, v6, v142 :: v_dual_mul_f32 v6, v184, v185
	ds_bpermute_b32 v142, v2, v7 offset:104
	s_waitcnt lgkmcnt(4)
	v_fmac_f32_e32 v139, v5, v143
	v_mul_f32_e32 v5, v183, v186
	ds_bpermute_b32 v143, v2, v7 offset:108
	s_waitcnt lgkmcnt(4)
	v_dual_fmac_f32 v139, v6, v140 :: v_dual_mul_f32 v6, v188, v190
	;; [unrolled: 7-line block ×3, first 2 shown]
	s_waitcnt lgkmcnt(3)
	s_delay_alu instid0(VALU_DEP_1)
	v_dual_mul_f32 v8, v192, v195 :: v_dual_fmac_f32 v139, v5, v142
	ds_bpermute_b32 v5, v2, v7 offset:120
	ds_bpermute_b32 v7, v2, v7 offset:124
	s_waitcnt lgkmcnt(4)
	v_dual_fmac_f32 v139, v6, v143 :: v_dual_mul_f32 v6, v197, v198
	s_waitcnt lgkmcnt(3)
	s_delay_alu instid0(VALU_DEP_1) | instskip(SKIP_1) | instid1(VALU_DEP_1)
	v_fmac_f32_e32 v139, v8, v140
	s_waitcnt lgkmcnt(2)
	v_dual_fmac_f32 v139, v6, v141 :: v_dual_mul_f32 v6, v196, v199
	s_waitcnt lgkmcnt(1)
	s_delay_alu instid0(VALU_DEP_1) | instskip(NEXT) | instid1(VALU_DEP_1)
	v_fmac_f32_e32 v139, v6, v5
	v_mov_b32_e32 v144, v139
.LBB166_137:                            ;   in Loop: Header=BB166_3 Depth=1
	v_add_co_u32 v1, vcc_lo, v1, s12
	v_add_co_ci_u32_e32 v13, vcc_lo, s13, v13, vcc_lo
	v_add_co_u32 v14, vcc_lo, v14, s12
	v_add_co_ci_u32_e32 v15, vcc_lo, s13, v15, vcc_lo
	;; [unrolled: 2-line block ×62, first 2 shown]
	v_add_co_u32 v135, vcc_lo, v135, s12
	s_add_u32 s24, s24, s27
	v_add_co_ci_u32_e32 v136, vcc_lo, s13, v136, vcc_lo
	s_addc_u32 s25, s25, 0
	v_add_co_u32 v137, vcc_lo, v137, s12
	v_add_co_ci_u32_e32 v138, vcc_lo, s13, v138, vcc_lo
	v_cmp_lt_i64_e64 s28, s[24:25], s[16:17]
	v_add_co_u32 v10, vcc_lo, v10, s27
	s_waitcnt lgkmcnt(0)
	v_fmac_f32_e32 v144, v189, v7
	v_add_co_ci_u32_e32 v12, vcc_lo, 0, v12, vcc_lo
	s_add_u32 s4, s4, s27
	s_addc_u32 s5, s5, 0
	s_and_b32 vcc_lo, exec_lo, s28
	s_cbranch_vccz .LBB166_142
; %bb.138:                              ;   in Loop: Header=BB166_3 Depth=1
	v_mov_b32_e32 v139, v144
	s_branch .LBB166_3
.LBB166_139:                            ;   in Loop: Header=BB166_3 Depth=1
	v_add_co_u32 v197, vcc_lo, v20, v3
	v_add_co_ci_u32_e32 v198, vcc_lo, v21, v4, vcc_lo
	v_add_co_u32 v199, vcc_lo, v22, v3
	v_add_co_ci_u32_e32 v200, vcc_lo, v23, v4, vcc_lo
	global_load_u16 v189, v[197:198], off
	global_load_u16 v198, v[199:200], off
	s_waitcnt vmcnt(1)
	v_cvt_f32_f16_e64 v197, v189
	s_waitcnt vmcnt(0)
	v_cvt_f32_f16_e64 v198, v198
	s_or_b32 exec_lo, exec_lo, s28
	v_mov_b32_e32 v199, 0
	s_and_saveexec_b32 s28, s3
	s_cbranch_execz .LBB166_134
.LBB166_140:                            ;   in Loop: Header=BB166_3 Depth=1
	v_add_co_u32 v199, vcc_lo, v16, v3
	v_add_co_ci_u32_e32 v200, vcc_lo, v17, v4, vcc_lo
	v_add_co_u32 v201, vcc_lo, v18, v3
	v_add_co_ci_u32_e32 v202, vcc_lo, v19, v4, vcc_lo
	global_load_u16 v189, v[199:200], off
	global_load_u16 v199, v[201:202], off
	s_waitcnt vmcnt(1)
	v_cvt_f32_f16_e64 v196, v189
	s_waitcnt vmcnt(0)
	v_cvt_f32_f16_e64 v199, v199
	s_or_b32 exec_lo, exec_lo, s28
	v_mov_b32_e32 v189, 0
	s_and_saveexec_b32 s28, s3
	s_cbranch_execnz .LBB166_135
	s_branch .LBB166_136
.LBB166_141:
                                        ; implicit-def: $vgpr144
	s_load_b64 s[4:5], s[0:1], 0x30
	s_branch .LBB166_143
.LBB166_142:
	s_load_b64 s[4:5], s[0:1], 0x30
	s_cbranch_execnz .LBB166_220
.LBB166_143:
	v_mov_b32_e32 v144, 0
	s_and_not1_b32 vcc_lo, exec_lo, s26
	s_cbranch_vccnz .LBB166_220
; %bb.144:
	v_bfe_u32 v7, v207, 10, 10
	s_add_u32 s10, s0, 64
	s_addc_u32 s11, s1, 0
	s_lshl_b64 s[12:13], s[8:9], 1
	s_delay_alu instid0(VALU_DEP_1) | instskip(NEXT) | instid1(VALU_DEP_1)
	v_lshlrev_b32_e32 v0, 6, v7
	v_add_co_u32 v121, s3, v0, s12
	s_delay_alu instid0(VALU_DEP_1) | instskip(NEXT) | instid1(VALU_DEP_2)
	v_add_co_ci_u32_e64 v122, null, 0, s13, s3
	v_add_co_u32 v11, vcc_lo, v121, 2
	s_delay_alu instid0(VALU_DEP_2) | instskip(SKIP_3) | instid1(VALU_DEP_4)
	v_add_co_ci_u32_e32 v0, vcc_lo, 0, v122, vcc_lo
	v_add_co_u32 v15, vcc_lo, v121, 4
	v_add_co_ci_u32_e32 v5, vcc_lo, 0, v122, vcc_lo
	v_add_co_u32 v19, vcc_lo, v121, 6
	v_mul_lo_u32 v18, s18, v0
	v_add_co_ci_u32_e32 v0, vcc_lo, 0, v122, vcc_lo
	v_add_co_u32 v24, vcc_lo, v121, 8
	v_add_co_ci_u32_e32 v9, vcc_lo, 0, v122, vcc_lo
	s_delay_alu instid0(VALU_DEP_3)
	v_mul_lo_u32 v22, s18, v0
	v_lshlrev_b32_e32 v0, 5, v7
	scratch_store_b32 off, v7, off offset:284 ; 4-byte Folded Spill
	v_add_co_u32 v25, vcc_lo, v121, 10
	v_mad_u64_u32 v[1:2], null, s18, v11, s[20:21]
	scratch_store_b32 off, v0, off          ; 4-byte Folded Spill
	v_add_co_u32 v0, s3, v0, s8
	s_delay_alu instid0(VALU_DEP_1) | instskip(SKIP_1) | instid1(VALU_DEP_3)
	v_add_co_ci_u32_e64 v133, null, 0, 0, s3
	v_mul_lo_u32 v17, s19, v11
	v_mul_lo_u32 v14, s19, v0
	v_mad_u64_u32 v[135:136], null, s18, v0, 0
	s_delay_alu instid0(VALU_DEP_4)
	v_mul_lo_u32 v16, s18, v133
	v_add_co_ci_u32_e32 v13, vcc_lo, 0, v122, vcc_lo
	v_mul_lo_u32 v26, s18, v9
	v_mad_u64_u32 v[9:10], null, s18, v11, s[22:23]
	v_mad_u64_u32 v[3:4], null, s18, v15, s[20:21]
	v_mul_lo_u32 v20, s18, v5
	v_mul_lo_u32 v21, s19, v15
	v_mad_u64_u32 v[5:6], null, s18, v19, s[20:21]
	v_mul_lo_u32 v23, s19, v19
	v_mul_lo_u32 v28, s18, v13
	v_add3_u32 v136, v136, v16, v14
	v_mad_u64_u32 v[13:14], null, s18, v15, s[22:23]
	v_mad_u64_u32 v[15:16], null, s18, v19, s[22:23]
	v_add3_u32 v2, v17, v2, v18
	v_mad_u64_u32 v[7:8], null, s18, v24, s[20:21]
	v_mul_lo_u32 v27, s19, v24
	v_add3_u32 v10, v17, v10, v18
	v_mad_u64_u32 v[17:18], null, s18, v24, s[22:23]
	v_add_co_u32 v30, vcc_lo, v121, 12
	v_add3_u32 v4, v21, v4, v20
	v_add3_u32 v6, v23, v6, v22
	v_mad_u64_u32 v[11:12], null, s18, v25, s[20:21]
	v_mul_lo_u32 v29, s19, v25
	v_add_co_ci_u32_e32 v31, vcc_lo, 0, v122, vcc_lo
	v_add3_u32 v14, v21, v14, v20
	v_add3_u32 v16, v23, v16, v22
	v_mad_u64_u32 v[21:22], null, s18, v25, s[22:23]
	v_mad_u64_u32 v[19:20], null, s18, v30, s[20:21]
	v_mul_lo_u32 v32, s19, v30
	v_mad_u64_u32 v[23:24], null, s18, v30, s[22:23]
	v_add_co_u32 v30, vcc_lo, v121, 14
	v_add3_u32 v8, v27, v8, v26
	v_add3_u32 v18, v27, v18, v26
	v_add_co_ci_u32_e32 v27, vcc_lo, 0, v122, vcc_lo
	v_mul_lo_u32 v31, s18, v31
	v_add3_u32 v12, v29, v12, v28
	v_add3_u32 v22, v29, v22, v28
	v_mad_u64_u32 v[25:26], null, s18, v30, s[20:21]
	v_mul_lo_u32 v29, s18, v27
	v_mul_lo_u32 v33, s19, v30
	v_mad_u64_u32 v[27:28], null, s18, v30, s[22:23]
	v_add_co_u32 v34, vcc_lo, v121, 16
	v_add_co_ci_u32_e32 v30, vcc_lo, 0, v122, vcc_lo
	v_add3_u32 v20, v32, v20, v31
	v_add3_u32 v24, v32, v24, v31
	v_add3_u32 v26, v33, v26, v29
	v_add3_u32 v28, v33, v28, v29
	v_mul_lo_u32 v33, s18, v30
	v_mul_lo_u32 v35, s19, v34
	v_mad_u64_u32 v[29:30], null, s18, v34, s[20:21]
	v_mad_u64_u32 v[31:32], null, s18, v34, s[22:23]
	v_add_co_u32 v37, vcc_lo, v121, 18
	v_lshlrev_b64 v[137:138], 1, v[135:136]
	s_load_b32 s3, s[0:1], 0x44
	s_delay_alu instid0(VALU_DEP_4) | instskip(NEXT) | instid1(VALU_DEP_3)
	v_add3_u32 v30, v35, v30, v33
	v_mul_lo_u32 v39, s19, v37
	v_add3_u32 v32, v35, v32, v33
	v_add_co_ci_u32_e32 v33, vcc_lo, 0, v122, vcc_lo
	v_mad_u64_u32 v[35:36], null, s18, v37, s[22:23]
	v_add_co_u32 v41, vcc_lo, v121, 20
	s_delay_alu instid0(VALU_DEP_3) | instskip(SKIP_2) | instid1(VALU_DEP_4)
	v_mul_lo_u32 v38, s18, v33
	v_mad_u64_u32 v[33:34], null, s18, v37, s[20:21]
	v_add_co_ci_u32_e32 v37, vcc_lo, 0, v122, vcc_lo
	v_mul_lo_u32 v43, s19, v41
	v_add_co_u32 v45, vcc_lo, v121, 22
	v_add3_u32 v36, v39, v36, v38
	v_add3_u32 v34, v39, v34, v38
	v_mul_lo_u32 v42, s18, v37
	v_mad_u64_u32 v[37:38], null, s18, v41, s[20:21]
	v_mad_u64_u32 v[39:40], null, s18, v41, s[22:23]
	v_add_co_ci_u32_e32 v41, vcc_lo, 0, v122, vcc_lo
	v_mul_lo_u32 v47, s19, v45
	v_add_co_u32 v49, vcc_lo, v121, 24
	v_add3_u32 v38, v43, v38, v42
	v_add3_u32 v40, v43, v40, v42
	v_mul_lo_u32 v46, s18, v41
	v_mad_u64_u32 v[41:42], null, s18, v45, s[20:21]
	;; [unrolled: 8-line block ×20, first 2 shown]
	v_mad_u64_u32 v[115:116], null, s18, v117, s[22:23]
	v_add_co_ci_u32_e32 v117, vcc_lo, 0, v122, vcc_lo
	v_mul_lo_u32 v125, s19, v123
	s_waitcnt lgkmcnt(0)
	s_lshl_b32 s3, s3, 5
	s_delay_alu instid0(VALU_DEP_4)
	v_add3_u32 v114, v119, v114, v118
	v_mul_lo_u32 v124, s18, v117
	v_add3_u32 v116, v119, v116, v118
	v_mad_u64_u32 v[117:118], null, s18, v123, s[20:21]
	v_mad_u64_u32 v[119:120], null, s18, v123, s[22:23]
	s_mul_i32 s12, s19, s3
	s_mul_hi_u32 s13, s18, s3
	s_delay_alu instid0(SALU_CYCLE_1) | instskip(NEXT) | instid1(VALU_DEP_2)
	s_add_i32 s13, s13, s12
	v_add3_u32 v118, v125, v118, v124
	s_mul_i32 s12, s18, s3
	s_delay_alu instid0(VALU_DEP_2) | instskip(SKIP_3) | instid1(VALU_DEP_2)
	v_add3_u32 v120, v125, v120, v124
	v_add_co_u32 v125, vcc_lo, v121, 62
	v_add_co_ci_u32_e32 v121, vcc_lo, 0, v122, vcc_lo
	s_lshl_b64 s[12:13], s[12:13], 1
	v_mul_lo_u32 v127, s19, v125
	v_mad_u64_u32 v[123:124], null, s18, v125, s[22:23]
	s_delay_alu instid0(VALU_DEP_3) | instskip(SKIP_2) | instid1(VALU_DEP_3)
	v_mul_lo_u32 v126, s18, v121
	v_mad_u64_u32 v[121:122], null, s18, v125, s[20:21]
	v_add_co_u32 v125, vcc_lo, v0, 31
	v_add3_u32 v124, v127, v124, v126
	s_delay_alu instid0(VALU_DEP_3) | instskip(SKIP_1) | instid1(VALU_DEP_4)
	v_add3_u32 v122, v127, v122, v126
	v_add_co_ci_u32_e32 v126, vcc_lo, 0, v133, vcc_lo
	v_mul_lo_u32 v129, s19, v125
	v_mad_u64_u32 v[127:128], null, s18, v125, 0
	s_delay_alu instid0(VALU_DEP_3) | instskip(SKIP_1) | instid1(VALU_DEP_1)
	v_mul_lo_u32 v126, s18, v126
	v_add_co_u32 v125, vcc_lo, v0, 30
	v_mul_lo_u32 v131, s19, v125
	s_delay_alu instid0(VALU_DEP_3) | instskip(SKIP_3) | instid1(VALU_DEP_3)
	v_add3_u32 v128, v128, v126, v129
	v_add_co_ci_u32_e32 v126, vcc_lo, 0, v133, vcc_lo
	v_mad_u64_u32 v[129:130], null, s18, v125, 0
	v_add_co_u32 v125, vcc_lo, v0, 29
	v_mul_lo_u32 v126, s18, v126
	v_lshlrev_b64 v[127:128], 1, v[127:128]
	s_delay_alu instid0(VALU_DEP_3) | instskip(NEXT) | instid1(VALU_DEP_3)
	v_mul_lo_u32 v134, s19, v125
	v_add3_u32 v130, v130, v126, v131
	v_add_co_ci_u32_e32 v126, vcc_lo, 0, v133, vcc_lo
	v_mad_u64_u32 v[131:132], null, s18, v125, 0
	v_add_co_u32 v125, vcc_lo, v0, 28
	s_delay_alu instid0(VALU_DEP_3) | instskip(NEXT) | instid1(VALU_DEP_2)
	v_mul_lo_u32 v126, s18, v126
	v_mad_u64_u32 v[139:140], null, s18, v125, 0
	s_delay_alu instid0(VALU_DEP_2) | instskip(SKIP_3) | instid1(VALU_DEP_3)
	v_add3_u32 v132, v132, v126, v134
	v_add_co_ci_u32_e32 v126, vcc_lo, 0, v133, vcc_lo
	v_mul_lo_u32 v134, s19, v125
	v_add_co_u32 v125, vcc_lo, v0, 27
	v_mul_lo_u32 v126, s18, v126
	s_delay_alu instid0(VALU_DEP_2) | instskip(NEXT) | instid1(VALU_DEP_2)
	v_mad_u64_u32 v[141:142], null, s18, v125, 0
	v_add3_u32 v140, v140, v126, v134
	v_add_co_ci_u32_e32 v126, vcc_lo, 0, v133, vcc_lo
	v_mul_lo_u32 v134, s19, v125
	v_add_co_u32 v125, vcc_lo, v0, 26
	s_delay_alu instid0(VALU_DEP_3) | instskip(NEXT) | instid1(VALU_DEP_2)
	v_mul_lo_u32 v126, s18, v126
	v_mad_u64_u32 v[143:144], null, s18, v125, 0
	s_delay_alu instid0(VALU_DEP_2) | instskip(SKIP_3) | instid1(VALU_DEP_3)
	v_add3_u32 v142, v142, v126, v134
	v_add_co_ci_u32_e32 v126, vcc_lo, 0, v133, vcc_lo
	v_mul_lo_u32 v134, s19, v125
	v_add_co_u32 v125, vcc_lo, v0, 25
	v_mul_lo_u32 v126, s18, v126
	s_delay_alu instid0(VALU_DEP_2) | instskip(NEXT) | instid1(VALU_DEP_2)
	v_mad_u64_u32 v[145:146], null, s18, v125, 0
	v_add3_u32 v144, v144, v126, v134
	v_add_co_ci_u32_e32 v126, vcc_lo, 0, v133, vcc_lo
	v_mul_lo_u32 v134, s19, v125
	;; [unrolled: 15-line block ×13, first 2 shown]
	v_add_co_u32 v0, vcc_lo, v0, 2
	s_delay_alu instid0(VALU_DEP_3) | instskip(SKIP_1) | instid1(VALU_DEP_1)
	v_mul_lo_u32 v126, s18, v126
	v_add_co_ci_u32_e32 v125, vcc_lo, 0, v133, vcc_lo
	v_mul_lo_u32 v125, s18, v125
	s_delay_alu instid0(VALU_DEP_3) | instskip(SKIP_2) | instid1(VALU_DEP_1)
	v_add3_u32 v252, v252, v126, v134
	v_mul_lo_u32 v126, s19, v0
	v_mad_u64_u32 v[133:134], null, s18, v0, 0
	v_add3_u32 v134, v134, v125, v126
	v_add_co_u32 v125, vcc_lo, v135, s18
	v_add_co_ci_u32_e32 v126, vcc_lo, s19, v136, vcc_lo
	v_add_co_u32 v135, vcc_lo, s20, v137
	v_add_co_ci_u32_e32 v136, vcc_lo, s21, v138, vcc_lo
	;; [unrolled: 2-line block ×3, first 2 shown]
	v_add_co_u32 v0, vcc_lo, s20, v127
	v_lshlrev_b64 v[125:126], 1, v[125:126]
	scratch_store_b32 off, v0, off offset:4 ; 4-byte Folded Spill
	v_add_co_ci_u32_e32 v0, vcc_lo, s21, v128, vcc_lo
	scratch_store_b32 off, v0, off offset:8 ; 4-byte Folded Spill
	v_add_co_u32 v0, vcc_lo, s22, v127
	scratch_store_b32 off, v0, off offset:12 ; 4-byte Folded Spill
	v_add_co_ci_u32_e32 v0, vcc_lo, s23, v128, vcc_lo
	v_lshlrev_b64 v[127:128], 1, v[129:130]
	v_mov_b32_e32 v129, v207
	s_clause 0x1
	scratch_store_b32 off, v0, off offset:16
	scratch_store_b32 off, v129, off offset:292
	v_add_co_u32 v0, vcc_lo, s20, v127
	scratch_store_b32 off, v0, off offset:20 ; 4-byte Folded Spill
	v_add_co_ci_u32_e32 v0, vcc_lo, s21, v128, vcc_lo
	scratch_store_b32 off, v0, off offset:24 ; 4-byte Folded Spill
	v_add_co_u32 v0, vcc_lo, s22, v127
	scratch_store_b32 off, v0, off offset:28 ; 4-byte Folded Spill
	v_add_co_ci_u32_e32 v0, vcc_lo, s23, v128, vcc_lo
	v_lshlrev_b64 v[127:128], 1, v[131:132]
	scratch_store_b32 off, v0, off offset:32 ; 4-byte Folded Spill
	v_add_co_u32 v0, vcc_lo, s20, v127
	scratch_store_b32 off, v0, off offset:36 ; 4-byte Folded Spill
	v_add_co_ci_u32_e32 v0, vcc_lo, s21, v128, vcc_lo
	scratch_store_b32 off, v0, off offset:40 ; 4-byte Folded Spill
	v_add_co_u32 v0, vcc_lo, s22, v127
	scratch_store_b32 off, v0, off offset:44 ; 4-byte Folded Spill
	v_add_co_ci_u32_e32 v0, vcc_lo, s23, v128, vcc_lo
	v_lshlrev_b64 v[127:128], 1, v[139:140]
	scratch_store_b32 off, v0, off offset:48 ; 4-byte Folded Spill
	v_add_co_u32 v0, vcc_lo, s20, v127
	scratch_store_b32 off, v0, off offset:52 ; 4-byte Folded Spill
	v_add_co_ci_u32_e32 v0, vcc_lo, s21, v128, vcc_lo
	scratch_store_b32 off, v0, off offset:56 ; 4-byte Folded Spill
	v_add_co_u32 v0, vcc_lo, s22, v127
	scratch_store_b32 off, v0, off offset:60 ; 4-byte Folded Spill
	v_add_co_ci_u32_e32 v0, vcc_lo, s23, v128, vcc_lo
	v_lshlrev_b64 v[127:128], 1, v[141:142]
	scratch_store_b32 off, v0, off offset:64 ; 4-byte Folded Spill
	v_add_co_u32 v0, vcc_lo, s20, v127
	scratch_store_b32 off, v0, off offset:68 ; 4-byte Folded Spill
	v_add_co_ci_u32_e32 v0, vcc_lo, s21, v128, vcc_lo
	scratch_store_b32 off, v0, off offset:72 ; 4-byte Folded Spill
	v_add_co_u32 v0, vcc_lo, s22, v127
	scratch_store_b32 off, v0, off offset:76 ; 4-byte Folded Spill
	v_add_co_ci_u32_e32 v0, vcc_lo, s23, v128, vcc_lo
	v_lshlrev_b64 v[127:128], 1, v[143:144]
	scratch_store_b32 off, v0, off offset:80 ; 4-byte Folded Spill
	v_add_co_u32 v0, vcc_lo, s20, v127
	scratch_store_b32 off, v0, off offset:84 ; 4-byte Folded Spill
	v_add_co_ci_u32_e32 v0, vcc_lo, s21, v128, vcc_lo
	scratch_store_b32 off, v0, off offset:88 ; 4-byte Folded Spill
	v_add_co_u32 v0, vcc_lo, s22, v127
	scratch_store_b32 off, v0, off offset:92 ; 4-byte Folded Spill
	v_add_co_ci_u32_e32 v0, vcc_lo, s23, v128, vcc_lo
	v_lshlrev_b64 v[127:128], 1, v[145:146]
	v_mov_b32_e32 v145, 0
	scratch_store_b32 off, v0, off offset:96 ; 4-byte Folded Spill
	v_add_co_u32 v0, vcc_lo, s20, v127
	scratch_store_b32 off, v0, off offset:100 ; 4-byte Folded Spill
	v_add_co_ci_u32_e32 v0, vcc_lo, s21, v128, vcc_lo
	scratch_store_b32 off, v0, off offset:104 ; 4-byte Folded Spill
	v_add_co_u32 v0, vcc_lo, s22, v127
	scratch_store_b32 off, v0, off offset:108 ; 4-byte Folded Spill
	v_add_co_ci_u32_e32 v0, vcc_lo, s23, v128, vcc_lo
	v_lshlrev_b64 v[127:128], 1, v[147:148]
	scratch_store_b32 off, v0, off offset:112 ; 4-byte Folded Spill
	v_add_co_u32 v0, vcc_lo, s20, v127
	scratch_store_b32 off, v0, off offset:116 ; 4-byte Folded Spill
	v_add_co_ci_u32_e32 v0, vcc_lo, s21, v128, vcc_lo
	scratch_store_b32 off, v0, off offset:120 ; 4-byte Folded Spill
	v_add_co_u32 v0, vcc_lo, s22, v127
	scratch_store_b32 off, v0, off offset:124 ; 4-byte Folded Spill
	v_add_co_ci_u32_e32 v0, vcc_lo, s23, v128, vcc_lo
	v_lshlrev_b64 v[127:128], 1, v[149:150]
	;; [unrolled: 9-line block ×4, first 2 shown]
	scratch_store_b32 off, v0, off offset:160 ; 4-byte Folded Spill
	v_add_co_u32 v0, vcc_lo, s20, v127
	v_add_co_ci_u32_e32 v180, vcc_lo, s21, v128, vcc_lo
	v_add_co_u32 v181, vcc_lo, s22, v127
	v_add_co_ci_u32_e32 v182, vcc_lo, s23, v128, vcc_lo
	v_lshlrev_b64 v[127:128], 1, v[155:156]
	scratch_store_b32 off, v0, off offset:164 ; 4-byte Folded Spill
	v_add_co_u32 v183, vcc_lo, s20, v127
	v_add_co_ci_u32_e32 v184, vcc_lo, s21, v128, vcc_lo
	v_add_co_u32 v185, vcc_lo, s22, v127
	v_add_co_ci_u32_e32 v186, vcc_lo, s23, v128, vcc_lo
	v_lshlrev_b64 v[127:128], 1, v[157:158]
	s_delay_alu instid0(VALU_DEP_1) | instskip(NEXT) | instid1(VALU_DEP_2)
	v_add_co_u32 v187, vcc_lo, s20, v127
	v_add_co_ci_u32_e32 v188, vcc_lo, s21, v128, vcc_lo
	v_add_co_u32 v189, vcc_lo, s22, v127
	v_add_co_ci_u32_e32 v190, vcc_lo, s23, v128, vcc_lo
	v_lshlrev_b64 v[127:128], 1, v[159:160]
	s_delay_alu instid0(VALU_DEP_1) | instskip(NEXT) | instid1(VALU_DEP_2)
	;; [unrolled: 6-line block ×16, first 2 shown]
	v_add_co_u32 v247, vcc_lo, s20, v127
	v_add_co_ci_u32_e32 v248, vcc_lo, s21, v128, vcc_lo
	v_add_co_u32 v249, vcc_lo, s22, v127
	v_add_co_ci_u32_e32 v0, vcc_lo, s23, v128, vcc_lo
	v_lshlrev_b64 v[127:128], 1, v[251:252]
	scratch_store_b32 off, v0, off offset:168 ; 4-byte Folded Spill
	v_add_co_u32 v0, vcc_lo, s20, v127
	scratch_store_b32 off, v0, off offset:172 ; 4-byte Folded Spill
	v_add_co_ci_u32_e32 v0, vcc_lo, s21, v128, vcc_lo
	v_add_co_u32 v253, vcc_lo, s22, v127
	v_add_co_ci_u32_e32 v254, vcc_lo, s23, v128, vcc_lo
	v_lshlrev_b64 v[127:128], 1, v[133:134]
	scratch_store_b32 off, v0, off offset:176 ; 4-byte Folded Spill
	v_add_co_u32 v255, vcc_lo, s20, v127
	v_add_co_ci_u32_e32 v133, vcc_lo, s21, v128, vcc_lo
	v_add_co_u32 v0, vcc_lo, s22, v127
	v_add_co_ci_u32_e32 v134, vcc_lo, s23, v128, vcc_lo
	;; [unrolled: 2-line block ×3, first 2 shown]
	v_add_co_u32 v141, vcc_lo, s22, v125
	v_and_b32_e32 v125, 0x3ff, v129
	v_add_co_ci_u32_e32 v142, vcc_lo, s23, v126, vcc_lo
	v_mov_b32_e32 v126, 0
	s_mov_b64 s[20:21], 31
	scratch_store_b32 off, v125, off offset:288 ; 4-byte Folded Spill
	v_add_nc_u32_e32 v125, s15, v125
	s_mov_b64 s[22:23], s[8:9]
	v_mov_b32_e32 v143, v126
	s_delay_alu instid0(VALU_DEP_2)
	v_lshlrev_b64 v[127:128], 1, v[125:126]
.LBB166_145:                            ; =>This Inner Loop Header: Depth=1
	scratch_load_b32 v125, off, off         ; 4-byte Folded Reload
	s_add_u32 s24, s8, s20
	s_addc_u32 s25, 0, s21
	s_delay_alu instid0(SALU_CYCLE_1) | instskip(SKIP_3) | instid1(VALU_DEP_3)
	v_cmp_ge_i64_e64 s9, s[24:25], s[16:17]
	s_waitcnt vmcnt(0)
	v_add_co_u32 v129, vcc_lo, s8, v125
	v_add_co_ci_u32_e32 v130, vcc_lo, 0, v143, vcc_lo
	s_and_b32 vcc_lo, exec_lo, s9
	s_cbranch_vccz .LBB166_213
; %bb.146:                              ;   in Loop: Header=BB166_145 Depth=1
	s_load_b32 s9, s[10:11], 0xc
	s_clause 0x1
	scratch_load_b32 v125, off, off offset:284
	scratch_load_b32 v131, off, off offset:288
	v_mov_b32_e32 v176, 0
	s_waitcnt lgkmcnt(0)
	s_and_b32 s9, s9, 0xffff
	s_waitcnt vmcnt(0)
	v_mad_u32_u24 v125, v125, s9, v131
	s_mov_b32 s9, exec_lo
	s_delay_alu instid0(VALU_DEP_1) | instskip(NEXT) | instid1(VALU_DEP_1)
	v_and_b32_e32 v125, 31, v125
	v_add_co_u32 v131, vcc_lo, v129, v125
	v_add_co_ci_u32_e32 v132, vcc_lo, 0, v130, vcc_lo
	v_mov_b32_e32 v125, 0
	s_delay_alu instid0(VALU_DEP_2)
	v_cmpx_gt_i64_e64 s[16:17], v[131:132]
	s_cbranch_execz .LBB166_148
; %bb.147:                              ;   in Loop: Header=BB166_145 Depth=1
	v_lshlrev_b64 v[131:132], 2, v[131:132]
	s_delay_alu instid0(VALU_DEP_1) | instskip(NEXT) | instid1(VALU_DEP_2)
	v_add_co_u32 v131, vcc_lo, s6, v131
	v_add_co_ci_u32_e32 v132, vcc_lo, s7, v132, vcc_lo
	global_load_b32 v125, v[131:132], off
.LBB166_148:                            ;   in Loop: Header=BB166_145 Depth=1
	s_or_b32 exec_lo, exec_lo, s9
	v_mov_b32_e32 v177, 0
	s_mov_b32 s9, exec_lo
	v_cmpx_gt_i64_e64 s[16:17], v[129:130]
	s_cbranch_execz .LBB166_150
; %bb.149:                              ;   in Loop: Header=BB166_145 Depth=1
	v_add_co_u32 v131, vcc_lo, v135, v127
	v_add_co_ci_u32_e32 v132, vcc_lo, v136, v128, vcc_lo
	v_add_co_u32 v146, vcc_lo, v137, v127
	v_add_co_ci_u32_e32 v147, vcc_lo, v138, v128, vcc_lo
	global_load_u16 v131, v[131:132], off
	global_load_u16 v132, v[146:147], off
	s_waitcnt vmcnt(1)
	v_cvt_f32_f16_e64 v176, v131
	s_waitcnt vmcnt(0)
	v_cvt_f32_f16_e64 v177, v132
.LBB166_150:                            ;   in Loop: Header=BB166_145 Depth=1
	s_or_b32 exec_lo, exec_lo, s9
	v_add_co_u32 v131, vcc_lo, v129, 1
	v_add_co_ci_u32_e32 v132, vcc_lo, 0, v130, vcc_lo
	v_dual_mov_b32 v178, 0 :: v_dual_mov_b32 v179, 0
	v_mov_b32_e32 v144, 0
	s_mov_b32 s9, exec_lo
	s_delay_alu instid0(VALU_DEP_3)
	v_cmpx_gt_i64_e64 s[16:17], v[131:132]
	s_cbranch_execz .LBB166_152
; %bb.151:                              ;   in Loop: Header=BB166_145 Depth=1
	v_add_co_u32 v131, vcc_lo, v139, v127
	v_add_co_ci_u32_e32 v132, vcc_lo, v140, v128, vcc_lo
	v_add_co_u32 v146, vcc_lo, v141, v127
	v_add_co_ci_u32_e32 v147, vcc_lo, v142, v128, vcc_lo
	global_load_u16 v131, v[131:132], off
	global_load_u16 v132, v[146:147], off
	s_waitcnt vmcnt(1)
	v_cvt_f32_f16_e64 v179, v131
	s_waitcnt vmcnt(0)
	v_cvt_f32_f16_e64 v144, v132
.LBB166_152:                            ;   in Loop: Header=BB166_145 Depth=1
	s_or_b32 exec_lo, exec_lo, s9
	v_add_co_u32 v131, vcc_lo, v129, 2
	v_add_co_ci_u32_e32 v132, vcc_lo, 0, v130, vcc_lo
	v_mov_b32_e32 v175, 0
	s_mov_b32 s9, exec_lo
	s_delay_alu instid0(VALU_DEP_2)
	v_cmpx_gt_i64_e64 s[16:17], v[131:132]
	s_cbranch_execz .LBB166_154
; %bb.153:                              ;   in Loop: Header=BB166_145 Depth=1
	v_add_co_u32 v131, vcc_lo, v255, v127
	v_add_co_ci_u32_e32 v132, vcc_lo, v133, v128, vcc_lo
	v_add_co_u32 v146, vcc_lo, v0, v127
	v_add_co_ci_u32_e32 v147, vcc_lo, v134, v128, vcc_lo
	global_load_u16 v131, v[131:132], off
	global_load_u16 v132, v[146:147], off
	s_waitcnt vmcnt(1)
	v_cvt_f32_f16_e64 v178, v131
	s_waitcnt vmcnt(0)
	v_cvt_f32_f16_e64 v175, v132
.LBB166_154:                            ;   in Loop: Header=BB166_145 Depth=1
	s_or_b32 exec_lo, exec_lo, s9
	v_add_co_u32 v131, vcc_lo, v129, 3
	v_add_co_ci_u32_e32 v132, vcc_lo, 0, v130, vcc_lo
	v_dual_mov_b32 v250, 0 :: v_dual_mov_b32 v251, 0
	s_delay_alu instid0(VALU_DEP_2)
	v_cmp_gt_i64_e32 vcc_lo, s[16:17], v[131:132]
	v_mov_b32_e32 v131, 0
	scratch_store_b32 off, v131, off offset:180 ; 4-byte Folded Spill
	s_and_saveexec_b32 s9, vcc_lo
	s_cbranch_execz .LBB166_156
; %bb.155:                              ;   in Loop: Header=BB166_145 Depth=1
	s_clause 0x1
	scratch_load_b32 v131, off, off offset:172
	scratch_load_b32 v132, off, off offset:176
	s_waitcnt vmcnt(1)
	v_add_co_u32 v131, vcc_lo, v131, v127
	s_waitcnt vmcnt(0)
	v_add_co_ci_u32_e32 v132, vcc_lo, v132, v128, vcc_lo
	v_add_co_u32 v146, vcc_lo, v253, v127
	v_add_co_ci_u32_e32 v147, vcc_lo, v254, v128, vcc_lo
	global_load_u16 v131, v[131:132], off
	global_load_u16 v132, v[146:147], off
	s_waitcnt vmcnt(1)
	v_cvt_f32_f16_e64 v251, v131
	s_waitcnt vmcnt(0)
	v_cvt_f32_f16_e64 v131, v132
	scratch_store_b32 off, v131, off offset:180 ; 4-byte Folded Spill
.LBB166_156:                            ;   in Loop: Header=BB166_145 Depth=1
	s_or_b32 exec_lo, exec_lo, s9
	v_add_co_u32 v131, vcc_lo, v129, 4
	v_add_co_ci_u32_e32 v132, vcc_lo, 0, v130, vcc_lo
	s_delay_alu instid0(VALU_DEP_1)
	v_cmp_gt_i64_e32 vcc_lo, s[16:17], v[131:132]
	v_mov_b32_e32 v131, 0
	scratch_store_b32 off, v131, off offset:184 ; 4-byte Folded Spill
	s_and_saveexec_b32 s9, vcc_lo
	s_cbranch_execz .LBB166_158
; %bb.157:                              ;   in Loop: Header=BB166_145 Depth=1
	scratch_load_b32 v147, off, off offset:168 ; 4-byte Folded Reload
	v_add_co_u32 v131, vcc_lo, v247, v127
	v_add_co_ci_u32_e32 v132, vcc_lo, v248, v128, vcc_lo
	v_add_co_u32 v146, vcc_lo, v249, v127
	s_waitcnt vmcnt(0)
	v_add_co_ci_u32_e32 v147, vcc_lo, v147, v128, vcc_lo
	global_load_u16 v131, v[131:132], off
	global_load_u16 v132, v[146:147], off
	s_waitcnt vmcnt(1)
	v_cvt_f32_f16_e64 v250, v131
	s_waitcnt vmcnt(0)
	v_cvt_f32_f16_e64 v131, v132
	scratch_store_b32 off, v131, off offset:184 ; 4-byte Folded Spill
.LBB166_158:                            ;   in Loop: Header=BB166_145 Depth=1
	s_or_b32 exec_lo, exec_lo, s9
	v_add_co_u32 v131, vcc_lo, v129, 5
	v_add_co_ci_u32_e32 v132, vcc_lo, 0, v130, vcc_lo
	v_mov_b32_e32 v146, 0
	s_delay_alu instid0(VALU_DEP_2)
	v_cmp_gt_i64_e32 vcc_lo, s[16:17], v[131:132]
	v_mov_b32_e32 v131, 0
	s_clause 0x1
	scratch_store_b32 off, v146, off offset:188
	scratch_store_b32 off, v131, off offset:192
	v_mov_b32_e32 v131, 0
	scratch_store_b32 off, v131, off offset:196 ; 4-byte Folded Spill
	s_and_saveexec_b32 s9, vcc_lo
	s_cbranch_execz .LBB166_160
; %bb.159:                              ;   in Loop: Header=BB166_145 Depth=1
	v_add_co_u32 v131, vcc_lo, v243, v127
	v_add_co_ci_u32_e32 v132, vcc_lo, v244, v128, vcc_lo
	v_add_co_u32 v146, vcc_lo, v245, v127
	v_add_co_ci_u32_e32 v147, vcc_lo, v246, v128, vcc_lo
	global_load_u16 v131, v[131:132], off
	global_load_u16 v132, v[146:147], off
	s_waitcnt vmcnt(1)
	v_cvt_f32_f16_e64 v131, v131
	scratch_store_b32 off, v131, off offset:192 ; 4-byte Folded Spill
	s_waitcnt vmcnt(0)
	v_cvt_f32_f16_e64 v131, v132
	scratch_store_b32 off, v131, off offset:196 ; 4-byte Folded Spill
.LBB166_160:                            ;   in Loop: Header=BB166_145 Depth=1
	s_or_b32 exec_lo, exec_lo, s9
	v_add_co_u32 v131, vcc_lo, v129, 6
	v_add_co_ci_u32_e32 v132, vcc_lo, 0, v130, vcc_lo
	s_delay_alu instid0(VALU_DEP_1)
	v_cmp_gt_i64_e32 vcc_lo, s[16:17], v[131:132]
	v_mov_b32_e32 v131, 0
	scratch_store_b32 off, v131, off offset:200 ; 4-byte Folded Spill
	s_and_saveexec_b32 s9, vcc_lo
	s_cbranch_execz .LBB166_162
; %bb.161:                              ;   in Loop: Header=BB166_145 Depth=1
	v_add_co_u32 v131, vcc_lo, v239, v127
	v_add_co_ci_u32_e32 v132, vcc_lo, v240, v128, vcc_lo
	v_add_co_u32 v146, vcc_lo, v241, v127
	v_add_co_ci_u32_e32 v147, vcc_lo, v242, v128, vcc_lo
	global_load_u16 v131, v[131:132], off
	global_load_u16 v132, v[146:147], off
	s_waitcnt vmcnt(1)
	v_cvt_f32_f16_e64 v131, v131
	scratch_store_b32 off, v131, off offset:188 ; 4-byte Folded Spill
	s_waitcnt vmcnt(0)
	v_cvt_f32_f16_e64 v131, v132
	scratch_store_b32 off, v131, off offset:200 ; 4-byte Folded Spill
.LBB166_162:                            ;   in Loop: Header=BB166_145 Depth=1
	s_or_b32 exec_lo, exec_lo, s9
	v_add_co_u32 v131, vcc_lo, v129, 7
	v_add_co_ci_u32_e32 v132, vcc_lo, 0, v130, vcc_lo
	v_mov_b32_e32 v146, 0
	s_delay_alu instid0(VALU_DEP_2)
	v_cmp_gt_i64_e32 vcc_lo, s[16:17], v[131:132]
	v_mov_b32_e32 v131, 0
	s_clause 0x1
	scratch_store_b32 off, v146, off offset:204
	scratch_store_b32 off, v131, off offset:208
	v_mov_b32_e32 v131, 0
	scratch_store_b32 off, v131, off offset:212 ; 4-byte Folded Spill
	s_and_saveexec_b32 s9, vcc_lo
	s_cbranch_execz .LBB166_164
; %bb.163:                              ;   in Loop: Header=BB166_145 Depth=1
	v_add_co_u32 v131, vcc_lo, v235, v127
	v_add_co_ci_u32_e32 v132, vcc_lo, v236, v128, vcc_lo
	v_add_co_u32 v146, vcc_lo, v237, v127
	v_add_co_ci_u32_e32 v147, vcc_lo, v238, v128, vcc_lo
	global_load_u16 v131, v[131:132], off
	global_load_u16 v132, v[146:147], off
	s_waitcnt vmcnt(1)
	v_cvt_f32_f16_e64 v131, v131
	scratch_store_b32 off, v131, off offset:208 ; 4-byte Folded Spill
	s_waitcnt vmcnt(0)
	v_cvt_f32_f16_e64 v131, v132
	scratch_store_b32 off, v131, off offset:212 ; 4-byte Folded Spill
.LBB166_164:                            ;   in Loop: Header=BB166_145 Depth=1
	s_or_b32 exec_lo, exec_lo, s9
	v_add_co_u32 v131, vcc_lo, v129, 8
	v_add_co_ci_u32_e32 v132, vcc_lo, 0, v130, vcc_lo
	s_delay_alu instid0(VALU_DEP_1)
	v_cmp_gt_i64_e32 vcc_lo, s[16:17], v[131:132]
	v_mov_b32_e32 v131, 0
	scratch_store_b32 off, v131, off offset:216 ; 4-byte Folded Spill
	s_and_saveexec_b32 s9, vcc_lo
	s_cbranch_execz .LBB166_166
; %bb.165:                              ;   in Loop: Header=BB166_145 Depth=1
	v_add_co_u32 v131, vcc_lo, v231, v127
	v_add_co_ci_u32_e32 v132, vcc_lo, v232, v128, vcc_lo
	v_add_co_u32 v146, vcc_lo, v233, v127
	v_add_co_ci_u32_e32 v147, vcc_lo, v234, v128, vcc_lo
	global_load_u16 v131, v[131:132], off
	global_load_u16 v132, v[146:147], off
	s_waitcnt vmcnt(1)
	v_cvt_f32_f16_e64 v131, v131
	scratch_store_b32 off, v131, off offset:204 ; 4-byte Folded Spill
	s_waitcnt vmcnt(0)
	v_cvt_f32_f16_e64 v131, v132
	scratch_store_b32 off, v131, off offset:216 ; 4-byte Folded Spill
.LBB166_166:                            ;   in Loop: Header=BB166_145 Depth=1
	;; [unrolled: 51-line block ×6, first 2 shown]
	s_or_b32 exec_lo, exec_lo, s9
	v_add_co_u32 v146, vcc_lo, v129, 17
	v_add_co_ci_u32_e32 v147, vcc_lo, 0, v130, vcc_lo
	v_mov_b32_e32 v252, 0
	s_delay_alu instid0(VALU_DEP_2)
	v_cmp_gt_i64_e32 vcc_lo, s[16:17], v[146:147]
	v_dual_mov_b32 v147, 0 :: v_dual_mov_b32 v146, 0
	s_and_saveexec_b32 s9, vcc_lo
	s_cbranch_execz .LBB166_184
; %bb.183:                              ;   in Loop: Header=BB166_145 Depth=1
	v_add_co_u32 v146, vcc_lo, v195, v127
	v_add_co_ci_u32_e32 v147, vcc_lo, v196, v128, vcc_lo
	v_add_co_u32 v148, vcc_lo, v197, v127
	v_add_co_ci_u32_e32 v149, vcc_lo, v198, v128, vcc_lo
	global_load_u16 v132, v[146:147], off
	global_load_u16 v147, v[148:149], off
	s_waitcnt vmcnt(1)
	v_cvt_f32_f16_e64 v146, v132
	s_waitcnt vmcnt(0)
	v_cvt_f32_f16_e64 v147, v147
.LBB166_184:                            ;   in Loop: Header=BB166_145 Depth=1
	s_or_b32 exec_lo, exec_lo, s9
	v_add_co_u32 v148, vcc_lo, v129, 18
	v_add_co_ci_u32_e32 v149, vcc_lo, 0, v130, vcc_lo
	s_delay_alu instid0(VALU_DEP_1)
	v_cmp_gt_i64_e32 vcc_lo, s[16:17], v[148:149]
	v_mov_b32_e32 v148, 0
	s_and_saveexec_b32 s9, vcc_lo
	s_cbranch_execz .LBB166_186
; %bb.185:                              ;   in Loop: Header=BB166_145 Depth=1
	v_add_co_u32 v131, vcc_lo, v191, v127
	v_add_co_ci_u32_e32 v132, vcc_lo, v192, v128, vcc_lo
	v_add_co_u32 v148, vcc_lo, v193, v127
	v_add_co_ci_u32_e32 v149, vcc_lo, v194, v128, vcc_lo
	global_load_u16 v131, v[131:132], off
	global_load_u16 v132, v[148:149], off
	s_waitcnt vmcnt(1)
	v_cvt_f32_f16_e64 v252, v131
	s_waitcnt vmcnt(0)
	v_cvt_f32_f16_e64 v148, v132
.LBB166_186:                            ;   in Loop: Header=BB166_145 Depth=1
	s_or_b32 exec_lo, exec_lo, s9
	v_add_co_u32 v150, vcc_lo, v129, 19
	v_add_co_ci_u32_e32 v151, vcc_lo, 0, v130, vcc_lo
	v_dual_mov_b32 v149, 0 :: v_dual_mov_b32 v132, 0
	s_delay_alu instid0(VALU_DEP_2)
	v_cmp_gt_i64_e32 vcc_lo, s[16:17], v[150:151]
	v_mov_b32_e32 v150, 0
	s_and_saveexec_b32 s9, vcc_lo
	s_cbranch_execz .LBB166_188
; %bb.187:                              ;   in Loop: Header=BB166_145 Depth=1
	v_add_co_u32 v150, vcc_lo, v187, v127
	v_add_co_ci_u32_e32 v151, vcc_lo, v188, v128, vcc_lo
	v_add_co_u32 v152, vcc_lo, v189, v127
	v_add_co_ci_u32_e32 v153, vcc_lo, v190, v128, vcc_lo
	global_load_u16 v132, v[150:151], off
	global_load_u16 v150, v[152:153], off
	s_waitcnt vmcnt(1)
	v_cvt_f32_f16_e64 v132, v132
	s_waitcnt vmcnt(0)
	v_cvt_f32_f16_e64 v150, v150
.LBB166_188:                            ;   in Loop: Header=BB166_145 Depth=1
	s_or_b32 exec_lo, exec_lo, s9
	v_add_co_u32 v151, vcc_lo, v129, 20
	v_add_co_ci_u32_e32 v152, vcc_lo, 0, v130, vcc_lo
	s_delay_alu instid0(VALU_DEP_1)
	v_cmp_gt_i64_e32 vcc_lo, s[16:17], v[151:152]
	v_mov_b32_e32 v151, 0
	s_and_saveexec_b32 s9, vcc_lo
	s_cbranch_execz .LBB166_190
; %bb.189:                              ;   in Loop: Header=BB166_145 Depth=1
	v_add_co_u32 v151, vcc_lo, v183, v127
	v_add_co_ci_u32_e32 v152, vcc_lo, v184, v128, vcc_lo
	v_add_co_u32 v153, vcc_lo, v185, v127
	v_add_co_ci_u32_e32 v154, vcc_lo, v186, v128, vcc_lo
	global_load_u16 v149, v[151:152], off
	global_load_u16 v151, v[153:154], off
	s_waitcnt vmcnt(1)
	v_cvt_f32_f16_e64 v149, v149
	s_waitcnt vmcnt(0)
	v_cvt_f32_f16_e64 v151, v151
.LBB166_190:                            ;   in Loop: Header=BB166_145 Depth=1
	s_or_b32 exec_lo, exec_lo, s9
	v_add_co_u32 v153, vcc_lo, v129, 21
	v_add_co_ci_u32_e32 v154, vcc_lo, 0, v130, vcc_lo
	v_mov_b32_e32 v152, 0
	s_delay_alu instid0(VALU_DEP_2)
	v_cmp_gt_i64_e32 vcc_lo, s[16:17], v[153:154]
	v_dual_mov_b32 v153, 0 :: v_dual_mov_b32 v154, 0
	s_and_saveexec_b32 s9, vcc_lo
	s_cbranch_execz .LBB166_192
; %bb.191:                              ;   in Loop: Header=BB166_145 Depth=1
	scratch_load_b32 v153, off, off offset:164 ; 4-byte Folded Reload
	s_waitcnt vmcnt(0)
	v_add_co_u32 v153, vcc_lo, v153, v127
	v_add_co_ci_u32_e32 v154, vcc_lo, v180, v128, vcc_lo
	v_add_co_u32 v155, vcc_lo, v181, v127
	v_add_co_ci_u32_e32 v156, vcc_lo, v182, v128, vcc_lo
	global_load_u16 v153, v[153:154], off
	global_load_u16 v154, v[155:156], off
	s_waitcnt vmcnt(1)
	v_cvt_f32_f16_e64 v153, v153
	s_waitcnt vmcnt(0)
	v_cvt_f32_f16_e64 v154, v154
.LBB166_192:                            ;   in Loop: Header=BB166_145 Depth=1
	s_or_b32 exec_lo, exec_lo, s9
	v_add_co_u32 v155, vcc_lo, v129, 22
	v_add_co_ci_u32_e32 v156, vcc_lo, 0, v130, vcc_lo
	s_delay_alu instid0(VALU_DEP_1)
	v_cmp_gt_i64_e32 vcc_lo, s[16:17], v[155:156]
	v_mov_b32_e32 v155, 0
	s_and_saveexec_b32 s9, vcc_lo
	s_cbranch_execz .LBB166_194
; %bb.193:                              ;   in Loop: Header=BB166_145 Depth=1
	scratch_load_b32 v152, off, off offset:148 ; 4-byte Folded Reload
	s_waitcnt vmcnt(0)
	v_add_co_u32 v155, vcc_lo, v152, v127
	scratch_load_b32 v152, off, off offset:152 ; 4-byte Folded Reload
	s_waitcnt vmcnt(0)
	v_add_co_ci_u32_e32 v156, vcc_lo, v152, v128, vcc_lo
	scratch_load_b32 v152, off, off offset:156 ; 4-byte Folded Reload
	s_waitcnt vmcnt(0)
	v_add_co_u32 v157, vcc_lo, v152, v127
	scratch_load_b32 v152, off, off offset:160 ; 4-byte Folded Reload
	s_waitcnt vmcnt(0)
	v_add_co_ci_u32_e32 v158, vcc_lo, v152, v128, vcc_lo
	global_load_u16 v152, v[155:156], off
	global_load_u16 v155, v[157:158], off
	s_waitcnt vmcnt(1)
	v_cvt_f32_f16_e64 v152, v152
	s_waitcnt vmcnt(0)
	v_cvt_f32_f16_e64 v155, v155
.LBB166_194:                            ;   in Loop: Header=BB166_145 Depth=1
	s_or_b32 exec_lo, exec_lo, s9
	v_add_co_u32 v157, vcc_lo, v129, 23
	v_add_co_ci_u32_e32 v158, vcc_lo, 0, v130, vcc_lo
	v_mov_b32_e32 v156, 0
	s_delay_alu instid0(VALU_DEP_2)
	v_cmp_gt_i64_e32 vcc_lo, s[16:17], v[157:158]
	v_dual_mov_b32 v157, 0 :: v_dual_mov_b32 v158, 0
	s_and_saveexec_b32 s9, vcc_lo
	s_cbranch_execz .LBB166_196
; %bb.195:                              ;   in Loop: Header=BB166_145 Depth=1
	s_clause 0x3
	scratch_load_b32 v157, off, off offset:132
	scratch_load_b32 v158, off, off offset:136
	scratch_load_b32 v159, off, off offset:140
	scratch_load_b32 v160, off, off offset:144
	s_waitcnt vmcnt(3)
	v_add_co_u32 v157, vcc_lo, v157, v127
	s_waitcnt vmcnt(2)
	v_add_co_ci_u32_e32 v158, vcc_lo, v158, v128, vcc_lo
	s_waitcnt vmcnt(1)
	v_add_co_u32 v159, vcc_lo, v159, v127
	s_waitcnt vmcnt(0)
	v_add_co_ci_u32_e32 v160, vcc_lo, v160, v128, vcc_lo
	global_load_u16 v157, v[157:158], off
	global_load_u16 v158, v[159:160], off
	s_waitcnt vmcnt(1)
	v_cvt_f32_f16_e64 v157, v157
	s_waitcnt vmcnt(0)
	v_cvt_f32_f16_e64 v158, v158
.LBB166_196:                            ;   in Loop: Header=BB166_145 Depth=1
	s_or_b32 exec_lo, exec_lo, s9
	v_add_co_u32 v159, vcc_lo, v129, 24
	v_add_co_ci_u32_e32 v160, vcc_lo, 0, v130, vcc_lo
	s_delay_alu instid0(VALU_DEP_1)
	v_cmp_gt_i64_e32 vcc_lo, s[16:17], v[159:160]
	v_mov_b32_e32 v159, 0
	s_and_saveexec_b32 s9, vcc_lo
	s_cbranch_execz .LBB166_198
; %bb.197:                              ;   in Loop: Header=BB166_145 Depth=1
	scratch_load_b32 v156, off, off offset:116 ; 4-byte Folded Reload
	s_waitcnt vmcnt(0)
	v_add_co_u32 v159, vcc_lo, v156, v127
	scratch_load_b32 v156, off, off offset:120 ; 4-byte Folded Reload
	s_waitcnt vmcnt(0)
	v_add_co_ci_u32_e32 v160, vcc_lo, v156, v128, vcc_lo
	scratch_load_b32 v156, off, off offset:124 ; 4-byte Folded Reload
	s_waitcnt vmcnt(0)
	v_add_co_u32 v161, vcc_lo, v156, v127
	scratch_load_b32 v156, off, off offset:128 ; 4-byte Folded Reload
	s_waitcnt vmcnt(0)
	v_add_co_ci_u32_e32 v162, vcc_lo, v156, v128, vcc_lo
	global_load_u16 v156, v[159:160], off
	global_load_u16 v159, v[161:162], off
	s_waitcnt vmcnt(1)
	v_cvt_f32_f16_e64 v156, v156
	s_waitcnt vmcnt(0)
	v_cvt_f32_f16_e64 v159, v159
.LBB166_198:                            ;   in Loop: Header=BB166_145 Depth=1
	s_or_b32 exec_lo, exec_lo, s9
	v_add_co_u32 v161, vcc_lo, v129, 25
	v_add_co_ci_u32_e32 v162, vcc_lo, 0, v130, vcc_lo
	v_mov_b32_e32 v160, 0
	s_delay_alu instid0(VALU_DEP_2)
	v_cmp_gt_i64_e32 vcc_lo, s[16:17], v[161:162]
	v_dual_mov_b32 v161, 0 :: v_dual_mov_b32 v162, 0
	s_and_saveexec_b32 s9, vcc_lo
	s_cbranch_execz .LBB166_200
; %bb.199:                              ;   in Loop: Header=BB166_145 Depth=1
	s_clause 0x3
	scratch_load_b32 v161, off, off offset:100
	scratch_load_b32 v162, off, off offset:104
	scratch_load_b32 v163, off, off offset:108
	scratch_load_b32 v164, off, off offset:112
	s_waitcnt vmcnt(3)
	v_add_co_u32 v161, vcc_lo, v161, v127
	s_waitcnt vmcnt(2)
	v_add_co_ci_u32_e32 v162, vcc_lo, v162, v128, vcc_lo
	s_waitcnt vmcnt(1)
	v_add_co_u32 v163, vcc_lo, v163, v127
	s_waitcnt vmcnt(0)
	v_add_co_ci_u32_e32 v164, vcc_lo, v164, v128, vcc_lo
	global_load_u16 v161, v[161:162], off
	global_load_u16 v162, v[163:164], off
	s_waitcnt vmcnt(1)
	v_cvt_f32_f16_e64 v161, v161
	s_waitcnt vmcnt(0)
	v_cvt_f32_f16_e64 v162, v162
.LBB166_200:                            ;   in Loop: Header=BB166_145 Depth=1
	;; [unrolled: 58-line block ×4, first 2 shown]
	s_or_b32 exec_lo, exec_lo, s9
	v_add_co_u32 v171, vcc_lo, v129, 30
	v_add_co_ci_u32_e32 v172, vcc_lo, 0, v130, vcc_lo
	s_delay_alu instid0(VALU_DEP_1)
	v_cmp_gt_i64_e32 vcc_lo, s[16:17], v[171:172]
	v_mov_b32_e32 v171, 0
	s_and_saveexec_b32 s9, vcc_lo
	s_cbranch_execz .LBB166_210
; %bb.209:                              ;   in Loop: Header=BB166_145 Depth=1
	scratch_load_b32 v168, off, off offset:20 ; 4-byte Folded Reload
	s_waitcnt vmcnt(0)
	v_add_co_u32 v171, vcc_lo, v168, v127
	scratch_load_b32 v168, off, off offset:24 ; 4-byte Folded Reload
	s_waitcnt vmcnt(0)
	v_add_co_ci_u32_e32 v172, vcc_lo, v168, v128, vcc_lo
	scratch_load_b32 v168, off, off offset:28 ; 4-byte Folded Reload
	s_waitcnt vmcnt(0)
	v_add_co_u32 v173, vcc_lo, v168, v127
	scratch_load_b32 v168, off, off offset:32 ; 4-byte Folded Reload
	s_waitcnt vmcnt(0)
	v_add_co_ci_u32_e32 v174, vcc_lo, v168, v128, vcc_lo
	global_load_u16 v168, v[171:172], off
	global_load_u16 v171, v[173:174], off
	s_waitcnt vmcnt(1)
	v_cvt_f32_f16_e64 v168, v168
	s_waitcnt vmcnt(0)
	v_cvt_f32_f16_e64 v171, v171
.LBB166_210:                            ;   in Loop: Header=BB166_145 Depth=1
	s_or_b32 exec_lo, exec_lo, s9
	v_add_co_u32 v172, vcc_lo, v129, 31
	v_add_co_ci_u32_e32 v173, vcc_lo, 0, v130, vcc_lo
	s_delay_alu instid0(VALU_DEP_1)
	v_cmp_gt_i64_e32 vcc_lo, s[16:17], v[172:173]
	v_mov_b32_e32 v172, 0
	s_and_saveexec_b32 s9, vcc_lo
	s_cbranch_execz .LBB166_212
; %bb.211:                              ;   in Loop: Header=BB166_145 Depth=1
	s_clause 0x2
	scratch_load_b32 v172, off, off offset:4
	scratch_load_b32 v173, off, off offset:8
	;; [unrolled: 1-line block ×3, first 2 shown]
	v_mov_b32_e32 v131, v249
	v_dual_mov_b32 v249, v248 :: v_dual_mov_b32 v248, v247
	v_dual_mov_b32 v247, v246 :: v_dual_mov_b32 v246, v245
	;; [unrolled: 1-line block ×34, first 2 shown]
	v_mov_b32_e32 v181, v180
	v_mov_b32_e32 v180, v144
	v_dual_mov_b32 v144, v179 :: v_dual_mov_b32 v179, v178
	v_dual_mov_b32 v178, v177 :: v_dual_mov_b32 v177, v176
	v_mov_b32_e32 v176, v175
	scratch_load_b32 v175, off, off offset:16 ; 4-byte Folded Reload
	s_waitcnt vmcnt(3)
	v_add_co_u32 v172, vcc_lo, v172, v127
	s_waitcnt vmcnt(2)
	v_add_co_ci_u32_e32 v173, vcc_lo, v173, v128, vcc_lo
	s_waitcnt vmcnt(1)
	v_add_co_u32 v174, vcc_lo, v174, v127
	s_waitcnt vmcnt(0)
	v_add_co_ci_u32_e32 v175, vcc_lo, v175, v128, vcc_lo
	global_load_u16 v172, v[172:173], off
	global_load_u16 v173, v[174:175], off
	v_dual_mov_b32 v175, v176 :: v_dual_mov_b32 v176, v177
	v_dual_mov_b32 v177, v178 :: v_dual_mov_b32 v178, v179
	v_mov_b32_e32 v179, v144
	v_mov_b32_e32 v144, v180
	v_dual_mov_b32 v180, v181 :: v_dual_mov_b32 v181, v182
	v_dual_mov_b32 v182, v183 :: v_dual_mov_b32 v183, v184
	;; [unrolled: 1-line block ×35, first 2 shown]
	s_waitcnt vmcnt(1)
	v_cvt_f32_f16_e64 v172, v172
	s_waitcnt vmcnt(0)
	v_cvt_f32_f16_e64 v173, v173
	s_delay_alu instid0(VALU_DEP_1)
	v_mul_f32_e32 v172, v172, v173
.LBB166_212:                            ;   in Loop: Header=BB166_145 Depth=1
	s_or_b32 exec_lo, exec_lo, s9
	scratch_load_b32 v131, off, off offset:180 ; 4-byte Folded Reload
	v_dual_mul_f32 v173, v176, v177 :: v_dual_mul_f32 v174, v179, v144
	s_waitcnt vmcnt(1)
	ds_bpermute_b32 v144, v126, v125
	ds_bpermute_b32 v176, v126, v125 offset:60
	ds_bpermute_b32 v179, v126, v125 offset:72
	v_mul_f32_e32 v146, v146, v147
	ds_bpermute_b32 v147, v126, v125 offset:80
	v_mul_f32_e32 v132, v132, v150
	ds_bpermute_b32 v150, v126, v125 offset:96
	s_waitcnt lgkmcnt(4)
	v_fma_f32 v144, v173, v144, v145
	ds_bpermute_b32 v173, v126, v125 offset:4
	s_waitcnt lgkmcnt(0)
	v_fmac_f32_e32 v144, v174, v173
	ds_bpermute_b32 v174, v126, v125 offset:8
	v_mul_f32_e32 v173, v178, v175
	ds_bpermute_b32 v178, v126, v125 offset:64
	s_waitcnt lgkmcnt(1)
	v_fmac_f32_e32 v144, v173, v174
	ds_bpermute_b32 v174, v126, v125 offset:12
	s_waitcnt vmcnt(0)
	v_mul_f32_e32 v173, v251, v131
	scratch_load_b32 v131, off, off offset:184 ; 4-byte Folded Reload
	s_waitcnt lgkmcnt(0)
	v_fmac_f32_e32 v144, v173, v174
	ds_bpermute_b32 v174, v126, v125 offset:16
	s_waitcnt vmcnt(0)
	v_mul_f32_e32 v173, v250, v131
	s_waitcnt lgkmcnt(0)
	s_delay_alu instid0(VALU_DEP_1)
	v_fmac_f32_e32 v144, v173, v174
	s_clause 0x1
	scratch_load_b32 v131, off, off offset:192
	scratch_load_b32 v173, off, off offset:196
	ds_bpermute_b32 v174, v126, v125 offset:20
	s_waitcnt vmcnt(0)
	v_mul_f32_e32 v173, v131, v173
	s_waitcnt lgkmcnt(0)
	s_delay_alu instid0(VALU_DEP_1)
	v_fmac_f32_e32 v144, v173, v174
	s_clause 0x1
	scratch_load_b32 v131, off, off offset:188
	scratch_load_b32 v173, off, off offset:200
	;; [unrolled: 9-line block ×8, first 2 shown]
	ds_bpermute_b32 v174, v126, v125 offset:48
	s_waitcnt vmcnt(0)
	v_mul_f32_e32 v173, v131, v173
	s_clause 0x1
	scratch_load_b32 v131, off, off offset:256
	scratch_load_b32 v175, off, off offset:260
	s_waitcnt vmcnt(0)
	v_mul_f32_e32 v175, v131, v175
	s_clause 0x1
	scratch_load_b32 v131, off, off offset:252
	scratch_load_b32 v177, off, off offset:264
	s_waitcnt lgkmcnt(0)
	v_fmac_f32_e32 v144, v173, v174
	ds_bpermute_b32 v173, v126, v125 offset:52
	ds_bpermute_b32 v174, v126, v125 offset:56
	s_waitcnt vmcnt(0)
	v_mul_f32_e32 v177, v131, v177
	s_waitcnt lgkmcnt(1)
	v_fmac_f32_e32 v144, v175, v173
	s_clause 0x1
	scratch_load_b32 v131, off, off offset:272
	scratch_load_b32 v175, off, off offset:276
	ds_bpermute_b32 v173, v126, v125 offset:68
	s_waitcnt lgkmcnt(1)
	v_fmac_f32_e32 v144, v177, v174
	ds_bpermute_b32 v177, v126, v125 offset:76
	s_waitcnt vmcnt(0)
	v_mul_f32_e32 v175, v131, v175
	s_clause 0x1
	scratch_load_b32 v131, off, off offset:268
	scratch_load_b32 v174, off, off offset:280
	v_fmac_f32_e32 v144, v175, v176
	s_waitcnt vmcnt(0)
	v_dual_mul_f32 v174, v131, v174 :: v_dual_mul_f32 v131, v252, v148
	ds_bpermute_b32 v148, v126, v125 offset:84
	v_fmac_f32_e32 v144, v174, v178
	s_waitcnt lgkmcnt(2)
	s_delay_alu instid0(VALU_DEP_1)
	v_fmac_f32_e32 v144, v146, v173
	ds_bpermute_b32 v146, v126, v125 offset:88
	v_fmac_f32_e32 v144, v131, v179
	v_mul_f32_e32 v131, v149, v151
	ds_bpermute_b32 v149, v126, v125 offset:92
	s_waitcnt lgkmcnt(3)
	v_fmac_f32_e32 v144, v132, v177
	v_mul_f32_e32 v132, v153, v154
	s_delay_alu instid0(VALU_DEP_2)
	v_fmac_f32_e32 v144, v131, v147
	v_mul_f32_e32 v131, v152, v155
	ds_bpermute_b32 v147, v126, v125 offset:100
	s_waitcnt lgkmcnt(3)
	v_fmac_f32_e32 v144, v132, v148
	v_mul_f32_e32 v132, v157, v158
	ds_bpermute_b32 v148, v126, v125 offset:104
	s_waitcnt lgkmcnt(3)
	v_dual_fmac_f32 v144, v131, v146 :: v_dual_mul_f32 v131, v156, v159
	ds_bpermute_b32 v146, v126, v125 offset:108
	s_waitcnt lgkmcnt(3)
	v_fmac_f32_e32 v144, v132, v149
	v_mul_f32_e32 v132, v161, v162
	ds_bpermute_b32 v149, v126, v125 offset:112
	v_dual_fmac_f32 v144, v131, v150 :: v_dual_mul_f32 v131, v160, v163
	ds_bpermute_b32 v150, v126, v125 offset:116
	s_waitcnt lgkmcnt(4)
	v_fmac_f32_e32 v144, v132, v147
	v_dual_mul_f32 v147, v164, v167 :: v_dual_mul_f32 v132, v165, v166
	s_waitcnt lgkmcnt(3)
	s_delay_alu instid0(VALU_DEP_2)
	v_fmac_f32_e32 v144, v131, v148
	ds_bpermute_b32 v131, v126, v125 offset:120
	ds_bpermute_b32 v125, v126, v125 offset:124
	s_waitcnt lgkmcnt(4)
	v_fmac_f32_e32 v144, v132, v146
	v_mul_f32_e32 v132, v169, v170
	s_waitcnt lgkmcnt(3)
	s_delay_alu instid0(VALU_DEP_2) | instskip(SKIP_1) | instid1(VALU_DEP_1)
	v_fmac_f32_e32 v144, v147, v149
	s_waitcnt lgkmcnt(2)
	v_fmac_f32_e32 v144, v132, v150
	v_mul_f32_e32 v132, v168, v171
	s_waitcnt lgkmcnt(1)
	s_delay_alu instid0(VALU_DEP_1) | instskip(SKIP_1) | instid1(VALU_DEP_1)
	v_fmac_f32_e32 v144, v132, v131
	s_waitcnt lgkmcnt(0)
	v_fmac_f32_e32 v144, v172, v125
	s_branch .LBB166_217
.LBB166_213:                            ;   in Loop: Header=BB166_145 Depth=1
                                        ; implicit-def: $vgpr144
	s_cbranch_execz .LBB166_217
; %bb.214:                              ;   in Loop: Header=BB166_145 Depth=1
	s_load_b32 s9, s[10:11], 0x0
	s_waitcnt lgkmcnt(0)
	s_cmp_lt_u32 s14, s9
	s_cselect_b32 s9, 12, 18
	s_delay_alu instid0(SALU_CYCLE_1)
	s_add_u32 s24, s10, s9
	s_addc_u32 s25, s11, 0
	s_mov_b32 s9, exec_lo
	global_load_u16 v125, v126, s[24:25]
	s_clause 0x1
	scratch_load_b32 v131, off, off offset:284
	scratch_load_b32 v132, off, off offset:288
	s_waitcnt vmcnt(0)
	v_mad_u32_u24 v125, v131, v125, v132
	s_delay_alu instid0(VALU_DEP_1) | instskip(NEXT) | instid1(VALU_DEP_1)
	v_and_b32_e32 v125, 31, v125
	v_add_co_u32 v129, vcc_lo, v129, v125
	v_add_co_ci_u32_e32 v130, vcc_lo, 0, v130, vcc_lo
	v_mov_b32_e32 v125, 0
	s_delay_alu instid0(VALU_DEP_2)
	v_cmpx_gt_i64_e64 s[16:17], v[129:130]
	s_cbranch_execz .LBB166_216
; %bb.215:                              ;   in Loop: Header=BB166_145 Depth=1
	v_lshlrev_b64 v[129:130], 2, v[129:130]
	s_delay_alu instid0(VALU_DEP_1) | instskip(NEXT) | instid1(VALU_DEP_2)
	v_add_co_u32 v129, vcc_lo, s6, v129
	v_add_co_ci_u32_e32 v130, vcc_lo, s7, v130, vcc_lo
	global_load_b32 v125, v[129:130], off
.LBB166_216:                            ;   in Loop: Header=BB166_145 Depth=1
	s_or_b32 exec_lo, exec_lo, s9
	v_add_co_u32 v129, vcc_lo, v135, v127
	v_add_co_ci_u32_e32 v130, vcc_lo, v136, v128, vcc_lo
	global_load_u16 v131, v[129:130], off
	v_add_co_u32 v129, vcc_lo, v137, v127
	v_add_co_ci_u32_e32 v130, vcc_lo, v138, v128, vcc_lo
	global_load_u16 v129, v[129:130], off
	s_waitcnt vmcnt(1)
	v_cvt_f32_f16_e64 v130, v131
	s_waitcnt vmcnt(0)
	v_cvt_f32_f16_e64 v129, v129
	s_delay_alu instid0(VALU_DEP_1)
	v_mul_f32_e32 v129, v130, v129
	ds_bpermute_b32 v130, v126, v125
	s_waitcnt lgkmcnt(0)
	v_fmac_f32_e32 v145, v129, v130
	v_add_co_u32 v129, vcc_lo, v1, v127
	v_add_co_ci_u32_e32 v130, vcc_lo, v2, v128, vcc_lo
	global_load_u16 v131, v[129:130], off
	v_add_co_u32 v129, vcc_lo, v9, v127
	v_add_co_ci_u32_e32 v130, vcc_lo, v10, v128, vcc_lo
	global_load_u16 v129, v[129:130], off
	s_waitcnt vmcnt(1)
	v_cvt_f32_f16_e64 v130, v131
	s_waitcnt vmcnt(0)
	v_cvt_f32_f16_e64 v129, v129
	s_delay_alu instid0(VALU_DEP_1)
	v_mul_f32_e32 v129, v130, v129
	ds_bpermute_b32 v130, v126, v125 offset:4
	s_waitcnt lgkmcnt(0)
	v_fmac_f32_e32 v145, v129, v130
	v_add_co_u32 v129, vcc_lo, v3, v127
	v_add_co_ci_u32_e32 v130, vcc_lo, v4, v128, vcc_lo
	global_load_u16 v131, v[129:130], off
	v_add_co_u32 v129, vcc_lo, v13, v127
	v_add_co_ci_u32_e32 v130, vcc_lo, v14, v128, vcc_lo
	global_load_u16 v129, v[129:130], off
	s_waitcnt vmcnt(1)
	v_cvt_f32_f16_e64 v130, v131
	s_waitcnt vmcnt(0)
	v_cvt_f32_f16_e64 v129, v129
	s_delay_alu instid0(VALU_DEP_1)
	v_mul_f32_e32 v129, v130, v129
	ds_bpermute_b32 v130, v126, v125 offset:8
	;; [unrolled: 15-line block ×30, first 2 shown]
	ds_bpermute_b32 v125, v126, v125 offset:124
	s_waitcnt lgkmcnt(1)
	v_fmac_f32_e32 v145, v129, v130
	v_add_co_u32 v129, vcc_lo, v121, v127
	v_add_co_ci_u32_e32 v130, vcc_lo, v122, v128, vcc_lo
	global_load_u16 v131, v[129:130], off
	v_add_co_u32 v129, vcc_lo, v123, v127
	v_add_co_ci_u32_e32 v130, vcc_lo, v124, v128, vcc_lo
	global_load_u16 v129, v[129:130], off
	s_waitcnt vmcnt(1)
	v_cvt_f32_f16_e64 v130, v131
	s_waitcnt vmcnt(0)
	v_cvt_f32_f16_e64 v129, v129
	s_delay_alu instid0(VALU_DEP_1) | instskip(SKIP_1) | instid1(VALU_DEP_1)
	v_mul_f32_e32 v129, v130, v129
	s_waitcnt lgkmcnt(0)
	v_fmac_f32_e32 v145, v129, v125
	s_delay_alu instid0(VALU_DEP_1)
	v_mov_b32_e32 v144, v145
.LBB166_217:                            ;   in Loop: Header=BB166_145 Depth=1
	scratch_load_b32 v125, off, off         ; 4-byte Folded Reload
	v_add_co_u32 v1, vcc_lo, v1, s12
	v_add_co_ci_u32_e32 v2, vcc_lo, s13, v2, vcc_lo
	v_add_co_u32 v3, vcc_lo, v3, s12
	v_add_co_ci_u32_e32 v4, vcc_lo, s13, v4, vcc_lo
	;; [unrolled: 2-line block ×64, first 2 shown]
	s_add_u32 s22, s22, s3
	s_addc_u32 s23, s23, 0
	s_add_u32 s20, s20, s3
	v_cmp_ge_i64_e64 s9, s[22:23], s[16:17]
	s_addc_u32 s21, s21, 0
	s_waitcnt vmcnt(0)
	v_add_co_u32 v125, vcc_lo, v125, s3
	v_add_co_ci_u32_e32 v143, vcc_lo, 0, v143, vcc_lo
	scratch_store_b32 off, v125, off        ; 4-byte Folded Spill
	scratch_load_b32 v125, off, off offset:4 ; 4-byte Folded Reload
	s_waitcnt vmcnt(0)
	v_add_co_u32 v125, vcc_lo, v125, s12
	scratch_store_b32 off, v125, off offset:4 ; 4-byte Folded Spill
	scratch_load_b32 v125, off, off offset:8 ; 4-byte Folded Reload
	s_waitcnt vmcnt(0)
	v_add_co_ci_u32_e32 v125, vcc_lo, s13, v125, vcc_lo
	scratch_store_b32 off, v125, off offset:8 ; 4-byte Folded Spill
	scratch_load_b32 v125, off, off offset:12 ; 4-byte Folded Reload
	s_waitcnt vmcnt(0)
	v_add_co_u32 v125, vcc_lo, v125, s12
	scratch_store_b32 off, v125, off offset:12 ; 4-byte Folded Spill
	scratch_load_b32 v125, off, off offset:16 ; 4-byte Folded Reload
	s_waitcnt vmcnt(0)
	v_add_co_ci_u32_e32 v125, vcc_lo, s13, v125, vcc_lo
	scratch_store_b32 off, v125, off offset:16 ; 4-byte Folded Spill
	;; [unrolled: 8-line block ×20, first 2 shown]
	scratch_load_b32 v125, off, off offset:164 ; 4-byte Folded Reload
	s_waitcnt vmcnt(0)
	v_add_co_u32 v125, vcc_lo, v125, s12
	v_add_co_ci_u32_e32 v180, vcc_lo, s13, v180, vcc_lo
	v_add_co_u32 v181, vcc_lo, v181, s12
	scratch_store_b32 off, v125, off offset:164 ; 4-byte Folded Spill
	scratch_load_b32 v125, off, off offset:168 ; 4-byte Folded Reload
	v_add_co_ci_u32_e32 v182, vcc_lo, s13, v182, vcc_lo
	v_add_co_u32 v183, vcc_lo, v183, s12
	v_add_co_ci_u32_e32 v184, vcc_lo, s13, v184, vcc_lo
	v_add_co_u32 v185, vcc_lo, v185, s12
	;; [unrolled: 2-line block ×34, first 2 shown]
	s_waitcnt vmcnt(0)
	v_add_co_ci_u32_e32 v125, vcc_lo, s13, v125, vcc_lo
	scratch_store_b32 off, v125, off offset:168 ; 4-byte Folded Spill
	scratch_load_b32 v125, off, off offset:172 ; 4-byte Folded Reload
	s_waitcnt vmcnt(0)
	v_add_co_u32 v125, vcc_lo, v125, s12
	scratch_store_b32 off, v125, off offset:172 ; 4-byte Folded Spill
	scratch_load_b32 v125, off, off offset:176 ; 4-byte Folded Reload
	s_waitcnt vmcnt(0)
	v_add_co_ci_u32_e32 v125, vcc_lo, s13, v125, vcc_lo
	v_add_co_u32 v253, vcc_lo, v253, s12
	v_add_co_ci_u32_e32 v254, vcc_lo, s13, v254, vcc_lo
	v_add_co_u32 v255, vcc_lo, v255, s12
	;; [unrolled: 2-line block ×5, first 2 shown]
	v_add_co_ci_u32_e32 v142, vcc_lo, s13, v142, vcc_lo
	s_and_b32 vcc_lo, exec_lo, s9
	scratch_store_b32 off, v125, off offset:176 ; 4-byte Folded Spill
	s_cbranch_vccnz .LBB166_219
; %bb.218:                              ;   in Loop: Header=BB166_145 Depth=1
	v_mov_b32_e32 v145, v144
	s_branch .LBB166_145
.LBB166_219:
	scratch_load_b32 v207, off, off offset:292 ; 4-byte Folded Reload
.LBB166_220:
	s_waitcnt vmcnt(0)
	v_and_b32_e32 v0, 0x3ff, v207
	s_mov_b32 s15, 0
	s_delay_alu instid0(SALU_CYCLE_1)
	s_lshl_b64 s[6:7], s[14:15], 6
	s_waitcnt lgkmcnt(0)
	s_cmp_lg_u64 s[4:5], 0
	v_or_b32_e32 v1, s6, v0
	v_mov_b32_e32 v2, s7
	s_cselect_b32 s3, -1, 0
	s_delay_alu instid0(VALU_DEP_1) | instskip(SKIP_1) | instid1(SALU_CYCLE_1)
	v_cmp_gt_i64_e32 vcc_lo, s[18:19], v[1:2]
	s_and_b32 s3, vcc_lo, s3
	s_and_saveexec_b32 s6, s3
	s_cbranch_execz .LBB166_222
; %bb.221:
	s_load_b32 s0, s[0:1], 0x4c
	v_bfe_u32 v3, v207, 10, 10
	v_mov_b32_e32 v4, 0
	s_waitcnt lgkmcnt(0)
	s_lshr_b32 s0, s0, 16
	s_delay_alu instid0(VALU_DEP_1) | instid1(SALU_CYCLE_1)
	v_mad_u64_u32 v[5:6], null, s0, s2, v[3:4]
	s_delay_alu instid0(VALU_DEP_1) | instskip(NEXT) | instid1(VALU_DEP_2)
	v_mul_lo_u32 v0, v6, s18
	v_mul_lo_u32 v6, v5, s19
	v_mad_u64_u32 v[3:4], null, v5, s18, 0
	s_delay_alu instid0(VALU_DEP_1) | instskip(SKIP_1) | instid1(VALU_DEP_2)
	v_add3_u32 v4, v4, v6, v0
	v_lshlrev_b64 v[0:1], 1, v[1:2]
	v_lshlrev_b64 v[3:4], 1, v[3:4]
	s_delay_alu instid0(VALU_DEP_1) | instskip(NEXT) | instid1(VALU_DEP_2)
	v_add_co_u32 v2, vcc_lo, s4, v3
	v_add_co_ci_u32_e32 v3, vcc_lo, s5, v4, vcc_lo
	v_cvt_f16_f32_e64 v4, v144
	s_delay_alu instid0(VALU_DEP_3) | instskip(NEXT) | instid1(VALU_DEP_3)
	v_add_co_u32 v0, vcc_lo, v2, v0
	v_add_co_ci_u32_e32 v1, vcc_lo, v3, v1, vcc_lo
	global_store_b16 v[0:1], v4, off
.LBB166_222:
	s_endpgm
	.section	.rodata,"a",@progbits
	.p2align	6, 0x0
	.amdhsa_kernel _ZN2at6native12_GLOBAL__N_135GammaBetaBackwardCUDAKernelTemplateIN3c104HalfEfLj64ELj1ELj32ELb1ELb0ELb1EEEvllPKT_S7_PKT0_SA_PS5_SB_
		.amdhsa_group_segment_fixed_size 0
		.amdhsa_private_segment_fixed_size 300
		.amdhsa_kernarg_size 320
		.amdhsa_user_sgpr_count 14
		.amdhsa_user_sgpr_dispatch_ptr 0
		.amdhsa_user_sgpr_queue_ptr 0
		.amdhsa_user_sgpr_kernarg_segment_ptr 1
		.amdhsa_user_sgpr_dispatch_id 0
		.amdhsa_user_sgpr_private_segment_size 0
		.amdhsa_wavefront_size32 1
		.amdhsa_uses_dynamic_stack 0
		.amdhsa_enable_private_segment 1
		.amdhsa_system_sgpr_workgroup_id_x 1
		.amdhsa_system_sgpr_workgroup_id_y 1
		.amdhsa_system_sgpr_workgroup_id_z 0
		.amdhsa_system_sgpr_workgroup_info 0
		.amdhsa_system_vgpr_workitem_id 1
		.amdhsa_next_free_vgpr 256
		.amdhsa_next_free_sgpr 30
		.amdhsa_reserve_vcc 1
		.amdhsa_float_round_mode_32 0
		.amdhsa_float_round_mode_16_64 0
		.amdhsa_float_denorm_mode_32 3
		.amdhsa_float_denorm_mode_16_64 3
		.amdhsa_dx10_clamp 1
		.amdhsa_ieee_mode 1
		.amdhsa_fp16_overflow 0
		.amdhsa_workgroup_processor_mode 1
		.amdhsa_memory_ordered 1
		.amdhsa_forward_progress 0
		.amdhsa_shared_vgpr_count 0
		.amdhsa_exception_fp_ieee_invalid_op 0
		.amdhsa_exception_fp_denorm_src 0
		.amdhsa_exception_fp_ieee_div_zero 0
		.amdhsa_exception_fp_ieee_overflow 0
		.amdhsa_exception_fp_ieee_underflow 0
		.amdhsa_exception_fp_ieee_inexact 0
		.amdhsa_exception_int_div_zero 0
	.end_amdhsa_kernel
	.section	.text._ZN2at6native12_GLOBAL__N_135GammaBetaBackwardCUDAKernelTemplateIN3c104HalfEfLj64ELj1ELj32ELb1ELb0ELb1EEEvllPKT_S7_PKT0_SA_PS5_SB_,"axG",@progbits,_ZN2at6native12_GLOBAL__N_135GammaBetaBackwardCUDAKernelTemplateIN3c104HalfEfLj64ELj1ELj32ELb1ELb0ELb1EEEvllPKT_S7_PKT0_SA_PS5_SB_,comdat
.Lfunc_end166:
	.size	_ZN2at6native12_GLOBAL__N_135GammaBetaBackwardCUDAKernelTemplateIN3c104HalfEfLj64ELj1ELj32ELb1ELb0ELb1EEEvllPKT_S7_PKT0_SA_PS5_SB_, .Lfunc_end166-_ZN2at6native12_GLOBAL__N_135GammaBetaBackwardCUDAKernelTemplateIN3c104HalfEfLj64ELj1ELj32ELb1ELb0ELb1EEEvllPKT_S7_PKT0_SA_PS5_SB_
                                        ; -- End function
	.section	.AMDGPU.csdata,"",@progbits
; Kernel info:
; codeLenInByte = 28240
; NumSgprs: 32
; NumVgprs: 256
; ScratchSize: 300
; MemoryBound: 0
; FloatMode: 240
; IeeeMode: 1
; LDSByteSize: 0 bytes/workgroup (compile time only)
; SGPRBlocks: 3
; VGPRBlocks: 31
; NumSGPRsForWavesPerEU: 32
; NumVGPRsForWavesPerEU: 256
; Occupancy: 5
; WaveLimiterHint : 0
; COMPUTE_PGM_RSRC2:SCRATCH_EN: 1
; COMPUTE_PGM_RSRC2:USER_SGPR: 14
; COMPUTE_PGM_RSRC2:TRAP_HANDLER: 0
; COMPUTE_PGM_RSRC2:TGID_X_EN: 1
; COMPUTE_PGM_RSRC2:TGID_Y_EN: 1
; COMPUTE_PGM_RSRC2:TGID_Z_EN: 0
; COMPUTE_PGM_RSRC2:TIDIG_COMP_CNT: 1
	.section	.text._ZN2at6native12_GLOBAL__N_135GammaBetaBackwardCUDAKernelTemplateIN3c104HalfEfLj64ELj1ELj8ELb1ELb1ELb1EEEvllPKT_S7_PKT0_SA_PS5_SB_,"axG",@progbits,_ZN2at6native12_GLOBAL__N_135GammaBetaBackwardCUDAKernelTemplateIN3c104HalfEfLj64ELj1ELj8ELb1ELb1ELb1EEEvllPKT_S7_PKT0_SA_PS5_SB_,comdat
	.globl	_ZN2at6native12_GLOBAL__N_135GammaBetaBackwardCUDAKernelTemplateIN3c104HalfEfLj64ELj1ELj8ELb1ELb1ELb1EEEvllPKT_S7_PKT0_SA_PS5_SB_ ; -- Begin function _ZN2at6native12_GLOBAL__N_135GammaBetaBackwardCUDAKernelTemplateIN3c104HalfEfLj64ELj1ELj8ELb1ELb1ELb1EEEvllPKT_S7_PKT0_SA_PS5_SB_
	.p2align	8
	.type	_ZN2at6native12_GLOBAL__N_135GammaBetaBackwardCUDAKernelTemplateIN3c104HalfEfLj64ELj1ELj8ELb1ELb1ELb1EEEvllPKT_S7_PKT0_SA_PS5_SB_,@function
_ZN2at6native12_GLOBAL__N_135GammaBetaBackwardCUDAKernelTemplateIN3c104HalfEfLj64ELj1ELj8ELb1ELb1ELb1EEEvllPKT_S7_PKT0_SA_PS5_SB_: ; @_ZN2at6native12_GLOBAL__N_135GammaBetaBackwardCUDAKernelTemplateIN3c104HalfEfLj64ELj1ELj8ELb1ELb1ELb1EEEvllPKT_S7_PKT0_SA_PS5_SB_
; %bb.0:
	s_clause 0x1
	s_load_b128 s[4:7], s[0:1], 0x0
	s_load_b64 s[12:13], s[0:1], 0x30
	s_mov_b32 s17, 0
	s_lshl_b32 s16, s15, 3
	v_mov_b32_e32 v3, 0
	v_bfe_u32 v1, v0, 10, 10
	v_and_b32_e32 v0, 0x3ff, v0
	s_waitcnt lgkmcnt(0)
	v_cmp_ge_i64_e64 s2, s[16:17], s[4:5]
	s_delay_alu instid0(VALU_DEP_1)
	s_and_b32 vcc_lo, exec_lo, s2
	s_cbranch_vccnz .LBB167_8
; %bb.1:
	s_clause 0x3
	s_load_b32 s2, s[0:1], 0x4c
	s_load_b32 s3, s[0:1], 0x44
	s_load_b128 s[8:11], s[0:1], 0x10
	s_load_b64 s[20:21], s[0:1], 0x28
	v_dual_mov_b32 v9, 4 :: v_dual_lshlrev_b32 v4, 3, v1
	v_dual_mov_b32 v8, 8 :: v_dual_mov_b32 v3, 0
	v_lshl_or_b32 v2, s14, 6, v0
	s_delay_alu instid0(VALU_DEP_3) | instskip(NEXT) | instid1(VALU_DEP_1)
	v_add_co_u32 v4, s18, v4, s16
	v_add_co_ci_u32_e64 v5, null, 0, 0, s18
	s_delay_alu instid0(VALU_DEP_3) | instskip(NEXT) | instid1(VALU_DEP_3)
	v_lshlrev_b64 v[15:16], 1, v[2:3]
	v_mul_lo_u32 v17, s7, v4
	v_dual_mov_b32 v10, 12 :: v_dual_mov_b32 v11, 16
	s_delay_alu instid0(VALU_DEP_4)
	v_mul_lo_u32 v18, s6, v5
	v_dual_mov_b32 v12, 20 :: v_dual_mov_b32 v13, 24
	s_waitcnt lgkmcnt(0)
	s_and_b32 s2, s2, 0xffff
	s_lshl_b32 s18, s3, 3
	v_mad_u32_u24 v6, v1, s2, v0
	s_mul_i32 s3, s7, s18
	s_mul_hi_u32 s22, s6, s18
	s_mov_b32 s19, s17
	s_add_i32 s23, s22, s3
	v_dual_mov_b32 v14, 28 :: v_dual_and_b32 v21, 31, v6
	v_mad_u64_u32 v[6:7], null, s6, v4, 0
	s_mul_i32 s22, s6, s18
	s_delay_alu instid0(VALU_DEP_2) | instskip(SKIP_2) | instid1(VALU_DEP_4)
	v_add_co_u32 v4, vcc_lo, v4, v21
	v_add_co_ci_u32_e32 v5, vcc_lo, 0, v5, vcc_lo
	v_cmp_gt_u32_e64 s2, 8, v21
	v_add3_u32 v7, v7, v18, v17
	s_lshl_b64 s[22:23], s[22:23], 1
	s_delay_alu instid0(VALU_DEP_3) | instskip(SKIP_1) | instid1(VALU_DEP_2)
	v_lshlrev_b64 v[17:18], 2, v[4:5]
	s_lshl_b64 s[24:25], s[6:7], 1
	v_lshlrev_b64 v[19:20], 1, v[6:7]
	s_delay_alu instid0(VALU_DEP_2) | instskip(NEXT) | instid1(VALU_DEP_3)
	v_add_co_u32 v6, vcc_lo, s20, v17
	v_add_co_ci_u32_e32 v7, vcc_lo, s21, v18, vcc_lo
	s_delay_alu instid0(VALU_DEP_3) | instskip(NEXT) | instid1(VALU_DEP_4)
	v_add_co_u32 v2, vcc_lo, v19, v15
	v_add_co_ci_u32_e32 v15, vcc_lo, v20, v16, vcc_lo
	v_mov_b32_e32 v16, 0
	s_lshl_b64 s[20:21], s[18:19], 2
	s_branch .LBB167_4
.LBB167_2:                              ;   in Loop: Header=BB167_4 Depth=1
	s_or_b32 exec_lo, exec_lo, s19
.LBB167_3:                              ;   in Loop: Header=BB167_4 Depth=1
	s_delay_alu instid0(SALU_CYCLE_1) | instskip(SKIP_4) | instid1(VALU_DEP_4)
	s_or_b32 exec_lo, exec_lo, s3
	v_add_co_u32 v18, vcc_lo, s8, v2
	v_add_co_ci_u32_e32 v19, vcc_lo, s9, v15, vcc_lo
	v_add_co_u32 v20, vcc_lo, s10, v2
	v_add_co_ci_u32_e32 v21, vcc_lo, s11, v15, vcc_lo
	v_add_co_u32 v22, vcc_lo, v18, s24
	s_delay_alu instid0(VALU_DEP_4)
	v_add_co_ci_u32_e32 v23, vcc_lo, s25, v19, vcc_lo
	global_load_u16 v28, v[18:19], off
	global_load_u16 v29, v[20:21], off
	;; [unrolled: 1-line block ×3, first 2 shown]
	v_add_co_u32 v18, vcc_lo, v20, s24
	v_add_co_ci_u32_e32 v19, vcc_lo, s25, v21, vcc_lo
	v_add_co_u32 v20, vcc_lo, v22, s24
	v_add_co_ci_u32_e32 v21, vcc_lo, s25, v23, vcc_lo
	s_delay_alu instid0(VALU_DEP_4) | instskip(NEXT) | instid1(VALU_DEP_4)
	v_add_co_u32 v22, vcc_lo, v18, s24
	v_add_co_ci_u32_e32 v23, vcc_lo, s25, v19, vcc_lo
	s_delay_alu instid0(VALU_DEP_4) | instskip(NEXT) | instid1(VALU_DEP_4)
	;; [unrolled: 3-line block ×3, first 2 shown]
	v_add_co_u32 v26, vcc_lo, v22, s24
	v_add_co_ci_u32_e32 v27, vcc_lo, s25, v23, vcc_lo
	global_load_u16 v31, v[18:19], off
	global_load_u16 v32, v[20:21], off
	;; [unrolled: 1-line block ×5, first 2 shown]
	v_add_co_u32 v18, vcc_lo, v24, s24
	v_add_co_ci_u32_e32 v19, vcc_lo, s25, v25, vcc_lo
	v_add_co_u32 v20, vcc_lo, v26, s24
	v_add_co_ci_u32_e32 v21, vcc_lo, s25, v27, vcc_lo
	s_delay_alu instid0(VALU_DEP_4) | instskip(NEXT) | instid1(VALU_DEP_4)
	v_add_co_u32 v22, vcc_lo, v18, s24
	v_add_co_ci_u32_e32 v23, vcc_lo, s25, v19, vcc_lo
	s_delay_alu instid0(VALU_DEP_4) | instskip(NEXT) | instid1(VALU_DEP_4)
	;; [unrolled: 3-line block ×3, first 2 shown]
	v_add_co_u32 v26, vcc_lo, v22, s24
	v_add_co_ci_u32_e32 v27, vcc_lo, s25, v23, vcc_lo
	global_load_u16 v36, v[18:19], off
	global_load_u16 v37, v[20:21], off
	;; [unrolled: 1-line block ×5, first 2 shown]
	v_add_co_u32 v18, vcc_lo, v24, s24
	v_add_co_ci_u32_e32 v19, vcc_lo, s25, v25, vcc_lo
	v_add_co_u32 v20, vcc_lo, v26, s24
	v_add_co_ci_u32_e32 v21, vcc_lo, s25, v27, vcc_lo
	s_delay_alu instid0(VALU_DEP_4) | instskip(NEXT) | instid1(VALU_DEP_4)
	v_add_co_u32 v22, vcc_lo, v18, s24
	v_add_co_ci_u32_e32 v23, vcc_lo, s25, v19, vcc_lo
	global_load_u16 v18, v[18:19], off
	global_load_u16 v19, v[20:21], off
	;; [unrolled: 1-line block ×3, first 2 shown]
	s_waitcnt vmcnt(16)
	ds_bpermute_b32 v21, v3, v17
	ds_bpermute_b32 v22, v9, v17
	;; [unrolled: 1-line block ×4, first 2 shown]
	v_add_co_u32 v6, vcc_lo, v6, s20
	s_add_u32 s16, s16, s18
	v_add_co_ci_u32_e32 v7, vcc_lo, s21, v7, vcc_lo
	s_addc_u32 s17, s17, 0
	v_add_co_u32 v4, vcc_lo, v4, s18
	v_add_co_ci_u32_e32 v5, vcc_lo, 0, v5, vcc_lo
	v_cmp_lt_i64_e64 s3, s[16:17], s[4:5]
	v_add_co_u32 v2, vcc_lo, v2, s22
	v_add_co_ci_u32_e32 v15, vcc_lo, s23, v15, vcc_lo
	s_delay_alu instid0(VALU_DEP_3)
	s_and_b32 vcc_lo, exec_lo, s3
	s_waitcnt vmcnt(15)
	v_cvt_f32_f16_e32 v23, v28
	s_waitcnt vmcnt(14)
	v_cvt_f32_f16_e32 v24, v29
	;; [unrolled: 2-line block ×3, first 2 shown]
	s_delay_alu instid0(VALU_DEP_2)
	v_mul_f32_e32 v23, v23, v24
	s_waitcnt vmcnt(12)
	v_cvt_f32_f16_e32 v24, v31
	s_waitcnt vmcnt(11)
	v_cvt_f32_f16_e32 v28, v32
	s_waitcnt lgkmcnt(3)
	v_fmac_f32_e32 v16, v23, v21
	s_waitcnt vmcnt(10)
	v_cvt_f32_f16_e32 v23, v33
	s_waitcnt vmcnt(9)
	v_cvt_f32_f16_e32 v29, v34
	v_mul_f32_e32 v21, v26, v24
	ds_bpermute_b32 v24, v11, v17
	ds_bpermute_b32 v26, v12, v17
	s_waitcnt lgkmcnt(4)
	v_fmac_f32_e32 v16, v21, v22
	s_waitcnt vmcnt(8)
	v_cvt_f32_f16_e32 v22, v35
	s_waitcnt vmcnt(2)
	v_cvt_f32_f16_e32 v18, v18
	v_mul_f32_e32 v21, v28, v23
	ds_bpermute_b32 v23, v13, v17
	v_cvt_f32_f16_e32 v28, v36
	ds_bpermute_b32 v17, v14, v17
	s_waitcnt vmcnt(1)
	v_cvt_f32_f16_e32 v19, v19
	s_waitcnt lgkmcnt(5)
	v_fmac_f32_e32 v16, v21, v25
	v_mul_f32_e32 v21, v29, v22
	v_cvt_f32_f16_e32 v22, v37
	v_cvt_f32_f16_e32 v25, v38
	;; [unrolled: 1-line block ×3, first 2 shown]
	s_waitcnt vmcnt(0)
	v_cvt_f32_f16_e32 v20, v20
	s_waitcnt lgkmcnt(4)
	v_dual_fmac_f32 v16, v21, v27 :: v_dual_mul_f32 v21, v28, v22
	v_cvt_f32_f16_e32 v22, v40
	s_waitcnt lgkmcnt(3)
	s_delay_alu instid0(VALU_DEP_2) | instskip(NEXT) | instid1(VALU_DEP_2)
	v_fmac_f32_e32 v16, v21, v24
	v_dual_mul_f32 v21, v25, v29 :: v_dual_mul_f32 v18, v22, v18
	s_waitcnt lgkmcnt(2)
	s_delay_alu instid0(VALU_DEP_1) | instskip(SKIP_1) | instid1(VALU_DEP_1)
	v_fmac_f32_e32 v16, v21, v26
	s_waitcnt lgkmcnt(1)
	v_fmac_f32_e32 v16, v18, v23
	v_mul_f32_e32 v18, v19, v20
	s_waitcnt lgkmcnt(0)
	s_delay_alu instid0(VALU_DEP_1)
	v_fmac_f32_e32 v16, v18, v17
	s_cbranch_vccz .LBB167_7
.LBB167_4:                              ; =>This Inner Loop Header: Depth=1
	v_mov_b32_e32 v17, 0
	s_and_saveexec_b32 s3, s2
	s_cbranch_execz .LBB167_3
; %bb.5:                                ;   in Loop: Header=BB167_4 Depth=1
	v_mov_b32_e32 v17, 0
	s_mov_b32 s19, exec_lo
	v_cmpx_gt_i64_e64 s[4:5], v[4:5]
	s_cbranch_execz .LBB167_2
; %bb.6:                                ;   in Loop: Header=BB167_4 Depth=1
	global_load_b32 v17, v[6:7], off
	s_branch .LBB167_2
.LBB167_7:
	s_delay_alu instid0(VALU_DEP_1)
	v_cvt_f16_f32_e32 v3, v16
.LBB167_8:
	s_cmp_eq_u64 s[12:13], 0
	s_cbranch_scc1 .LBB167_10
; %bb.9:
	s_load_b32 s0, s[0:1], 0x4c
	v_mov_b32_e32 v2, 0
	v_lshlrev_b32_e32 v0, 1, v0
	s_waitcnt lgkmcnt(0)
	s_lshr_b32 s0, s0, 16
	s_delay_alu instid0(VALU_DEP_2) | instid1(SALU_CYCLE_1)
	v_mad_u64_u32 v[4:5], null, s0, s15, v[1:2]
	s_mov_b32 s15, 0
	s_delay_alu instid0(SALU_CYCLE_1) | instskip(NEXT) | instid1(SALU_CYCLE_1)
	s_lshl_b64 s[0:1], s[14:15], 7
	s_add_u32 s0, s0, s12
	s_addc_u32 s1, s1, s13
	s_delay_alu instid0(VALU_DEP_1) | instskip(NEXT) | instid1(VALU_DEP_2)
	v_mul_lo_u32 v5, v5, s6
	v_mul_lo_u32 v6, v4, s7
	v_mad_u64_u32 v[1:2], null, v4, s6, 0
	s_delay_alu instid0(VALU_DEP_1) | instskip(NEXT) | instid1(VALU_DEP_1)
	v_add3_u32 v2, v2, v6, v5
	v_lshlrev_b64 v[1:2], 1, v[1:2]
	s_delay_alu instid0(VALU_DEP_1) | instskip(NEXT) | instid1(VALU_DEP_2)
	v_add_co_u32 v1, vcc_lo, s0, v1
	v_add_co_ci_u32_e32 v2, vcc_lo, s1, v2, vcc_lo
	s_delay_alu instid0(VALU_DEP_2) | instskip(NEXT) | instid1(VALU_DEP_2)
	v_add_co_u32 v0, vcc_lo, v1, v0
	v_add_co_ci_u32_e32 v1, vcc_lo, 0, v2, vcc_lo
	global_store_b16 v[0:1], v3, off
.LBB167_10:
	s_nop 0
	s_sendmsg sendmsg(MSG_DEALLOC_VGPRS)
	s_endpgm
	.section	.rodata,"a",@progbits
	.p2align	6, 0x0
	.amdhsa_kernel _ZN2at6native12_GLOBAL__N_135GammaBetaBackwardCUDAKernelTemplateIN3c104HalfEfLj64ELj1ELj8ELb1ELb1ELb1EEEvllPKT_S7_PKT0_SA_PS5_SB_
		.amdhsa_group_segment_fixed_size 0
		.amdhsa_private_segment_fixed_size 0
		.amdhsa_kernarg_size 320
		.amdhsa_user_sgpr_count 14
		.amdhsa_user_sgpr_dispatch_ptr 0
		.amdhsa_user_sgpr_queue_ptr 0
		.amdhsa_user_sgpr_kernarg_segment_ptr 1
		.amdhsa_user_sgpr_dispatch_id 0
		.amdhsa_user_sgpr_private_segment_size 0
		.amdhsa_wavefront_size32 1
		.amdhsa_uses_dynamic_stack 0
		.amdhsa_enable_private_segment 0
		.amdhsa_system_sgpr_workgroup_id_x 1
		.amdhsa_system_sgpr_workgroup_id_y 1
		.amdhsa_system_sgpr_workgroup_id_z 0
		.amdhsa_system_sgpr_workgroup_info 0
		.amdhsa_system_vgpr_workitem_id 1
		.amdhsa_next_free_vgpr 41
		.amdhsa_next_free_sgpr 26
		.amdhsa_reserve_vcc 1
		.amdhsa_float_round_mode_32 0
		.amdhsa_float_round_mode_16_64 0
		.amdhsa_float_denorm_mode_32 3
		.amdhsa_float_denorm_mode_16_64 3
		.amdhsa_dx10_clamp 1
		.amdhsa_ieee_mode 1
		.amdhsa_fp16_overflow 0
		.amdhsa_workgroup_processor_mode 1
		.amdhsa_memory_ordered 1
		.amdhsa_forward_progress 0
		.amdhsa_shared_vgpr_count 0
		.amdhsa_exception_fp_ieee_invalid_op 0
		.amdhsa_exception_fp_denorm_src 0
		.amdhsa_exception_fp_ieee_div_zero 0
		.amdhsa_exception_fp_ieee_overflow 0
		.amdhsa_exception_fp_ieee_underflow 0
		.amdhsa_exception_fp_ieee_inexact 0
		.amdhsa_exception_int_div_zero 0
	.end_amdhsa_kernel
	.section	.text._ZN2at6native12_GLOBAL__N_135GammaBetaBackwardCUDAKernelTemplateIN3c104HalfEfLj64ELj1ELj8ELb1ELb1ELb1EEEvllPKT_S7_PKT0_SA_PS5_SB_,"axG",@progbits,_ZN2at6native12_GLOBAL__N_135GammaBetaBackwardCUDAKernelTemplateIN3c104HalfEfLj64ELj1ELj8ELb1ELb1ELb1EEEvllPKT_S7_PKT0_SA_PS5_SB_,comdat
.Lfunc_end167:
	.size	_ZN2at6native12_GLOBAL__N_135GammaBetaBackwardCUDAKernelTemplateIN3c104HalfEfLj64ELj1ELj8ELb1ELb1ELb1EEEvllPKT_S7_PKT0_SA_PS5_SB_, .Lfunc_end167-_ZN2at6native12_GLOBAL__N_135GammaBetaBackwardCUDAKernelTemplateIN3c104HalfEfLj64ELj1ELj8ELb1ELb1ELb1EEEvllPKT_S7_PKT0_SA_PS5_SB_
                                        ; -- End function
	.section	.AMDGPU.csdata,"",@progbits
; Kernel info:
; codeLenInByte = 1296
; NumSgprs: 28
; NumVgprs: 41
; ScratchSize: 0
; MemoryBound: 0
; FloatMode: 240
; IeeeMode: 1
; LDSByteSize: 0 bytes/workgroup (compile time only)
; SGPRBlocks: 3
; VGPRBlocks: 5
; NumSGPRsForWavesPerEU: 28
; NumVGPRsForWavesPerEU: 41
; Occupancy: 16
; WaveLimiterHint : 0
; COMPUTE_PGM_RSRC2:SCRATCH_EN: 0
; COMPUTE_PGM_RSRC2:USER_SGPR: 14
; COMPUTE_PGM_RSRC2:TRAP_HANDLER: 0
; COMPUTE_PGM_RSRC2:TGID_X_EN: 1
; COMPUTE_PGM_RSRC2:TGID_Y_EN: 1
; COMPUTE_PGM_RSRC2:TGID_Z_EN: 0
; COMPUTE_PGM_RSRC2:TIDIG_COMP_CNT: 1
	.section	.text._ZN2at6native12_GLOBAL__N_135GammaBetaBackwardCUDAKernelTemplateIN3c104HalfEfLj64ELj1ELj8ELb1ELb0ELb1EEEvllPKT_S7_PKT0_SA_PS5_SB_,"axG",@progbits,_ZN2at6native12_GLOBAL__N_135GammaBetaBackwardCUDAKernelTemplateIN3c104HalfEfLj64ELj1ELj8ELb1ELb0ELb1EEEvllPKT_S7_PKT0_SA_PS5_SB_,comdat
	.globl	_ZN2at6native12_GLOBAL__N_135GammaBetaBackwardCUDAKernelTemplateIN3c104HalfEfLj64ELj1ELj8ELb1ELb0ELb1EEEvllPKT_S7_PKT0_SA_PS5_SB_ ; -- Begin function _ZN2at6native12_GLOBAL__N_135GammaBetaBackwardCUDAKernelTemplateIN3c104HalfEfLj64ELj1ELj8ELb1ELb0ELb1EEEvllPKT_S7_PKT0_SA_PS5_SB_
	.p2align	8
	.type	_ZN2at6native12_GLOBAL__N_135GammaBetaBackwardCUDAKernelTemplateIN3c104HalfEfLj64ELj1ELj8ELb1ELb0ELb1EEEvllPKT_S7_PKT0_SA_PS5_SB_,@function
_ZN2at6native12_GLOBAL__N_135GammaBetaBackwardCUDAKernelTemplateIN3c104HalfEfLj64ELj1ELj8ELb1ELb0ELb1EEEvllPKT_S7_PKT0_SA_PS5_SB_: ; @_ZN2at6native12_GLOBAL__N_135GammaBetaBackwardCUDAKernelTemplateIN3c104HalfEfLj64ELj1ELj8ELb1ELb0ELb1EEEvllPKT_S7_PKT0_SA_PS5_SB_
; %bb.0:
	s_clause 0x1
	s_load_b256 s[16:23], s[0:1], 0x0
	s_load_b64 s[12:13], s[0:1], 0x28
	s_mov_b32 s2, s15
	s_lshl_b32 s15, s14, 6
	s_mov_b32 s35, 0
	s_or_b32 s34, s15, 63
	s_waitcnt lgkmcnt(0)
	v_cmp_ge_i64_e64 s3, s[34:35], s[18:19]
	s_lshl_b32 s34, s2, 3
	s_delay_alu instid0(SALU_CYCLE_1) | instskip(NEXT) | instid1(VALU_DEP_2)
	v_cmp_lt_i64_e64 s33, s[34:35], s[16:17]
	s_and_b32 vcc_lo, exec_lo, s3
	s_delay_alu instid0(VALU_DEP_1) | instskip(NEXT) | instid1(VALU_DEP_1)
	v_cndmask_b32_e64 v1, 0, 1, s33
	v_cmp_ne_u32_e64 s3, 1, v1
	s_cbranch_vccz .LBB168_49
; %bb.1:
	v_mov_b32_e32 v3, 0
	s_delay_alu instid0(VALU_DEP_2)
	s_and_b32 vcc_lo, exec_lo, s3
	s_cbranch_vccnz .LBB168_50
; %bb.2:
	v_bfe_u32 v29, v0, 10, 10
	s_load_b32 s4, s[0:1], 0x44
	v_dual_mov_b32 v2, 0 :: v_dual_and_b32 v31, 0x3ff, v0
	s_add_u32 s6, s0, 64
	s_delay_alu instid0(VALU_DEP_2) | instskip(NEXT) | instid1(VALU_DEP_2)
	v_dual_mov_b32 v65, 0 :: v_dual_lshlrev_b32 v30, 3, v29
	v_dual_mov_b32 v32, v2 :: v_dual_add_nc_u32 v1, s15, v31
	s_addc_u32 s7, s1, 0
	s_delay_alu instid0(VALU_DEP_2) | instskip(NEXT) | instid1(VALU_DEP_1)
	v_add_co_u32 v9, s3, v30, s34
	v_add_co_ci_u32_e64 v10, null, 0, 0, s3
	s_delay_alu instid0(VALU_DEP_3) | instskip(NEXT) | instid1(VALU_DEP_3)
	v_cmp_gt_i64_e64 s3, s[18:19], v[1:2]
	v_add_co_u32 v5, vcc_lo, v9, 7
	s_delay_alu instid0(VALU_DEP_3) | instskip(SKIP_1) | instid1(VALU_DEP_3)
	v_add_co_ci_u32_e32 v3, vcc_lo, 0, v10, vcc_lo
	v_add_co_u32 v8, vcc_lo, v9, 6
	v_mul_lo_u32 v6, s19, v5
	s_delay_alu instid0(VALU_DEP_3)
	v_mul_lo_u32 v7, s18, v3
	v_mad_u64_u32 v[3:4], null, s18, v5, 0
	v_add_co_ci_u32_e32 v5, vcc_lo, 0, v10, vcc_lo
	v_lshlrev_b64 v[25:26], 1, v[1:2]
	v_mul_lo_u32 v1, s19, v8
	s_waitcnt lgkmcnt(0)
	s_lshl_b32 s36, s4, 3
	s_mov_b32 s24, 0
	s_delay_alu instid0(VALU_DEP_4) | instskip(SKIP_3) | instid1(VALU_DEP_3)
	v_add3_u32 v4, v4, v7, v6
	v_mul_lo_u32 v7, s18, v5
	v_mad_u64_u32 v[5:6], null, s18, v8, 0
	s_mul_i32 s4, s19, s36
	v_lshlrev_b64 v[3:4], 1, v[3:4]
	s_mul_hi_u32 s5, s18, s36
	s_mul_i32 s8, s18, s36
	s_add_i32 s9, s5, s4
	s_mov_b64 s[10:11], s[34:35]
	s_delay_alu instid0(VALU_DEP_2) | instskip(SKIP_4) | instid1(VALU_DEP_1)
	v_add3_u32 v6, v6, v7, v1
	v_add_co_u32 v33, vcc_lo, s20, v3
	v_add_co_ci_u32_e32 v34, vcc_lo, s21, v4, vcc_lo
	v_add_co_u32 v1, vcc_lo, v9, 5
	v_add_co_u32 v35, s4, s22, v3
	v_add_co_ci_u32_e64 v36, s4, s23, v4, s4
	v_lshlrev_b64 v[3:4], 1, v[5:6]
	v_add_co_ci_u32_e32 v5, vcc_lo, 0, v10, vcc_lo
	v_add_co_u32 v12, vcc_lo, v9, 4
	v_mul_lo_u32 v11, s19, v1
	s_delay_alu instid0(VALU_DEP_3) | instskip(SKIP_4) | instid1(VALU_DEP_3)
	v_mul_lo_u32 v13, s18, v5
	v_mad_u64_u32 v[5:6], null, s18, v1, 0
	v_add_co_ci_u32_e32 v7, vcc_lo, 0, v10, vcc_lo
	v_mul_lo_u32 v1, s19, v12
	v_add_co_u32 v37, vcc_lo, s20, v3
	v_mul_lo_u32 v14, s18, v7
	v_mad_u64_u32 v[7:8], null, s18, v12, 0
	v_add3_u32 v6, v6, v13, v11
	v_add_co_ci_u32_e32 v38, vcc_lo, s21, v4, vcc_lo
	v_add_co_u32 v39, vcc_lo, s22, v3
	v_add_co_ci_u32_e32 v40, vcc_lo, s23, v4, vcc_lo
	s_delay_alu instid0(VALU_DEP_4) | instskip(SKIP_3) | instid1(VALU_DEP_4)
	v_lshlrev_b64 v[3:4], 1, v[5:6]
	v_add3_u32 v8, v8, v14, v1
	v_add_co_u32 v1, vcc_lo, v9, 3
	v_add_co_ci_u32_e32 v11, vcc_lo, 0, v10, vcc_lo
	v_add_co_u32 v41, vcc_lo, s20, v3
	s_delay_alu instid0(VALU_DEP_4)
	v_lshlrev_b64 v[5:6], 1, v[7:8]
	v_add_co_ci_u32_e32 v42, vcc_lo, s21, v4, vcc_lo
	v_mul_lo_u32 v12, s19, v1
	v_mul_lo_u32 v11, s18, v11
	v_mad_u64_u32 v[7:8], null, s18, v1, 0
	v_add_co_u32 v43, vcc_lo, s22, v3
	v_add_co_ci_u32_e32 v44, vcc_lo, s23, v4, vcc_lo
	v_add_co_u32 v45, vcc_lo, s20, v5
	v_add_co_ci_u32_e32 v46, vcc_lo, s21, v6, vcc_lo
	v_add_co_u32 v1, vcc_lo, v9, 2
	v_add3_u32 v8, v8, v11, v12
	v_add_co_ci_u32_e32 v11, vcc_lo, 0, v10, vcc_lo
	v_add_co_u32 v47, vcc_lo, s22, v5
	v_add_co_ci_u32_e32 v48, vcc_lo, s23, v6, vcc_lo
	v_mul_lo_u32 v12, s19, v1
	s_delay_alu instid0(VALU_DEP_4)
	v_mul_lo_u32 v11, s18, v11
	v_mad_u64_u32 v[5:6], null, s18, v1, 0
	v_lshlrev_b64 v[3:4], 1, v[7:8]
	v_mul_lo_u32 v1, s19, v9
	v_mul_lo_u32 v10, s18, v10
	v_mad_u64_u32 v[7:8], null, s18, v9, 0
	s_mov_b64 s[4:5], 7
	s_delay_alu instid0(VALU_DEP_4)
	v_add_co_u32 v49, vcc_lo, s20, v3
	v_add3_u32 v6, v6, v11, v12
	v_add_co_ci_u32_e32 v50, vcc_lo, s21, v4, vcc_lo
	v_add_co_u32 v51, vcc_lo, s22, v3
	v_add3_u32 v8, v8, v10, v1
	v_add_co_ci_u32_e32 v52, vcc_lo, s23, v4, vcc_lo
	v_lshlrev_b64 v[3:4], 1, v[5:6]
	v_add_co_u32 v5, vcc_lo, v7, s18
	s_delay_alu instid0(VALU_DEP_4) | instskip(SKIP_1) | instid1(VALU_DEP_3)
	v_add_co_ci_u32_e32 v6, vcc_lo, s19, v8, vcc_lo
	s_lshl_b64 s[8:9], s[8:9], 1
	v_add_co_u32 v53, vcc_lo, s20, v3
	s_delay_alu instid0(VALU_DEP_2) | instskip(SKIP_3) | instid1(VALU_DEP_4)
	v_lshlrev_b64 v[5:6], 1, v[5:6]
	v_add_co_ci_u32_e32 v54, vcc_lo, s21, v4, vcc_lo
	v_add_co_u32 v55, vcc_lo, s22, v3
	v_add_co_ci_u32_e32 v56, vcc_lo, s23, v4, vcc_lo
	v_add_co_u32 v57, vcc_lo, s20, v5
	v_lshlrev_b64 v[3:4], 1, v[7:8]
	v_add_co_ci_u32_e32 v58, vcc_lo, s21, v6, vcc_lo
	v_add_co_u32 v59, vcc_lo, s22, v5
	v_add_co_ci_u32_e32 v60, vcc_lo, s23, v6, vcc_lo
	s_delay_alu instid0(VALU_DEP_4)
	v_add_co_u32 v61, vcc_lo, s20, v3
	v_add_co_ci_u32_e32 v62, vcc_lo, s21, v4, vcc_lo
	v_add_co_u32 v63, vcc_lo, s22, v3
	v_add_co_ci_u32_e32 v64, vcc_lo, s23, v4, vcc_lo
.LBB168_3:                              ; =>This Inner Loop Header: Depth=1
	s_add_u32 s26, s34, s4
	s_addc_u32 s27, 0, s5
	v_add_co_u32 v27, vcc_lo, s34, v30
	v_cmp_ge_i64_e64 s25, s[26:27], s[16:17]
	v_add_co_ci_u32_e32 v28, vcc_lo, 0, v32, vcc_lo
	s_delay_alu instid0(VALU_DEP_2)
	s_and_b32 vcc_lo, exec_lo, s25
	s_cbranch_vccz .LBB168_25
; %bb.4:                                ;   in Loop: Header=BB168_3 Depth=1
	s_load_b32 s25, s[6:7], 0xc
	v_mov_b32_e32 v66, 0
	s_waitcnt lgkmcnt(0)
	s_and_b32 s25, s25, 0xffff
	s_delay_alu instid0(SALU_CYCLE_1) | instskip(SKIP_1) | instid1(VALU_DEP_1)
	v_mad_u32_u24 v1, v29, s25, v31
	s_mov_b32 s25, exec_lo
	v_and_b32_e32 v1, 31, v1
	s_delay_alu instid0(VALU_DEP_1)
	v_cmpx_gt_u32_e32 8, v1
	s_cbranch_execz .LBB168_8
; %bb.5:                                ;   in Loop: Header=BB168_3 Depth=1
	v_add_co_u32 v3, vcc_lo, v27, v1
	v_add_co_ci_u32_e32 v4, vcc_lo, 0, v28, vcc_lo
	v_mov_b32_e32 v66, 0
	s_mov_b32 s26, exec_lo
	s_delay_alu instid0(VALU_DEP_2)
	v_cmpx_gt_i64_e64 s[16:17], v[3:4]
	s_cbranch_execz .LBB168_7
; %bb.6:                                ;   in Loop: Header=BB168_3 Depth=1
	v_lshlrev_b64 v[3:4], 2, v[3:4]
	s_delay_alu instid0(VALU_DEP_1) | instskip(NEXT) | instid1(VALU_DEP_2)
	v_add_co_u32 v3, vcc_lo, s12, v3
	v_add_co_ci_u32_e32 v4, vcc_lo, s13, v4, vcc_lo
	global_load_b32 v66, v[3:4], off
.LBB168_7:                              ;   in Loop: Header=BB168_3 Depth=1
	s_or_b32 exec_lo, exec_lo, s26
.LBB168_8:                              ;   in Loop: Header=BB168_3 Depth=1
	s_delay_alu instid0(SALU_CYCLE_1)
	s_or_b32 exec_lo, exec_lo, s25
	s_mov_b32 s30, s24
	s_mov_b32 s31, s24
	s_mov_b32 s25, s24
	s_mov_b32 s26, s24
	s_mov_b32 s27, s24
	s_mov_b32 s28, s24
	s_mov_b32 s29, s24
	v_dual_mov_b32 v9, s24 :: v_dual_mov_b32 v10, s25
	v_dual_mov_b32 v15, s30 :: v_dual_mov_b32 v16, s31
	;; [unrolled: 1-line block ×4, first 2 shown]
	v_cmp_gt_i64_e32 vcc_lo, s[16:17], v[27:28]
	s_delay_alu instid0(VALU_DEP_4) | instskip(NEXT) | instid1(VALU_DEP_3)
	v_dual_mov_b32 v24, v16 :: v_dual_mov_b32 v23, v15
	v_dual_mov_b32 v21, v13 :: v_dual_mov_b32 v22, v14
	;; [unrolled: 1-line block ×4, first 2 shown]
	s_and_b32 s26, s3, vcc_lo
	s_delay_alu instid0(SALU_CYCLE_1)
	s_and_saveexec_b32 s25, s26
	s_cbranch_execz .LBB168_10
; %bb.9:                                ;   in Loop: Header=BB168_3 Depth=1
	v_add_co_u32 v3, vcc_lo, v61, v25
	v_add_co_ci_u32_e32 v4, vcc_lo, v62, v26, vcc_lo
	v_add_co_u32 v5, vcc_lo, v63, v25
	v_add_co_ci_u32_e32 v6, vcc_lo, v64, v26, vcc_lo
	v_mov_b32_e32 v8, v2
	global_load_u16 v1, v[3:4], off
	global_load_u16 v9, v[5:6], off
	v_mov_b32_e32 v3, v2
	v_mov_b32_e32 v4, v2
	;; [unrolled: 1-line block ×6, first 2 shown]
	s_waitcnt vmcnt(1)
	v_cvt_f32_f16_e32 v1, v1
	v_dual_mov_b32 v11, v2 :: v_dual_mov_b32 v24, v8
	v_dual_mov_b32 v10, v2 :: v_dual_mov_b32 v23, v7
	s_waitcnt vmcnt(0)
	v_cvt_f32_f16_e32 v9, v9
	v_dual_mov_b32 v12, v2 :: v_dual_mov_b32 v21, v5
	v_dual_mov_b32 v13, v2 :: v_dual_mov_b32 v20, v4
	v_dual_mov_b32 v14, v2 :: v_dual_mov_b32 v19, v3
	v_dual_mov_b32 v16, v2 :: v_dual_mov_b32 v17, v1
	v_mov_b32_e32 v22, v6
	v_mov_b32_e32 v18, v2
.LBB168_10:                             ;   in Loop: Header=BB168_3 Depth=1
	s_or_b32 exec_lo, exec_lo, s25
	v_add_co_u32 v3, vcc_lo, v27, 1
	v_add_co_ci_u32_e32 v4, vcc_lo, 0, v28, vcc_lo
	s_delay_alu instid0(VALU_DEP_1) | instskip(SKIP_1) | instid1(SALU_CYCLE_1)
	v_cmp_gt_i64_e32 vcc_lo, s[16:17], v[3:4]
	s_and_b32 s26, s3, vcc_lo
	s_and_saveexec_b32 s25, s26
	s_cbranch_execz .LBB168_12
; %bb.11:                               ;   in Loop: Header=BB168_3 Depth=1
	v_add_co_u32 v3, vcc_lo, v57, v25
	v_add_co_ci_u32_e32 v4, vcc_lo, v58, v26, vcc_lo
	v_add_co_u32 v5, vcc_lo, v59, v25
	v_add_co_ci_u32_e32 v6, vcc_lo, v60, v26, vcc_lo
	global_load_u16 v1, v[3:4], off
	global_load_u16 v3, v[5:6], off
	s_waitcnt vmcnt(1)
	v_cvt_f32_f16_e32 v18, v1
	s_waitcnt vmcnt(0)
	v_cvt_f32_f16_e32 v10, v3
.LBB168_12:                             ;   in Loop: Header=BB168_3 Depth=1
	s_or_b32 exec_lo, exec_lo, s25
	v_add_co_u32 v3, vcc_lo, v27, 2
	v_add_co_ci_u32_e32 v4, vcc_lo, 0, v28, vcc_lo
	s_delay_alu instid0(VALU_DEP_1) | instskip(SKIP_1) | instid1(SALU_CYCLE_1)
	v_cmp_gt_i64_e32 vcc_lo, s[16:17], v[3:4]
	s_and_b32 s26, s3, vcc_lo
	s_and_saveexec_b32 s25, s26
	s_cbranch_execz .LBB168_14
; %bb.13:                               ;   in Loop: Header=BB168_3 Depth=1
	v_add_co_u32 v3, vcc_lo, v53, v25
	v_add_co_ci_u32_e32 v4, vcc_lo, v54, v26, vcc_lo
	v_add_co_u32 v5, vcc_lo, v55, v25
	v_add_co_ci_u32_e32 v6, vcc_lo, v56, v26, vcc_lo
	global_load_u16 v1, v[3:4], off
	global_load_u16 v3, v[5:6], off
	s_waitcnt vmcnt(1)
	v_cvt_f32_f16_e32 v19, v1
	s_waitcnt vmcnt(0)
	v_cvt_f32_f16_e32 v11, v3
.LBB168_14:                             ;   in Loop: Header=BB168_3 Depth=1
	;; [unrolled: 20-line block ×7, first 2 shown]
	s_or_b32 exec_lo, exec_lo, s25
	s_waitcnt vmcnt(0)
	ds_bpermute_b32 v1, v2, v66
	ds_bpermute_b32 v4, v2, v66 offset:4
	ds_bpermute_b32 v5, v2, v66 offset:8
	v_mul_f32_e32 v3, v9, v17
	ds_bpermute_b32 v6, v2, v66 offset:12
	v_mul_f32_e32 v7, v10, v18
	ds_bpermute_b32 v8, v2, v66 offset:16
	ds_bpermute_b32 v9, v2, v66 offset:20
	s_waitcnt lgkmcnt(5)
	v_fma_f32 v3, v3, v1, v65
	v_mul_f32_e32 v1, v11, v19
	s_waitcnt lgkmcnt(4)
	s_delay_alu instid0(VALU_DEP_2) | instskip(SKIP_2) | instid1(VALU_DEP_2)
	v_fmac_f32_e32 v3, v7, v4
	v_dual_mul_f32 v4, v12, v20 :: v_dual_mul_f32 v7, v13, v21
	s_waitcnt lgkmcnt(3)
	v_fmac_f32_e32 v3, v1, v5
	ds_bpermute_b32 v5, v2, v66 offset:24
	ds_bpermute_b32 v1, v2, v66 offset:28
	s_waitcnt lgkmcnt(4)
	v_fmac_f32_e32 v3, v4, v6
	s_waitcnt lgkmcnt(3)
	s_delay_alu instid0(VALU_DEP_1) | instskip(SKIP_1) | instid1(VALU_DEP_1)
	v_dual_mul_f32 v4, v14, v22 :: v_dual_fmac_f32 v3, v7, v8
	s_waitcnt lgkmcnt(2)
	v_dual_fmac_f32 v3, v4, v9 :: v_dual_mul_f32 v4, v15, v23
	s_waitcnt lgkmcnt(1)
	s_delay_alu instid0(VALU_DEP_1)
	v_fmac_f32_e32 v3, v4, v5
	s_branch .LBB168_40
.LBB168_25:                             ;   in Loop: Header=BB168_3 Depth=1
                                        ; implicit-def: $vgpr3
                                        ; implicit-def: $vgpr9_vgpr10_vgpr11_vgpr12_vgpr13_vgpr14_vgpr15_vgpr16
                                        ; implicit-def: $vgpr17_vgpr18_vgpr19_vgpr20_vgpr21_vgpr22_vgpr23_vgpr24
                                        ; implicit-def: $vgpr1
	s_cbranch_execz .LBB168_40
; %bb.26:                               ;   in Loop: Header=BB168_3 Depth=1
	s_load_b32 s25, s[6:7], 0x0
	v_mov_b32_e32 v66, 0
	s_waitcnt lgkmcnt(0)
	s_cmp_lt_u32 s14, s25
	s_cselect_b32 s25, 12, 18
	s_delay_alu instid0(SALU_CYCLE_1)
	s_add_u32 s26, s6, s25
	s_addc_u32 s27, s7, 0
	s_mov_b32 s25, exec_lo
	global_load_u16 v1, v2, s[26:27]
	s_waitcnt vmcnt(0)
	v_mad_u32_u24 v1, v29, v1, v31
	s_delay_alu instid0(VALU_DEP_1) | instskip(NEXT) | instid1(VALU_DEP_1)
	v_and_b32_e32 v1, 31, v1
	v_cmpx_gt_u32_e32 8, v1
	s_cbranch_execz .LBB168_30
; %bb.27:                               ;   in Loop: Header=BB168_3 Depth=1
	v_add_co_u32 v3, vcc_lo, v27, v1
	v_add_co_ci_u32_e32 v4, vcc_lo, 0, v28, vcc_lo
	v_mov_b32_e32 v66, 0
	s_mov_b32 s26, exec_lo
	s_delay_alu instid0(VALU_DEP_2)
	v_cmpx_gt_i64_e64 s[16:17], v[3:4]
	s_cbranch_execz .LBB168_29
; %bb.28:                               ;   in Loop: Header=BB168_3 Depth=1
	v_lshlrev_b64 v[3:4], 2, v[3:4]
	s_delay_alu instid0(VALU_DEP_1) | instskip(NEXT) | instid1(VALU_DEP_2)
	v_add_co_u32 v3, vcc_lo, s12, v3
	v_add_co_ci_u32_e32 v4, vcc_lo, s13, v4, vcc_lo
	global_load_b32 v66, v[3:4], off
.LBB168_29:                             ;   in Loop: Header=BB168_3 Depth=1
	s_or_b32 exec_lo, exec_lo, s26
.LBB168_30:                             ;   in Loop: Header=BB168_3 Depth=1
	s_delay_alu instid0(SALU_CYCLE_1)
	s_or_b32 exec_lo, exec_lo, s25
	s_mov_b32 s30, s24
	s_mov_b32 s31, s24
	;; [unrolled: 1-line block ×7, first 2 shown]
	v_dual_mov_b32 v9, s24 :: v_dual_mov_b32 v10, s25
	v_dual_mov_b32 v15, s30 :: v_dual_mov_b32 v16, s31
	;; [unrolled: 1-line block ×4, first 2 shown]
	s_delay_alu instid0(VALU_DEP_3) | instskip(NEXT) | instid1(VALU_DEP_3)
	v_dual_mov_b32 v24, v16 :: v_dual_mov_b32 v23, v15
	v_dual_mov_b32 v20, v12 :: v_dual_mov_b32 v19, v11
	s_delay_alu instid0(VALU_DEP_3)
	v_dual_mov_b32 v22, v14 :: v_dual_mov_b32 v21, v13
	v_dual_mov_b32 v18, v10 :: v_dual_mov_b32 v17, v9
	s_and_saveexec_b32 s25, s3
	s_cbranch_execnz .LBB168_42
; %bb.31:                               ;   in Loop: Header=BB168_3 Depth=1
	s_or_b32 exec_lo, exec_lo, s25
	s_and_saveexec_b32 s25, s3
	s_cbranch_execnz .LBB168_43
.LBB168_32:                             ;   in Loop: Header=BB168_3 Depth=1
	s_or_b32 exec_lo, exec_lo, s25
	s_and_saveexec_b32 s25, s3
	s_cbranch_execnz .LBB168_44
.LBB168_33:                             ;   in Loop: Header=BB168_3 Depth=1
	s_or_b32 exec_lo, exec_lo, s25
	s_and_saveexec_b32 s25, s3
	s_cbranch_execnz .LBB168_45
.LBB168_34:                             ;   in Loop: Header=BB168_3 Depth=1
	s_or_b32 exec_lo, exec_lo, s25
	s_and_saveexec_b32 s25, s3
	s_cbranch_execnz .LBB168_46
.LBB168_35:                             ;   in Loop: Header=BB168_3 Depth=1
	s_or_b32 exec_lo, exec_lo, s25
	s_and_saveexec_b32 s25, s3
	s_cbranch_execnz .LBB168_47
.LBB168_36:                             ;   in Loop: Header=BB168_3 Depth=1
	s_or_b32 exec_lo, exec_lo, s25
	s_and_saveexec_b32 s25, s3
	s_cbranch_execnz .LBB168_48
.LBB168_37:                             ;   in Loop: Header=BB168_3 Depth=1
	s_or_b32 exec_lo, exec_lo, s25
	s_and_saveexec_b32 s25, s3
	s_cbranch_execz .LBB168_39
.LBB168_38:                             ;   in Loop: Header=BB168_3 Depth=1
	v_add_co_u32 v3, vcc_lo, v33, v25
	v_add_co_ci_u32_e32 v4, vcc_lo, v34, v26, vcc_lo
	v_add_co_u32 v5, vcc_lo, v35, v25
	v_add_co_ci_u32_e32 v6, vcc_lo, v36, v26, vcc_lo
	global_load_u16 v1, v[3:4], off
	global_load_u16 v3, v[5:6], off
	s_waitcnt vmcnt(1)
	v_cvt_f32_f16_e32 v24, v1
	s_waitcnt vmcnt(0)
	v_cvt_f32_f16_e32 v16, v3
.LBB168_39:                             ;   in Loop: Header=BB168_3 Depth=1
	s_or_b32 exec_lo, exec_lo, s25
	s_waitcnt vmcnt(0)
	ds_bpermute_b32 v1, v2, v66
	ds_bpermute_b32 v3, v2, v66 offset:4
	ds_bpermute_b32 v4, v2, v66 offset:8
	v_mul_f32_e32 v5, v9, v17
	ds_bpermute_b32 v6, v2, v66 offset:12
	v_mul_f32_e32 v7, v10, v18
	ds_bpermute_b32 v8, v2, v66 offset:16
	s_waitcnt lgkmcnt(4)
	v_fmac_f32_e32 v65, v5, v1
	v_mul_f32_e32 v1, v11, v19
	ds_bpermute_b32 v5, v2, v66 offset:20
	s_waitcnt lgkmcnt(4)
	v_fmac_f32_e32 v65, v7, v3
	v_mul_f32_e32 v3, v12, v20
	s_waitcnt lgkmcnt(3)
	s_delay_alu instid0(VALU_DEP_2)
	v_fmac_f32_e32 v65, v1, v4
	ds_bpermute_b32 v4, v2, v66 offset:24
	v_mul_f32_e32 v1, v13, v21
	s_waitcnt lgkmcnt(3)
	v_fmac_f32_e32 v65, v3, v6
	v_mul_f32_e32 v3, v14, v22
	s_waitcnt lgkmcnt(2)
	s_delay_alu instid0(VALU_DEP_2)
	v_fmac_f32_e32 v65, v1, v8
	ds_bpermute_b32 v1, v2, v66 offset:28
	s_waitcnt lgkmcnt(2)
	v_fmac_f32_e32 v65, v3, v5
	v_mul_f32_e32 v3, v15, v23
	s_waitcnt lgkmcnt(1)
	s_delay_alu instid0(VALU_DEP_1) | instskip(NEXT) | instid1(VALU_DEP_1)
	v_fmac_f32_e32 v65, v3, v4
	v_mov_b32_e32 v3, v65
.LBB168_40:                             ;   in Loop: Header=BB168_3 Depth=1
	v_add_co_u32 v33, vcc_lo, v33, s8
	v_add_co_ci_u32_e32 v34, vcc_lo, s9, v34, vcc_lo
	v_add_co_u32 v35, vcc_lo, v35, s8
	v_add_co_ci_u32_e32 v36, vcc_lo, s9, v36, vcc_lo
	;; [unrolled: 2-line block ×14, first 2 shown]
	v_add_co_u32 v30, vcc_lo, v30, s36
	s_add_u32 s10, s10, s36
	v_add_co_ci_u32_e32 v32, vcc_lo, 0, v32, vcc_lo
	v_mul_f32_e32 v4, v24, v16
	s_addc_u32 s11, s11, 0
	v_add_co_u32 v61, vcc_lo, v61, s8
	v_add_co_ci_u32_e32 v62, vcc_lo, s9, v62, vcc_lo
	v_cmp_lt_i64_e64 s25, s[10:11], s[16:17]
	v_add_co_u32 v63, vcc_lo, v63, s8
	s_waitcnt lgkmcnt(0)
	v_fmac_f32_e32 v3, v4, v1
	v_add_co_ci_u32_e32 v64, vcc_lo, s9, v64, vcc_lo
	s_add_u32 s4, s4, s36
	s_addc_u32 s5, s5, 0
	s_and_b32 vcc_lo, exec_lo, s25
	s_cbranch_vccz .LBB168_50
; %bb.41:                               ;   in Loop: Header=BB168_3 Depth=1
	v_mov_b32_e32 v65, v3
	s_branch .LBB168_3
.LBB168_42:                             ;   in Loop: Header=BB168_3 Depth=1
	v_add_co_u32 v3, vcc_lo, v61, v25
	v_add_co_ci_u32_e32 v4, vcc_lo, v62, v26, vcc_lo
	v_add_co_u32 v5, vcc_lo, v63, v25
	v_add_co_ci_u32_e32 v6, vcc_lo, v64, v26, vcc_lo
	v_mov_b32_e32 v8, v2
	global_load_u16 v1, v[3:4], off
	global_load_u16 v9, v[5:6], off
	v_mov_b32_e32 v3, v2
	v_mov_b32_e32 v4, v2
	;; [unrolled: 1-line block ×6, first 2 shown]
	s_waitcnt vmcnt(1)
	v_cvt_f32_f16_e32 v1, v1
	v_dual_mov_b32 v11, v2 :: v_dual_mov_b32 v24, v8
	v_dual_mov_b32 v10, v2 :: v_dual_mov_b32 v23, v7
	s_waitcnt vmcnt(0)
	v_cvt_f32_f16_e32 v9, v9
	v_dual_mov_b32 v12, v2 :: v_dual_mov_b32 v21, v5
	v_dual_mov_b32 v13, v2 :: v_dual_mov_b32 v20, v4
	;; [unrolled: 1-line block ×4, first 2 shown]
	v_mov_b32_e32 v22, v6
	v_mov_b32_e32 v18, v2
	s_or_b32 exec_lo, exec_lo, s25
	s_and_saveexec_b32 s25, s3
	s_cbranch_execz .LBB168_32
.LBB168_43:                             ;   in Loop: Header=BB168_3 Depth=1
	v_add_co_u32 v3, vcc_lo, v57, v25
	v_add_co_ci_u32_e32 v4, vcc_lo, v58, v26, vcc_lo
	v_add_co_u32 v5, vcc_lo, v59, v25
	v_add_co_ci_u32_e32 v6, vcc_lo, v60, v26, vcc_lo
	global_load_u16 v1, v[3:4], off
	global_load_u16 v3, v[5:6], off
	s_waitcnt vmcnt(1)
	v_cvt_f32_f16_e32 v18, v1
	s_waitcnt vmcnt(0)
	v_cvt_f32_f16_e32 v10, v3
	s_or_b32 exec_lo, exec_lo, s25
	s_and_saveexec_b32 s25, s3
	s_cbranch_execz .LBB168_33
.LBB168_44:                             ;   in Loop: Header=BB168_3 Depth=1
	v_add_co_u32 v3, vcc_lo, v53, v25
	v_add_co_ci_u32_e32 v4, vcc_lo, v54, v26, vcc_lo
	v_add_co_u32 v5, vcc_lo, v55, v25
	v_add_co_ci_u32_e32 v6, vcc_lo, v56, v26, vcc_lo
	global_load_u16 v1, v[3:4], off
	global_load_u16 v3, v[5:6], off
	s_waitcnt vmcnt(1)
	v_cvt_f32_f16_e32 v19, v1
	s_waitcnt vmcnt(0)
	v_cvt_f32_f16_e32 v11, v3
	s_or_b32 exec_lo, exec_lo, s25
	s_and_saveexec_b32 s25, s3
	s_cbranch_execz .LBB168_34
.LBB168_45:                             ;   in Loop: Header=BB168_3 Depth=1
	v_add_co_u32 v3, vcc_lo, v49, v25
	v_add_co_ci_u32_e32 v4, vcc_lo, v50, v26, vcc_lo
	v_add_co_u32 v5, vcc_lo, v51, v25
	v_add_co_ci_u32_e32 v6, vcc_lo, v52, v26, vcc_lo
	global_load_u16 v1, v[3:4], off
	global_load_u16 v3, v[5:6], off
	s_waitcnt vmcnt(1)
	v_cvt_f32_f16_e32 v20, v1
	s_waitcnt vmcnt(0)
	v_cvt_f32_f16_e32 v12, v3
	s_or_b32 exec_lo, exec_lo, s25
	s_and_saveexec_b32 s25, s3
	s_cbranch_execz .LBB168_35
.LBB168_46:                             ;   in Loop: Header=BB168_3 Depth=1
	v_add_co_u32 v3, vcc_lo, v45, v25
	v_add_co_ci_u32_e32 v4, vcc_lo, v46, v26, vcc_lo
	v_add_co_u32 v5, vcc_lo, v47, v25
	v_add_co_ci_u32_e32 v6, vcc_lo, v48, v26, vcc_lo
	global_load_u16 v1, v[3:4], off
	global_load_u16 v3, v[5:6], off
	s_waitcnt vmcnt(1)
	v_cvt_f32_f16_e32 v21, v1
	s_waitcnt vmcnt(0)
	v_cvt_f32_f16_e32 v13, v3
	s_or_b32 exec_lo, exec_lo, s25
	s_and_saveexec_b32 s25, s3
	s_cbranch_execz .LBB168_36
.LBB168_47:                             ;   in Loop: Header=BB168_3 Depth=1
	v_add_co_u32 v3, vcc_lo, v41, v25
	v_add_co_ci_u32_e32 v4, vcc_lo, v42, v26, vcc_lo
	v_add_co_u32 v5, vcc_lo, v43, v25
	v_add_co_ci_u32_e32 v6, vcc_lo, v44, v26, vcc_lo
	global_load_u16 v1, v[3:4], off
	global_load_u16 v3, v[5:6], off
	s_waitcnt vmcnt(1)
	v_cvt_f32_f16_e32 v22, v1
	s_waitcnt vmcnt(0)
	v_cvt_f32_f16_e32 v14, v3
	s_or_b32 exec_lo, exec_lo, s25
	s_and_saveexec_b32 s25, s3
	s_cbranch_execz .LBB168_37
.LBB168_48:                             ;   in Loop: Header=BB168_3 Depth=1
	v_add_co_u32 v3, vcc_lo, v37, v25
	v_add_co_ci_u32_e32 v4, vcc_lo, v38, v26, vcc_lo
	v_add_co_u32 v5, vcc_lo, v39, v25
	v_add_co_ci_u32_e32 v6, vcc_lo, v40, v26, vcc_lo
	global_load_u16 v1, v[3:4], off
	global_load_u16 v3, v[5:6], off
	s_waitcnt vmcnt(1)
	v_cvt_f32_f16_e32 v23, v1
	s_waitcnt vmcnt(0)
	v_cvt_f32_f16_e32 v15, v3
	s_or_b32 exec_lo, exec_lo, s25
	s_and_saveexec_b32 s25, s3
	s_cbranch_execnz .LBB168_38
	s_branch .LBB168_39
.LBB168_49:
                                        ; implicit-def: $vgpr3
	s_load_b64 s[24:25], s[0:1], 0x30
	s_branch .LBB168_51
.LBB168_50:
	s_load_b64 s[24:25], s[0:1], 0x30
	s_cbranch_execnz .LBB168_83
.LBB168_51:
	v_mov_b32_e32 v3, 0
	s_and_not1_b32 vcc_lo, exec_lo, s33
	s_cbranch_vccnz .LBB168_83
; %bb.52:
	v_bfe_u32 v57, v0, 10, 10
	v_mov_b32_e32 v2, 0
	s_add_u32 s26, s0, 64
	s_addc_u32 s27, s1, 0
	s_lshl_b64 s[6:7], s[34:35], 1
	v_lshlrev_b32_e32 v3, 4, v57
	s_load_b32 s3, s[0:1], 0x44
	v_dual_mov_b32 v93, 0 :: v_dual_and_b32 v58, 0x3ff, v0
	v_mov_b32_e32 v60, v2
	s_delay_alu instid0(VALU_DEP_3) | instskip(NEXT) | instid1(VALU_DEP_1)
	v_add_co_u32 v3, s5, v3, s6
	v_add_co_ci_u32_e64 v4, null, 0, s7, s5
	s_delay_alu instid0(VALU_DEP_4) | instskip(NEXT) | instid1(VALU_DEP_3)
	v_add_nc_u32_e32 v1, s15, v58
	v_add_co_u32 v7, vcc_lo, v3, 2
	s_delay_alu instid0(VALU_DEP_3) | instskip(NEXT) | instid1(VALU_DEP_3)
	v_add_co_ci_u32_e32 v5, vcc_lo, 0, v4, vcc_lo
	v_lshlrev_b64 v[27:28], 1, v[1:2]
	v_add_co_u32 v1, vcc_lo, v3, 4
	s_delay_alu instid0(VALU_DEP_3) | instskip(SKIP_3) | instid1(VALU_DEP_3)
	v_mul_lo_u32 v8, s18, v5
	v_add_co_ci_u32_e32 v5, vcc_lo, 0, v4, vcc_lo
	v_add_co_u32 v11, vcc_lo, v3, 6
	v_lshlrev_b32_e32 v59, 3, v57
	v_mul_lo_u32 v10, s18, v5
	v_add_co_ci_u32_e32 v5, vcc_lo, 0, v4, vcc_lo
	v_add_co_u32 v13, vcc_lo, v3, 8
	s_waitcnt lgkmcnt(0)
	s_lshl_b32 s15, s3, 3
	v_add_co_ci_u32_e32 v6, vcc_lo, 0, v4, vcc_lo
	v_add_co_u32 v17, vcc_lo, v3, 10
	s_mul_i32 s3, s19, s15
	s_mul_hi_u32 s5, s18, s15
	v_mul_lo_u32 v14, s18, v5
	v_add_co_ci_u32_e32 v5, vcc_lo, 0, v4, vcc_lo
	s_add_i32 s7, s5, s3
	v_add_co_u32 v19, vcc_lo, v3, 12
	v_add_co_u32 v24, s3, v59, s34
	v_mul_lo_u32 v16, s18, v6
	v_add_co_ci_u32_e32 v6, vcc_lo, 0, v4, vcc_lo
	v_add_co_ci_u32_e64 v55, null, 0, 0, s3
	v_add_co_u32 v56, vcc_lo, v3, 14
	v_mul_lo_u32 v20, s18, v5
	s_delay_alu instid0(VALU_DEP_4) | instskip(SKIP_4) | instid1(VALU_DEP_4)
	v_mul_lo_u32 v22, s18, v6
	v_add_co_ci_u32_e32 v5, vcc_lo, 0, v4, vcc_lo
	v_mul_lo_u32 v6, s19, v24
	v_mul_lo_u32 v41, s18, v55
	v_mad_u64_u32 v[3:4], null, s18, v24, 0
	v_mul_lo_u32 v63, s18, v5
	v_mad_u64_u32 v[25:26], null, s18, v7, s[20:21]
	;; [unrolled: 2-line block ×3, first 2 shown]
	v_add3_u32 v4, v4, v41, v6
	v_mul_lo_u32 v12, s19, v1
	v_mad_u64_u32 v[41:42], null, s18, v7, s[22:23]
	v_mad_u64_u32 v[43:44], null, s18, v1, s[22:23]
	s_delay_alu instid0(VALU_DEP_4) | instskip(SKIP_3) | instid1(VALU_DEP_4)
	v_lshlrev_b64 v[5:6], 1, v[3:4]
	v_mad_u64_u32 v[31:32], null, s18, v11, s[20:21]
	v_mul_lo_u32 v15, s19, v11
	v_mad_u64_u32 v[45:46], null, s18, v11, s[22:23]
	v_add_co_u32 v61, vcc_lo, s20, v5
	v_add_co_ci_u32_e32 v62, vcc_lo, s21, v6, vcc_lo
	v_add_co_u32 v1, vcc_lo, v24, 7
	v_add_co_ci_u32_e32 v7, vcc_lo, 0, v55, vcc_lo
	v_mad_u64_u32 v[33:34], null, s18, v13, s[20:21]
	v_mul_lo_u32 v18, s19, v13
	v_mad_u64_u32 v[47:48], null, s18, v13, s[22:23]
	v_add_co_u32 v13, vcc_lo, v24, 6
	v_add3_u32 v26, v9, v26, v8
	v_add3_u32 v30, v12, v30, v10
	;; [unrolled: 1-line block ×4, first 2 shown]
	v_mul_lo_u32 v11, s19, v1
	v_mul_lo_u32 v12, s18, v7
	v_mad_u64_u32 v[7:8], null, s18, v1, 0
	v_add_co_ci_u32_e32 v9, vcc_lo, 0, v55, vcc_lo
	v_mad_u64_u32 v[39:40], null, s18, v56, s[20:21]
	v_mul_lo_u32 v64, s19, v56
	v_mad_u64_u32 v[53:54], null, s18, v56, s[22:23]
	v_add3_u32 v32, v15, v32, v14
	v_add3_u32 v46, v15, v46, v14
	v_mul_lo_u32 v1, s19, v13
	v_mul_lo_u32 v14, s18, v9
	v_mad_u64_u32 v[9:10], null, s18, v13, 0
	v_add3_u32 v8, v8, v12, v11
	v_add3_u32 v40, v64, v40, v63
	;; [unrolled: 1-line block ×3, first 2 shown]
	v_add_co_u32 v63, vcc_lo, s22, v5
	v_add_co_ci_u32_e32 v64, vcc_lo, s23, v6, vcc_lo
	v_lshlrev_b64 v[5:6], 1, v[7:8]
	v_add3_u32 v10, v10, v14, v1
	v_add_co_u32 v1, vcc_lo, v24, 5
	v_add_co_ci_u32_e32 v11, vcc_lo, 0, v55, vcc_lo
	s_delay_alu instid0(VALU_DEP_4) | instskip(NEXT) | instid1(VALU_DEP_4)
	v_add_co_u32 v65, vcc_lo, s20, v5
	v_lshlrev_b64 v[7:8], 1, v[9:10]
	v_add_co_ci_u32_e32 v66, vcc_lo, s21, v6, vcc_lo
	v_mul_lo_u32 v12, s19, v1
	v_mul_lo_u32 v11, s18, v11
	v_mad_u64_u32 v[9:10], null, s18, v1, 0
	v_add_co_u32 v67, vcc_lo, s22, v5
	v_add_co_ci_u32_e32 v68, vcc_lo, s23, v6, vcc_lo
	v_add_co_u32 v69, vcc_lo, s20, v7
	v_add_co_ci_u32_e32 v70, vcc_lo, s21, v8, vcc_lo
	v_add_co_u32 v1, vcc_lo, v24, 4
	v_add3_u32 v10, v10, v11, v12
	v_add_co_u32 v71, s3, s22, v7
	v_add_co_ci_u32_e32 v7, vcc_lo, 0, v55, vcc_lo
	v_add_co_u32 v12, vcc_lo, v24, 3
	s_delay_alu instid0(VALU_DEP_4)
	v_lshlrev_b64 v[5:6], 1, v[9:10]
	v_add_co_ci_u32_e32 v9, vcc_lo, 0, v55, vcc_lo
	v_add_co_ci_u32_e64 v72, s3, s23, v8, s3
	v_mul_lo_u32 v11, s19, v1
	v_mul_lo_u32 v13, s18, v7
	v_mad_u64_u32 v[7:8], null, s18, v1, 0
	v_mul_lo_u32 v1, s19, v12
	v_mul_lo_u32 v14, s18, v9
	v_mad_u64_u32 v[9:10], null, s18, v12, 0
	v_add_co_u32 v73, vcc_lo, s20, v5
	v_add_co_ci_u32_e32 v74, vcc_lo, s21, v6, vcc_lo
	v_add3_u32 v8, v8, v13, v11
	v_add_co_u32 v75, vcc_lo, s22, v5
	v_add_co_ci_u32_e32 v76, vcc_lo, s23, v6, vcc_lo
	v_add3_u32 v10, v10, v14, v1
	v_add_co_u32 v1, vcc_lo, v24, 2
	v_lshlrev_b64 v[5:6], 1, v[7:8]
	v_add_co_ci_u32_e32 v11, vcc_lo, 0, v55, vcc_lo
	s_delay_alu instid0(VALU_DEP_4) | instskip(NEXT) | instid1(VALU_DEP_4)
	v_lshlrev_b64 v[7:8], 1, v[9:10]
	v_mul_lo_u32 v12, s19, v1
	v_mad_u64_u32 v[9:10], null, s18, v1, 0
	v_add_co_u32 v77, vcc_lo, s20, v5
	v_mul_lo_u32 v11, s18, v11
	v_add_co_ci_u32_e32 v78, vcc_lo, s21, v6, vcc_lo
	v_add_co_u32 v79, vcc_lo, s22, v5
	v_add_co_ci_u32_e32 v80, vcc_lo, s23, v6, vcc_lo
	v_add_co_u32 v81, vcc_lo, s20, v7
	v_add_co_ci_u32_e32 v82, vcc_lo, s21, v8, vcc_lo
	v_add3_u32 v10, v10, v11, v12
	v_add_co_u32 v83, vcc_lo, s22, v7
	v_add_co_ci_u32_e32 v84, vcc_lo, s23, v8, vcc_lo
	v_add_co_u32 v3, vcc_lo, v3, s18
	s_delay_alu instid0(VALU_DEP_4) | instskip(SKIP_3) | instid1(VALU_DEP_4)
	v_lshlrev_b64 v[5:6], 1, v[9:10]
	v_add_co_ci_u32_e32 v4, vcc_lo, s19, v4, vcc_lo
	v_mad_u64_u32 v[35:36], null, s18, v17, s[20:21]
	v_mul_lo_u32 v21, s19, v17
	v_add_co_u32 v85, vcc_lo, s20, v5
	s_delay_alu instid0(VALU_DEP_4)
	v_lshlrev_b64 v[3:4], 1, v[3:4]
	v_add_co_ci_u32_e32 v86, vcc_lo, s21, v6, vcc_lo
	v_mad_u64_u32 v[37:38], null, s18, v19, s[20:21]
	v_mul_lo_u32 v23, s19, v19
	v_mad_u64_u32 v[49:50], null, s18, v17, s[22:23]
	v_mad_u64_u32 v[51:52], null, s18, v19, s[22:23]
	v_add_co_u32 v87, vcc_lo, s22, v5
	v_add_co_ci_u32_e32 v88, vcc_lo, s23, v6, vcc_lo
	v_add_co_u32 v89, vcc_lo, s20, v3
	v_add_co_ci_u32_e32 v90, vcc_lo, s21, v4, vcc_lo
	v_add_co_u32 v91, vcc_lo, s22, v3
	v_add3_u32 v34, v18, v34, v16
	v_add3_u32 v36, v21, v36, v20
	;; [unrolled: 1-line block ×6, first 2 shown]
	v_add_co_ci_u32_e32 v92, vcc_lo, s23, v4, vcc_lo
	s_mul_i32 s6, s18, s15
	s_mov_b32 s4, 0
	s_lshl_b64 s[20:21], s[6:7], 1
	s_mov_b64 s[22:23], 7
	s_mov_b64 s[28:29], s[34:35]
.LBB168_53:                             ; =>This Inner Loop Header: Depth=1
	s_add_u32 s6, s34, s22
	s_addc_u32 s7, 0, s23
	v_add_co_u32 v55, vcc_lo, s34, v59
	v_cmp_ge_i64_e64 s3, s[6:7], s[16:17]
	v_add_co_ci_u32_e32 v56, vcc_lo, 0, v60, vcc_lo
	s_delay_alu instid0(VALU_DEP_2)
	s_and_b32 vcc_lo, exec_lo, s3
	s_cbranch_vccz .LBB168_75
; %bb.54:                               ;   in Loop: Header=BB168_53 Depth=1
	s_load_b32 s3, s[26:27], 0xc
	v_mov_b32_e32 v94, 0
	s_waitcnt lgkmcnt(0)
	s_and_b32 s3, s3, 0xffff
	s_delay_alu instid0(SALU_CYCLE_1) | instskip(SKIP_1) | instid1(VALU_DEP_1)
	v_mad_u32_u24 v1, v57, s3, v58
	s_mov_b32 s3, exec_lo
	v_and_b32_e32 v1, 31, v1
	s_delay_alu instid0(VALU_DEP_1)
	v_cmpx_gt_u32_e32 8, v1
	s_cbranch_execz .LBB168_58
; %bb.55:                               ;   in Loop: Header=BB168_53 Depth=1
	v_add_co_u32 v3, vcc_lo, v55, v1
	v_add_co_ci_u32_e32 v4, vcc_lo, 0, v56, vcc_lo
	v_mov_b32_e32 v94, 0
	s_mov_b32 s5, exec_lo
	s_delay_alu instid0(VALU_DEP_2)
	v_cmpx_gt_i64_e64 s[16:17], v[3:4]
	s_cbranch_execz .LBB168_57
; %bb.56:                               ;   in Loop: Header=BB168_53 Depth=1
	v_lshlrev_b64 v[3:4], 2, v[3:4]
	s_delay_alu instid0(VALU_DEP_1) | instskip(NEXT) | instid1(VALU_DEP_2)
	v_add_co_u32 v3, vcc_lo, s12, v3
	v_add_co_ci_u32_e32 v4, vcc_lo, s13, v4, vcc_lo
	global_load_b32 v94, v[3:4], off
.LBB168_57:                             ;   in Loop: Header=BB168_53 Depth=1
	s_or_b32 exec_lo, exec_lo, s5
.LBB168_58:                             ;   in Loop: Header=BB168_53 Depth=1
	s_delay_alu instid0(SALU_CYCLE_1)
	s_or_b32 exec_lo, exec_lo, s3
	s_mov_b32 s11, s4
	s_mov_b32 s5, s4
	;; [unrolled: 1-line block ×7, first 2 shown]
	s_delay_alu instid0(SALU_CYCLE_1) | instskip(SKIP_3) | instid1(VALU_DEP_4)
	v_dual_mov_b32 v16, s11 :: v_dual_mov_b32 v15, s10
	v_dual_mov_b32 v14, s9 :: v_dual_mov_b32 v13, s8
	;; [unrolled: 1-line block ×5, first 2 shown]
	s_delay_alu instid0(VALU_DEP_4) | instskip(NEXT) | instid1(VALU_DEP_4)
	v_dual_mov_b32 v22, v14 :: v_dual_mov_b32 v21, v13
	v_dual_mov_b32 v20, v12 :: v_dual_mov_b32 v19, v11
	s_delay_alu instid0(VALU_DEP_4)
	v_dual_mov_b32 v18, v10 :: v_dual_mov_b32 v17, v9
	s_mov_b32 s3, exec_lo
	v_cmpx_gt_i64_e64 s[16:17], v[55:56]
	s_cbranch_execz .LBB168_60
; %bb.59:                               ;   in Loop: Header=BB168_53 Depth=1
	v_add_co_u32 v3, vcc_lo, v61, v27
	v_add_co_ci_u32_e32 v4, vcc_lo, v62, v28, vcc_lo
	v_add_co_u32 v5, vcc_lo, v63, v27
	v_add_co_ci_u32_e32 v6, vcc_lo, v64, v28, vcc_lo
	v_mov_b32_e32 v8, v2
	global_load_u16 v1, v[3:4], off
	global_load_u16 v9, v[5:6], off
	v_mov_b32_e32 v3, v2
	v_mov_b32_e32 v4, v2
	v_mov_b32_e32 v5, v2
	v_mov_b32_e32 v6, v2
	v_mov_b32_e32 v7, v2
	v_mov_b32_e32 v15, v2
	s_waitcnt vmcnt(1)
	v_cvt_f32_f16_e32 v1, v1
	v_dual_mov_b32 v11, v2 :: v_dual_mov_b32 v24, v8
	v_dual_mov_b32 v10, v2 :: v_dual_mov_b32 v23, v7
	s_waitcnt vmcnt(0)
	v_cvt_f32_f16_e32 v9, v9
	v_dual_mov_b32 v12, v2 :: v_dual_mov_b32 v21, v5
	v_dual_mov_b32 v13, v2 :: v_dual_mov_b32 v20, v4
	;; [unrolled: 1-line block ×4, first 2 shown]
	v_mov_b32_e32 v22, v6
	v_mov_b32_e32 v18, v2
.LBB168_60:                             ;   in Loop: Header=BB168_53 Depth=1
	s_or_b32 exec_lo, exec_lo, s3
	v_add_co_u32 v3, vcc_lo, v55, 1
	v_add_co_ci_u32_e32 v4, vcc_lo, 0, v56, vcc_lo
	s_mov_b32 s3, exec_lo
	s_delay_alu instid0(VALU_DEP_1)
	v_cmpx_gt_i64_e64 s[16:17], v[3:4]
	s_cbranch_execz .LBB168_62
; %bb.61:                               ;   in Loop: Header=BB168_53 Depth=1
	v_add_co_u32 v3, vcc_lo, v89, v27
	v_add_co_ci_u32_e32 v4, vcc_lo, v90, v28, vcc_lo
	v_add_co_u32 v5, vcc_lo, v91, v27
	v_add_co_ci_u32_e32 v6, vcc_lo, v92, v28, vcc_lo
	global_load_u16 v1, v[3:4], off
	global_load_u16 v3, v[5:6], off
	s_waitcnt vmcnt(1)
	v_cvt_f32_f16_e32 v18, v1
	s_waitcnt vmcnt(0)
	v_cvt_f32_f16_e32 v10, v3
.LBB168_62:                             ;   in Loop: Header=BB168_53 Depth=1
	s_or_b32 exec_lo, exec_lo, s3
	v_add_co_u32 v3, vcc_lo, v55, 2
	v_add_co_ci_u32_e32 v4, vcc_lo, 0, v56, vcc_lo
	s_mov_b32 s3, exec_lo
	s_delay_alu instid0(VALU_DEP_1)
	v_cmpx_gt_i64_e64 s[16:17], v[3:4]
	s_cbranch_execz .LBB168_64
; %bb.63:                               ;   in Loop: Header=BB168_53 Depth=1
	v_add_co_u32 v3, vcc_lo, v85, v27
	v_add_co_ci_u32_e32 v4, vcc_lo, v86, v28, vcc_lo
	v_add_co_u32 v5, vcc_lo, v87, v27
	v_add_co_ci_u32_e32 v6, vcc_lo, v88, v28, vcc_lo
	global_load_u16 v1, v[3:4], off
	global_load_u16 v3, v[5:6], off
	s_waitcnt vmcnt(1)
	v_cvt_f32_f16_e32 v19, v1
	s_waitcnt vmcnt(0)
	v_cvt_f32_f16_e32 v11, v3
.LBB168_64:                             ;   in Loop: Header=BB168_53 Depth=1
	;; [unrolled: 19-line block ×7, first 2 shown]
	s_or_b32 exec_lo, exec_lo, s3
	s_waitcnt vmcnt(0)
	ds_bpermute_b32 v1, v2, v94
	ds_bpermute_b32 v4, v2, v94 offset:4
	ds_bpermute_b32 v5, v2, v94 offset:8
	v_mul_f32_e32 v3, v9, v17
	ds_bpermute_b32 v6, v2, v94 offset:12
	v_mul_f32_e32 v7, v10, v18
	ds_bpermute_b32 v8, v2, v94 offset:16
	ds_bpermute_b32 v9, v2, v94 offset:20
	s_waitcnt lgkmcnt(5)
	v_fma_f32 v3, v3, v1, v93
	v_mul_f32_e32 v1, v11, v19
	s_waitcnt lgkmcnt(4)
	s_delay_alu instid0(VALU_DEP_2)
	v_fmac_f32_e32 v3, v7, v4
	v_mul_f32_e32 v4, v12, v20
	ds_bpermute_b32 v7, v2, v94 offset:24
	s_waitcnt lgkmcnt(4)
	v_fmac_f32_e32 v3, v1, v5
	v_mul_f32_e32 v1, v13, v21
	v_mul_f32_e32 v5, v14, v22
	s_waitcnt lgkmcnt(3)
	s_delay_alu instid0(VALU_DEP_3)
	v_fmac_f32_e32 v3, v4, v6
	ds_bpermute_b32 v4, v2, v94 offset:28
	s_waitcnt lgkmcnt(3)
	v_fmac_f32_e32 v3, v1, v8
	v_mul_f32_e32 v1, v15, v23
	s_waitcnt lgkmcnt(2)
	s_delay_alu instid0(VALU_DEP_2) | instskip(SKIP_1) | instid1(VALU_DEP_1)
	v_fmac_f32_e32 v3, v5, v9
	s_waitcnt lgkmcnt(1)
	v_fmac_f32_e32 v3, v1, v7
	v_mul_f32_e32 v1, v16, v24
	s_waitcnt lgkmcnt(0)
	s_delay_alu instid0(VALU_DEP_1)
	v_fmac_f32_e32 v3, v1, v4
	s_branch .LBB168_81
.LBB168_75:                             ;   in Loop: Header=BB168_53 Depth=1
                                        ; implicit-def: $vgpr3
	s_cbranch_execz .LBB168_81
; %bb.76:                               ;   in Loop: Header=BB168_53 Depth=1
	s_load_b32 s3, s[26:27], 0x0
	s_waitcnt lgkmcnt(0)
	s_cmp_lt_u32 s14, s3
	s_cselect_b32 s3, 12, 18
	s_delay_alu instid0(SALU_CYCLE_1)
	s_add_u32 s6, s26, s3
	s_addc_u32 s7, s27, 0
	s_mov_b32 s3, exec_lo
	global_load_u16 v1, v2, s[6:7]
	s_waitcnt vmcnt(0)
	v_mad_u32_u24 v1, v57, v1, v58
	s_delay_alu instid0(VALU_DEP_1) | instskip(SKIP_1) | instid1(VALU_DEP_2)
	v_and_b32_e32 v3, 31, v1
	v_mov_b32_e32 v1, 0
	v_cmpx_gt_u32_e32 8, v3
	s_cbranch_execz .LBB168_80
; %bb.77:                               ;   in Loop: Header=BB168_53 Depth=1
	v_add_co_u32 v3, vcc_lo, v55, v3
	v_add_co_ci_u32_e32 v4, vcc_lo, 0, v56, vcc_lo
	v_mov_b32_e32 v1, 0
	s_mov_b32 s5, exec_lo
	s_delay_alu instid0(VALU_DEP_2)
	v_cmpx_gt_i64_e64 s[16:17], v[3:4]
	s_cbranch_execz .LBB168_79
; %bb.78:                               ;   in Loop: Header=BB168_53 Depth=1
	v_lshlrev_b64 v[3:4], 2, v[3:4]
	s_delay_alu instid0(VALU_DEP_1) | instskip(NEXT) | instid1(VALU_DEP_2)
	v_add_co_u32 v3, vcc_lo, s12, v3
	v_add_co_ci_u32_e32 v4, vcc_lo, s13, v4, vcc_lo
	global_load_b32 v1, v[3:4], off
.LBB168_79:                             ;   in Loop: Header=BB168_53 Depth=1
	s_or_b32 exec_lo, exec_lo, s5
.LBB168_80:                             ;   in Loop: Header=BB168_53 Depth=1
	s_delay_alu instid0(SALU_CYCLE_1)
	s_or_b32 exec_lo, exec_lo, s3
	v_add_co_u32 v3, vcc_lo, v61, v27
	v_add_co_ci_u32_e32 v4, vcc_lo, v62, v28, vcc_lo
	v_add_co_u32 v5, vcc_lo, v63, v27
	v_add_co_ci_u32_e32 v6, vcc_lo, v64, v28, vcc_lo
	;; [unrolled: 2-line block ×5, first 2 shown]
	global_load_u16 v13, v[3:4], off
	global_load_u16 v14, v[5:6], off
	;; [unrolled: 1-line block ×5, first 2 shown]
	v_add_co_u32 v3, vcc_lo, v43, v27
	v_add_co_ci_u32_e32 v4, vcc_lo, v44, v28, vcc_lo
	v_add_co_u32 v5, vcc_lo, v31, v27
	v_add_co_ci_u32_e32 v6, vcc_lo, v32, v28, vcc_lo
	;; [unrolled: 2-line block ×5, first 2 shown]
	global_load_u16 v18, v[3:4], off
	global_load_u16 v19, v[5:6], off
	;; [unrolled: 1-line block ×5, first 2 shown]
	v_add_co_u32 v3, vcc_lo, v35, v27
	v_add_co_ci_u32_e32 v4, vcc_lo, v36, v28, vcc_lo
	v_add_co_u32 v5, vcc_lo, v49, v27
	v_add_co_ci_u32_e32 v6, vcc_lo, v50, v28, vcc_lo
	;; [unrolled: 2-line block ×4, first 2 shown]
	global_load_u16 v12, v[3:4], off
	global_load_u16 v22, v[5:6], off
	;; [unrolled: 1-line block ×4, first 2 shown]
	v_add_co_u32 v3, vcc_lo, v39, v27
	v_add_co_ci_u32_e32 v4, vcc_lo, v40, v28, vcc_lo
	v_add_co_u32 v5, vcc_lo, v53, v27
	v_add_co_ci_u32_e32 v6, vcc_lo, v54, v28, vcc_lo
	global_load_u16 v3, v[3:4], off
	global_load_u16 v4, v[5:6], off
	s_waitcnt vmcnt(16)
	ds_bpermute_b32 v5, v2, v1
	ds_bpermute_b32 v6, v2, v1 offset:4
	ds_bpermute_b32 v9, v2, v1 offset:8
	s_waitcnt vmcnt(15)
	v_cvt_f32_f16_e32 v10, v13
	s_waitcnt vmcnt(14)
	v_cvt_f32_f16_e32 v13, v14
	ds_bpermute_b32 v14, v2, v1 offset:12
	s_waitcnt vmcnt(13)
	v_cvt_f32_f16_e32 v15, v15
	s_waitcnt vmcnt(12)
	v_cvt_f32_f16_e32 v16, v16
	;; [unrolled: 2-line block ×3, first 2 shown]
	v_mul_f32_e32 v10, v10, v13
	ds_bpermute_b32 v13, v2, v1 offset:16
	v_mul_f32_e32 v15, v15, v16
	s_waitcnt lgkmcnt(4)
	v_fmac_f32_e32 v93, v10, v5
	ds_bpermute_b32 v5, v2, v1 offset:20
	s_waitcnt lgkmcnt(4)
	v_fmac_f32_e32 v93, v15, v6
	ds_bpermute_b32 v6, v2, v1 offset:24
	ds_bpermute_b32 v1, v2, v1 offset:28
	s_waitcnt vmcnt(10)
	v_cvt_f32_f16_e32 v18, v18
	s_waitcnt vmcnt(9)
	v_cvt_f32_f16_e32 v10, v19
	;; [unrolled: 2-line block ×5, first 2 shown]
	v_dual_mul_f32 v17, v17, v18 :: v_dual_mul_f32 v10, v10, v16
	s_delay_alu instid0(VALU_DEP_2) | instskip(SKIP_1) | instid1(VALU_DEP_2)
	v_mul_f32_e32 v11, v15, v11
	s_waitcnt lgkmcnt(5)
	v_fmac_f32_e32 v93, v17, v9
	s_waitcnt lgkmcnt(4)
	s_delay_alu instid0(VALU_DEP_1)
	v_fmac_f32_e32 v93, v10, v14
	s_waitcnt vmcnt(5)
	v_cvt_f32_f16_e32 v9, v12
	s_waitcnt vmcnt(4)
	v_cvt_f32_f16_e32 v12, v22
	;; [unrolled: 2-line block ×4, first 2 shown]
	s_waitcnt lgkmcnt(3)
	v_fmac_f32_e32 v93, v11, v13
	v_mul_f32_e32 v9, v9, v12
	s_delay_alu instid0(VALU_DEP_3) | instskip(SKIP_1) | instid1(VALU_DEP_2)
	v_mul_f32_e32 v7, v7, v8
	s_waitcnt lgkmcnt(2)
	v_fmac_f32_e32 v93, v9, v5
	s_waitcnt vmcnt(1)
	v_cvt_f32_f16_e32 v3, v3
	s_waitcnt vmcnt(0)
	v_cvt_f32_f16_e32 v4, v4
	s_waitcnt lgkmcnt(1)
	v_fmac_f32_e32 v93, v7, v6
	s_delay_alu instid0(VALU_DEP_2) | instskip(SKIP_1) | instid1(VALU_DEP_1)
	v_mul_f32_e32 v3, v3, v4
	s_waitcnt lgkmcnt(0)
	v_fmac_f32_e32 v93, v3, v1
	s_delay_alu instid0(VALU_DEP_1)
	v_mov_b32_e32 v3, v93
.LBB168_81:                             ;   in Loop: Header=BB168_53 Depth=1
	v_add_co_u32 v59, vcc_lo, v59, s15
	v_add_co_ci_u32_e32 v60, vcc_lo, 0, v60, vcc_lo
	v_add_co_u32 v25, vcc_lo, v25, s20
	v_add_co_ci_u32_e32 v26, vcc_lo, s21, v26, vcc_lo
	;; [unrolled: 2-line block ×28, first 2 shown]
	v_add_co_u32 v87, vcc_lo, v87, s20
	s_add_u32 s28, s28, s15
	v_add_co_ci_u32_e32 v88, vcc_lo, s21, v88, vcc_lo
	s_addc_u32 s29, s29, 0
	v_add_co_u32 v89, vcc_lo, v89, s20
	v_add_co_ci_u32_e32 v90, vcc_lo, s21, v90, vcc_lo
	v_cmp_ge_i64_e64 s3, s[28:29], s[16:17]
	v_add_co_u32 v91, vcc_lo, v91, s20
	v_add_co_ci_u32_e32 v92, vcc_lo, s21, v92, vcc_lo
	s_add_u32 s22, s22, s15
	s_addc_u32 s23, s23, 0
	s_delay_alu instid0(VALU_DEP_3)
	s_and_b32 vcc_lo, exec_lo, s3
	s_cbranch_vccnz .LBB168_83
; %bb.82:                               ;   in Loop: Header=BB168_53 Depth=1
	v_mov_b32_e32 v93, v3
	s_branch .LBB168_53
.LBB168_83:
	s_mov_b32 s15, 0
	s_delay_alu instid0(SALU_CYCLE_1) | instskip(NEXT) | instid1(SALU_CYCLE_1)
	s_lshl_b64 s[4:5], s[14:15], 6
	v_dual_mov_b32 v2, s5 :: v_dual_and_b32 v1, 0x3ff, v0
	s_waitcnt lgkmcnt(0)
	s_cmp_lg_u64 s[24:25], 0
	s_cselect_b32 s3, -1, 0
	s_delay_alu instid0(VALU_DEP_1) | instskip(NEXT) | instid1(VALU_DEP_1)
	v_or_b32_e32 v1, s4, v1
	v_cmp_gt_i64_e32 vcc_lo, s[18:19], v[1:2]
	s_and_b32 s3, vcc_lo, s3
	s_delay_alu instid0(SALU_CYCLE_1)
	s_and_saveexec_b32 s4, s3
	s_cbranch_execz .LBB168_85
; %bb.84:
	s_load_b32 s0, s[0:1], 0x4c
	v_bfe_u32 v4, v0, 10, 10
	v_mov_b32_e32 v5, 0
	v_cvt_f16_f32_e32 v3, v3
	s_waitcnt lgkmcnt(0)
	s_lshr_b32 s0, s0, 16
	s_delay_alu instid0(VALU_DEP_2) | instid1(SALU_CYCLE_1)
	v_mad_u64_u32 v[6:7], null, s0, s2, v[4:5]
	s_delay_alu instid0(VALU_DEP_1) | instskip(NEXT) | instid1(VALU_DEP_2)
	v_mul_lo_u32 v0, v7, s18
	v_mul_lo_u32 v7, v6, s19
	v_mad_u64_u32 v[4:5], null, v6, s18, 0
	s_delay_alu instid0(VALU_DEP_1) | instskip(SKIP_1) | instid1(VALU_DEP_2)
	v_add3_u32 v5, v5, v7, v0
	v_lshlrev_b64 v[0:1], 1, v[1:2]
	v_lshlrev_b64 v[4:5], 1, v[4:5]
	s_delay_alu instid0(VALU_DEP_1) | instskip(NEXT) | instid1(VALU_DEP_2)
	v_add_co_u32 v2, vcc_lo, s24, v4
	v_add_co_ci_u32_e32 v4, vcc_lo, s25, v5, vcc_lo
	s_delay_alu instid0(VALU_DEP_2) | instskip(NEXT) | instid1(VALU_DEP_2)
	v_add_co_u32 v0, vcc_lo, v2, v0
	v_add_co_ci_u32_e32 v1, vcc_lo, v4, v1, vcc_lo
	global_store_b16 v[0:1], v3, off
.LBB168_85:
	s_nop 0
	s_sendmsg sendmsg(MSG_DEALLOC_VGPRS)
	s_endpgm
	.section	.rodata,"a",@progbits
	.p2align	6, 0x0
	.amdhsa_kernel _ZN2at6native12_GLOBAL__N_135GammaBetaBackwardCUDAKernelTemplateIN3c104HalfEfLj64ELj1ELj8ELb1ELb0ELb1EEEvllPKT_S7_PKT0_SA_PS5_SB_
		.amdhsa_group_segment_fixed_size 0
		.amdhsa_private_segment_fixed_size 0
		.amdhsa_kernarg_size 320
		.amdhsa_user_sgpr_count 14
		.amdhsa_user_sgpr_dispatch_ptr 0
		.amdhsa_user_sgpr_queue_ptr 0
		.amdhsa_user_sgpr_kernarg_segment_ptr 1
		.amdhsa_user_sgpr_dispatch_id 0
		.amdhsa_user_sgpr_private_segment_size 0
		.amdhsa_wavefront_size32 1
		.amdhsa_uses_dynamic_stack 0
		.amdhsa_enable_private_segment 0
		.amdhsa_system_sgpr_workgroup_id_x 1
		.amdhsa_system_sgpr_workgroup_id_y 1
		.amdhsa_system_sgpr_workgroup_id_z 0
		.amdhsa_system_sgpr_workgroup_info 0
		.amdhsa_system_vgpr_workitem_id 1
		.amdhsa_next_free_vgpr 95
		.amdhsa_next_free_sgpr 37
		.amdhsa_reserve_vcc 1
		.amdhsa_float_round_mode_32 0
		.amdhsa_float_round_mode_16_64 0
		.amdhsa_float_denorm_mode_32 3
		.amdhsa_float_denorm_mode_16_64 3
		.amdhsa_dx10_clamp 1
		.amdhsa_ieee_mode 1
		.amdhsa_fp16_overflow 0
		.amdhsa_workgroup_processor_mode 1
		.amdhsa_memory_ordered 1
		.amdhsa_forward_progress 0
		.amdhsa_shared_vgpr_count 0
		.amdhsa_exception_fp_ieee_invalid_op 0
		.amdhsa_exception_fp_denorm_src 0
		.amdhsa_exception_fp_ieee_div_zero 0
		.amdhsa_exception_fp_ieee_overflow 0
		.amdhsa_exception_fp_ieee_underflow 0
		.amdhsa_exception_fp_ieee_inexact 0
		.amdhsa_exception_int_div_zero 0
	.end_amdhsa_kernel
	.section	.text._ZN2at6native12_GLOBAL__N_135GammaBetaBackwardCUDAKernelTemplateIN3c104HalfEfLj64ELj1ELj8ELb1ELb0ELb1EEEvllPKT_S7_PKT0_SA_PS5_SB_,"axG",@progbits,_ZN2at6native12_GLOBAL__N_135GammaBetaBackwardCUDAKernelTemplateIN3c104HalfEfLj64ELj1ELj8ELb1ELb0ELb1EEEvllPKT_S7_PKT0_SA_PS5_SB_,comdat
.Lfunc_end168:
	.size	_ZN2at6native12_GLOBAL__N_135GammaBetaBackwardCUDAKernelTemplateIN3c104HalfEfLj64ELj1ELj8ELb1ELb0ELb1EEEvllPKT_S7_PKT0_SA_PS5_SB_, .Lfunc_end168-_ZN2at6native12_GLOBAL__N_135GammaBetaBackwardCUDAKernelTemplateIN3c104HalfEfLj64ELj1ELj8ELb1ELb0ELb1EEEvllPKT_S7_PKT0_SA_PS5_SB_
                                        ; -- End function
	.section	.AMDGPU.csdata,"",@progbits
; Kernel info:
; codeLenInByte = 7420
; NumSgprs: 39
; NumVgprs: 95
; ScratchSize: 0
; MemoryBound: 0
; FloatMode: 240
; IeeeMode: 1
; LDSByteSize: 0 bytes/workgroup (compile time only)
; SGPRBlocks: 4
; VGPRBlocks: 11
; NumSGPRsForWavesPerEU: 39
; NumVGPRsForWavesPerEU: 95
; Occupancy: 16
; WaveLimiterHint : 0
; COMPUTE_PGM_RSRC2:SCRATCH_EN: 0
; COMPUTE_PGM_RSRC2:USER_SGPR: 14
; COMPUTE_PGM_RSRC2:TRAP_HANDLER: 0
; COMPUTE_PGM_RSRC2:TGID_X_EN: 1
; COMPUTE_PGM_RSRC2:TGID_Y_EN: 1
; COMPUTE_PGM_RSRC2:TGID_Z_EN: 0
; COMPUTE_PGM_RSRC2:TIDIG_COMP_CNT: 1
	.section	.text._ZN2at6native12_GLOBAL__N_135GammaBetaBackwardCUDAKernelTemplateIN3c104HalfEfLj64ELj8ELj64ELb0ELb1ELb1EEEvllPKT_S7_PKT0_SA_PS5_SB_,"axG",@progbits,_ZN2at6native12_GLOBAL__N_135GammaBetaBackwardCUDAKernelTemplateIN3c104HalfEfLj64ELj8ELj64ELb0ELb1ELb1EEEvllPKT_S7_PKT0_SA_PS5_SB_,comdat
	.globl	_ZN2at6native12_GLOBAL__N_135GammaBetaBackwardCUDAKernelTemplateIN3c104HalfEfLj64ELj8ELj64ELb0ELb1ELb1EEEvllPKT_S7_PKT0_SA_PS5_SB_ ; -- Begin function _ZN2at6native12_GLOBAL__N_135GammaBetaBackwardCUDAKernelTemplateIN3c104HalfEfLj64ELj8ELj64ELb0ELb1ELb1EEEvllPKT_S7_PKT0_SA_PS5_SB_
	.p2align	8
	.type	_ZN2at6native12_GLOBAL__N_135GammaBetaBackwardCUDAKernelTemplateIN3c104HalfEfLj64ELj8ELj64ELb0ELb1ELb1EEEvllPKT_S7_PKT0_SA_PS5_SB_,@function
_ZN2at6native12_GLOBAL__N_135GammaBetaBackwardCUDAKernelTemplateIN3c104HalfEfLj64ELj8ELj64ELb0ELb1ELb1EEEvllPKT_S7_PKT0_SA_PS5_SB_: ; @_ZN2at6native12_GLOBAL__N_135GammaBetaBackwardCUDAKernelTemplateIN3c104HalfEfLj64ELj8ELj64ELb0ELb1ELb1EEEvllPKT_S7_PKT0_SA_PS5_SB_
; %bb.0:
	s_load_b128 s[4:7], s[0:1], 0x0
	s_mov_b32 s13, 0
	s_lshl_b32 s12, s15, 6
	v_bfe_u32 v7, v0, 10, 10
	s_waitcnt lgkmcnt(0)
	v_cmp_lt_i64_e64 s2, s[12:13], s[4:5]
	s_delay_alu instid0(VALU_DEP_1)
	s_and_b32 vcc_lo, exec_lo, s2
	s_cbranch_vccnz .LBB169_2
; %bb.1:
	v_bfe_u32 v1, v0, 10, 10
	s_mov_b32 s8, 0
	s_mov_b32 s9, s13
	s_branch .LBB169_3
.LBB169_2:
	s_mov_b32 s9, -1
                                        ; implicit-def: $sgpr8
                                        ; implicit-def: $vgpr1
.LBB169_3:
	s_load_b64 s[2:3], s[0:1], 0x30
	v_and_b32_e32 v6, 0x3ff, v0
	v_mov_b32_e32 v0, s8
	s_and_not1_b32 vcc_lo, exec_lo, s9
	s_cbranch_vccnz .LBB169_11
; %bb.4:
	s_clause 0x3
	s_load_b32 s15, s[0:1], 0x4c
	s_load_b32 s16, s[0:1], 0x44
	s_load_b128 s[8:11], s[0:1], 0x10
	s_load_b64 s[18:19], s[0:1], 0x28
	v_dual_mov_b32 v9, 4 :: v_dual_lshlrev_b32 v2, 3, v7
	v_dual_mov_b32 v8, 8 :: v_dual_mov_b32 v1, 0
	v_lshl_add_u32 v0, s14, 6, v6
	s_delay_alu instid0(VALU_DEP_3) | instskip(NEXT) | instid1(VALU_DEP_1)
	v_add_co_u32 v2, s1, v2, s12
	v_add_co_ci_u32_e64 v3, null, 0, 0, s1
	s_delay_alu instid0(VALU_DEP_3) | instskip(NEXT) | instid1(VALU_DEP_3)
	v_lshlrev_b64 v[15:16], 1, v[0:1]
	v_mul_lo_u32 v17, s7, v2
	v_dual_mov_b32 v10, 12 :: v_dual_mov_b32 v11, 16
	s_delay_alu instid0(VALU_DEP_4)
	v_mul_lo_u32 v18, s6, v3
	v_dual_mov_b32 v13, 24 :: v_dual_mov_b32 v14, 28
	s_waitcnt lgkmcnt(0)
	s_and_b32 s0, s15, 0xffff
	s_lshl_b32 s16, s16, 6
	v_mad_u32_u24 v4, v7, s0, v6
	v_mov_b32_e32 v12, 20
	s_mul_i32 s1, s7, s16
	s_mul_hi_u32 s15, s6, s16
	s_delay_alu instid0(VALU_DEP_2) | instskip(SKIP_3) | instid1(VALU_DEP_2)
	v_dual_mov_b32 v0, 0 :: v_dual_and_b32 v21, 31, v4
	v_mad_u64_u32 v[4:5], null, s6, v2, 0
	s_mov_b32 s17, 0
	s_add_i32 s21, s15, s1
	v_add_co_u32 v2, vcc_lo, v2, v21
	v_add_co_ci_u32_e32 v3, vcc_lo, 0, v3, vcc_lo
	s_delay_alu instid0(VALU_DEP_3) | instskip(SKIP_2) | instid1(VALU_DEP_3)
	v_add3_u32 v5, v5, v18, v17
	v_cmp_gt_u32_e64 s0, 8, v21
	s_mul_i32 s20, s6, s16
	v_lshlrev_b64 v[17:18], 2, v[2:3]
	s_lshl_b64 s[20:21], s[20:21], 1
	v_lshlrev_b64 v[19:20], 1, v[4:5]
	s_lshl_b64 s[6:7], s[6:7], 1
	s_delay_alu instid0(VALU_DEP_2) | instskip(NEXT) | instid1(VALU_DEP_3)
	v_add_co_u32 v4, vcc_lo, s18, v17
	v_add_co_ci_u32_e32 v5, vcc_lo, s19, v18, vcc_lo
	s_delay_alu instid0(VALU_DEP_3) | instskip(NEXT) | instid1(VALU_DEP_4)
	v_add_co_u32 v15, vcc_lo, v19, v15
	v_add_co_ci_u32_e32 v16, vcc_lo, v20, v16, vcc_lo
	s_lshl_b64 s[18:19], s[16:17], 2
	s_branch .LBB169_7
.LBB169_5:                              ;   in Loop: Header=BB169_7 Depth=1
	s_or_b32 exec_lo, exec_lo, s15
.LBB169_6:                              ;   in Loop: Header=BB169_7 Depth=1
	s_delay_alu instid0(SALU_CYCLE_1) | instskip(SKIP_4) | instid1(VALU_DEP_4)
	s_or_b32 exec_lo, exec_lo, s1
	v_add_co_u32 v18, vcc_lo, s8, v15
	v_add_co_ci_u32_e32 v19, vcc_lo, s9, v16, vcc_lo
	v_add_co_u32 v20, vcc_lo, s10, v15
	v_add_co_ci_u32_e32 v21, vcc_lo, s11, v16, vcc_lo
	v_add_co_u32 v22, vcc_lo, v18, s6
	s_delay_alu instid0(VALU_DEP_4)
	v_add_co_ci_u32_e32 v23, vcc_lo, s7, v19, vcc_lo
	global_load_u16 v28, v[18:19], off
	global_load_u16 v29, v[20:21], off
	;; [unrolled: 1-line block ×3, first 2 shown]
	v_add_co_u32 v18, vcc_lo, v20, s6
	v_add_co_ci_u32_e32 v19, vcc_lo, s7, v21, vcc_lo
	v_add_co_u32 v20, vcc_lo, v22, s6
	v_add_co_ci_u32_e32 v21, vcc_lo, s7, v23, vcc_lo
	s_delay_alu instid0(VALU_DEP_4) | instskip(NEXT) | instid1(VALU_DEP_4)
	v_add_co_u32 v22, vcc_lo, v18, s6
	v_add_co_ci_u32_e32 v23, vcc_lo, s7, v19, vcc_lo
	s_delay_alu instid0(VALU_DEP_4) | instskip(NEXT) | instid1(VALU_DEP_4)
	;; [unrolled: 3-line block ×3, first 2 shown]
	v_add_co_u32 v26, vcc_lo, v22, s6
	v_add_co_ci_u32_e32 v27, vcc_lo, s7, v23, vcc_lo
	global_load_u16 v31, v[18:19], off
	global_load_u16 v32, v[20:21], off
	global_load_u16 v33, v[22:23], off
	global_load_u16 v34, v[24:25], off
	global_load_u16 v35, v[26:27], off
	v_add_co_u32 v18, vcc_lo, v24, s6
	v_add_co_ci_u32_e32 v19, vcc_lo, s7, v25, vcc_lo
	v_add_co_u32 v20, vcc_lo, v26, s6
	v_add_co_ci_u32_e32 v21, vcc_lo, s7, v27, vcc_lo
	s_delay_alu instid0(VALU_DEP_4) | instskip(NEXT) | instid1(VALU_DEP_4)
	v_add_co_u32 v22, vcc_lo, v18, s6
	v_add_co_ci_u32_e32 v23, vcc_lo, s7, v19, vcc_lo
	s_delay_alu instid0(VALU_DEP_4) | instskip(NEXT) | instid1(VALU_DEP_4)
	;; [unrolled: 3-line block ×3, first 2 shown]
	v_add_co_u32 v26, vcc_lo, v22, s6
	v_add_co_ci_u32_e32 v27, vcc_lo, s7, v23, vcc_lo
	global_load_u16 v36, v[18:19], off
	global_load_u16 v37, v[20:21], off
	;; [unrolled: 1-line block ×5, first 2 shown]
	v_add_co_u32 v18, vcc_lo, v24, s6
	v_add_co_ci_u32_e32 v19, vcc_lo, s7, v25, vcc_lo
	v_add_co_u32 v20, vcc_lo, v26, s6
	v_add_co_ci_u32_e32 v21, vcc_lo, s7, v27, vcc_lo
	s_delay_alu instid0(VALU_DEP_4) | instskip(NEXT) | instid1(VALU_DEP_4)
	v_add_co_u32 v22, vcc_lo, v18, s6
	v_add_co_ci_u32_e32 v23, vcc_lo, s7, v19, vcc_lo
	global_load_u16 v18, v[18:19], off
	global_load_u16 v19, v[20:21], off
	global_load_u16 v20, v[22:23], off
	s_waitcnt vmcnt(16)
	ds_bpermute_b32 v21, v1, v17
	ds_bpermute_b32 v22, v9, v17
	;; [unrolled: 1-line block ×4, first 2 shown]
	v_add_co_u32 v4, vcc_lo, v4, s18
	s_add_u32 s12, s12, s16
	v_add_co_ci_u32_e32 v5, vcc_lo, s19, v5, vcc_lo
	s_addc_u32 s13, s13, 0
	v_add_co_u32 v2, vcc_lo, v2, s16
	v_add_co_ci_u32_e32 v3, vcc_lo, 0, v3, vcc_lo
	v_cmp_lt_i64_e64 s1, s[12:13], s[4:5]
	v_add_co_u32 v15, vcc_lo, v15, s20
	v_add_co_ci_u32_e32 v16, vcc_lo, s21, v16, vcc_lo
	s_delay_alu instid0(VALU_DEP_3)
	s_and_b32 vcc_lo, exec_lo, s1
	s_waitcnt vmcnt(15)
	v_cvt_f32_f16_e32 v23, v28
	s_waitcnt vmcnt(14)
	v_cvt_f32_f16_e32 v24, v29
	;; [unrolled: 2-line block ×3, first 2 shown]
	s_delay_alu instid0(VALU_DEP_2)
	v_mul_f32_e32 v23, v23, v24
	s_waitcnt vmcnt(12)
	v_cvt_f32_f16_e32 v24, v31
	s_waitcnt vmcnt(11)
	v_cvt_f32_f16_e32 v28, v32
	s_waitcnt lgkmcnt(3)
	v_fmac_f32_e32 v0, v23, v21
	s_waitcnt vmcnt(10)
	v_cvt_f32_f16_e32 v23, v33
	s_waitcnt vmcnt(9)
	v_cvt_f32_f16_e32 v29, v34
	v_mul_f32_e32 v21, v26, v24
	ds_bpermute_b32 v24, v11, v17
	ds_bpermute_b32 v26, v12, v17
	s_waitcnt lgkmcnt(4)
	v_fmac_f32_e32 v0, v21, v22
	s_waitcnt vmcnt(8)
	v_cvt_f32_f16_e32 v22, v35
	s_waitcnt vmcnt(2)
	v_cvt_f32_f16_e32 v18, v18
	v_mul_f32_e32 v21, v28, v23
	ds_bpermute_b32 v23, v13, v17
	v_cvt_f32_f16_e32 v28, v36
	ds_bpermute_b32 v17, v14, v17
	s_waitcnt vmcnt(1)
	v_cvt_f32_f16_e32 v19, v19
	s_waitcnt lgkmcnt(5)
	v_fmac_f32_e32 v0, v21, v25
	v_mul_f32_e32 v21, v29, v22
	v_cvt_f32_f16_e32 v22, v37
	v_cvt_f32_f16_e32 v25, v38
	;; [unrolled: 1-line block ×3, first 2 shown]
	s_waitcnt vmcnt(0)
	v_cvt_f32_f16_e32 v20, v20
	s_waitcnt lgkmcnt(4)
	v_dual_fmac_f32 v0, v21, v27 :: v_dual_mul_f32 v21, v28, v22
	v_cvt_f32_f16_e32 v22, v40
	s_waitcnt lgkmcnt(3)
	s_delay_alu instid0(VALU_DEP_2) | instskip(NEXT) | instid1(VALU_DEP_2)
	v_fmac_f32_e32 v0, v21, v24
	v_dual_mul_f32 v21, v25, v29 :: v_dual_mul_f32 v18, v22, v18
	s_waitcnt lgkmcnt(2)
	s_delay_alu instid0(VALU_DEP_1) | instskip(SKIP_1) | instid1(VALU_DEP_1)
	v_fmac_f32_e32 v0, v21, v26
	s_waitcnt lgkmcnt(1)
	v_fmac_f32_e32 v0, v18, v23
	v_mul_f32_e32 v18, v19, v20
	s_waitcnt lgkmcnt(0)
	s_delay_alu instid0(VALU_DEP_1)
	v_fmac_f32_e32 v0, v18, v17
	s_cbranch_vccz .LBB169_10
.LBB169_7:                              ; =>This Inner Loop Header: Depth=1
	v_mov_b32_e32 v17, 0
	s_and_saveexec_b32 s1, s0
	s_cbranch_execz .LBB169_6
; %bb.8:                                ;   in Loop: Header=BB169_7 Depth=1
	v_mov_b32_e32 v17, 0
	s_mov_b32 s15, exec_lo
	v_cmpx_gt_i64_e64 s[4:5], v[2:3]
	s_cbranch_execz .LBB169_5
; %bb.9:                                ;   in Loop: Header=BB169_7 Depth=1
	global_load_b32 v17, v[4:5], off
	s_branch .LBB169_5
.LBB169_10:
	v_mov_b32_e32 v1, v7
.LBB169_11:
	s_delay_alu instid0(VALU_DEP_1) | instskip(SKIP_3) | instid1(VALU_DEP_2)
	v_mad_u32_u24 v2, 0x41, v1, v6
	v_mov_b32_e32 v3, 0
	s_mov_b32 s15, 0
	s_mov_b32 s0, exec_lo
	v_sub_nc_u32_e32 v1, v2, v1
	v_lshl_add_u32 v2, v2, 2, 0
	ds_store_b32 v2, v0
	ds_store_b32 v2, v3 offset:2080
	s_waitcnt lgkmcnt(0)
	s_barrier
	buffer_gl0_inv
	v_cmpx_gt_u32_e32 0x800, v1
	s_cbranch_execz .LBB169_18
; %bb.12:
	v_mbcnt_lo_u32_b32 v2, -1, 0
	v_cmp_eq_u32_e64 s0, 0, v6
	s_cmp_lg_u64 s[2:3], 0
	v_and_b32_e32 v0, 31, v6
	s_cselect_b32 s1, -1, 0
	v_xor_b32_e32 v3, 4, v2
	v_xor_b32_e32 v4, 2, v2
	s_and_b32 s4, s0, s1
	v_xor_b32_e32 v5, 1, v2
	v_lshrrev_b32_e32 v1, 5, v1
	v_cmp_gt_i32_e64 s0, 32, v3
	v_cmp_gt_u32_e32 vcc_lo, 8, v0
	v_mul_u32_u24_e32 v0, 0x104, v0
                                        ; implicit-def: $vgpr7
	s_delay_alu instid0(VALU_DEP_4) | instskip(NEXT) | instid1(VALU_DEP_4)
	v_lshlrev_b32_e32 v6, 2, v1
	v_cndmask_b32_e64 v3, v2, v3, s0
	v_cmp_gt_i32_e64 s0, 32, v4
	s_delay_alu instid0(VALU_DEP_1) | instskip(SKIP_1) | instid1(VALU_DEP_1)
	v_cndmask_b32_e64 v4, v2, v4, s0
	v_cmp_gt_i32_e64 s0, 32, v5
	v_cndmask_b32_e64 v5, v2, v5, s0
	v_lshlrev_b32_e32 v2, 2, v3
	s_delay_alu instid0(VALU_DEP_4) | instskip(SKIP_1) | instid1(VALU_DEP_3)
	v_lshlrev_b32_e32 v3, 2, v4
	s_lshl_b64 s[0:1], s[14:15], 7
	v_lshlrev_b32_e32 v4, 2, v5
	v_add3_u32 v5, v0, v6, 0
	v_lshlrev_b32_e32 v0, 1, v1
	s_add_u32 s0, s2, s0
	s_addc_u32 s1, s3, s1
	v_add_nc_u32_e32 v6, -16, v1
	s_delay_alu instid0(VALU_DEP_2) | instskip(NEXT) | instid1(VALU_DEP_1)
	v_add_co_u32 v0, s0, s0, v0
	v_add_co_ci_u32_e64 v1, null, s1, 0, s0
	s_set_inst_prefetch_distance 0x1
	s_branch .LBB169_14
	.p2align	6
.LBB169_13:                             ;   in Loop: Header=BB169_14 Depth=1
	s_or_b32 exec_lo, exec_lo, s0
	v_add_nc_u32_e32 v6, 16, v6
	v_add_co_u32 v0, s1, v0, 32
	v_add_nc_u32_e32 v5, 64, v5
	v_add_co_ci_u32_e64 v1, s1, 0, v1, s1
	s_delay_alu instid0(VALU_DEP_4) | instskip(NEXT) | instid1(VALU_DEP_1)
	v_cmp_lt_u32_e64 s0, 47, v6
	s_or_b32 s15, s0, s15
	s_delay_alu instid0(SALU_CYCLE_1)
	s_and_not1_b32 exec_lo, exec_lo, s15
	s_cbranch_execz .LBB169_18
.LBB169_14:                             ; =>This Inner Loop Header: Depth=1
	s_and_saveexec_b32 s0, vcc_lo
	s_cbranch_execz .LBB169_16
; %bb.15:                               ;   in Loop: Header=BB169_14 Depth=1
	ds_load_b32 v7, v5
.LBB169_16:                             ;   in Loop: Header=BB169_14 Depth=1
	s_or_b32 exec_lo, exec_lo, s0
	s_waitcnt lgkmcnt(0)
	ds_bpermute_b32 v8, v2, v7
	s_waitcnt lgkmcnt(0)
	v_add_f32_e32 v7, v7, v8
	ds_bpermute_b32 v8, v3, v7
	s_waitcnt lgkmcnt(0)
	v_add_f32_e32 v7, v7, v8
	;; [unrolled: 3-line block ×3, first 2 shown]
	s_and_saveexec_b32 s0, s4
	s_cbranch_execz .LBB169_13
; %bb.17:                               ;   in Loop: Header=BB169_14 Depth=1
	s_delay_alu instid0(VALU_DEP_1)
	v_cvt_f16_f32_e32 v8, v7
	global_store_b16 v[0:1], v8, off
	s_branch .LBB169_13
.LBB169_18:
	s_set_inst_prefetch_distance 0x2
	s_nop 0
	s_sendmsg sendmsg(MSG_DEALLOC_VGPRS)
	s_endpgm
	.section	.rodata,"a",@progbits
	.p2align	6, 0x0
	.amdhsa_kernel _ZN2at6native12_GLOBAL__N_135GammaBetaBackwardCUDAKernelTemplateIN3c104HalfEfLj64ELj8ELj64ELb0ELb1ELb1EEEvllPKT_S7_PKT0_SA_PS5_SB_
		.amdhsa_group_segment_fixed_size 0
		.amdhsa_private_segment_fixed_size 0
		.amdhsa_kernarg_size 320
		.amdhsa_user_sgpr_count 14
		.amdhsa_user_sgpr_dispatch_ptr 0
		.amdhsa_user_sgpr_queue_ptr 0
		.amdhsa_user_sgpr_kernarg_segment_ptr 1
		.amdhsa_user_sgpr_dispatch_id 0
		.amdhsa_user_sgpr_private_segment_size 0
		.amdhsa_wavefront_size32 1
		.amdhsa_uses_dynamic_stack 0
		.amdhsa_enable_private_segment 0
		.amdhsa_system_sgpr_workgroup_id_x 1
		.amdhsa_system_sgpr_workgroup_id_y 1
		.amdhsa_system_sgpr_workgroup_id_z 0
		.amdhsa_system_sgpr_workgroup_info 0
		.amdhsa_system_vgpr_workitem_id 1
		.amdhsa_next_free_vgpr 41
		.amdhsa_next_free_sgpr 22
		.amdhsa_reserve_vcc 1
		.amdhsa_float_round_mode_32 0
		.amdhsa_float_round_mode_16_64 0
		.amdhsa_float_denorm_mode_32 3
		.amdhsa_float_denorm_mode_16_64 3
		.amdhsa_dx10_clamp 1
		.amdhsa_ieee_mode 1
		.amdhsa_fp16_overflow 0
		.amdhsa_workgroup_processor_mode 1
		.amdhsa_memory_ordered 1
		.amdhsa_forward_progress 0
		.amdhsa_shared_vgpr_count 0
		.amdhsa_exception_fp_ieee_invalid_op 0
		.amdhsa_exception_fp_denorm_src 0
		.amdhsa_exception_fp_ieee_div_zero 0
		.amdhsa_exception_fp_ieee_overflow 0
		.amdhsa_exception_fp_ieee_underflow 0
		.amdhsa_exception_fp_ieee_inexact 0
		.amdhsa_exception_int_div_zero 0
	.end_amdhsa_kernel
	.section	.text._ZN2at6native12_GLOBAL__N_135GammaBetaBackwardCUDAKernelTemplateIN3c104HalfEfLj64ELj8ELj64ELb0ELb1ELb1EEEvllPKT_S7_PKT0_SA_PS5_SB_,"axG",@progbits,_ZN2at6native12_GLOBAL__N_135GammaBetaBackwardCUDAKernelTemplateIN3c104HalfEfLj64ELj8ELj64ELb0ELb1ELb1EEEvllPKT_S7_PKT0_SA_PS5_SB_,comdat
.Lfunc_end169:
	.size	_ZN2at6native12_GLOBAL__N_135GammaBetaBackwardCUDAKernelTemplateIN3c104HalfEfLj64ELj8ELj64ELb0ELb1ELb1EEEvllPKT_S7_PKT0_SA_PS5_SB_, .Lfunc_end169-_ZN2at6native12_GLOBAL__N_135GammaBetaBackwardCUDAKernelTemplateIN3c104HalfEfLj64ELj8ELj64ELb0ELb1ELb1EEEvllPKT_S7_PKT0_SA_PS5_SB_
                                        ; -- End function
	.section	.AMDGPU.csdata,"",@progbits
; Kernel info:
; codeLenInByte = 1604
; NumSgprs: 24
; NumVgprs: 41
; ScratchSize: 0
; MemoryBound: 0
; FloatMode: 240
; IeeeMode: 1
; LDSByteSize: 0 bytes/workgroup (compile time only)
; SGPRBlocks: 2
; VGPRBlocks: 5
; NumSGPRsForWavesPerEU: 24
; NumVGPRsForWavesPerEU: 41
; Occupancy: 16
; WaveLimiterHint : 0
; COMPUTE_PGM_RSRC2:SCRATCH_EN: 0
; COMPUTE_PGM_RSRC2:USER_SGPR: 14
; COMPUTE_PGM_RSRC2:TRAP_HANDLER: 0
; COMPUTE_PGM_RSRC2:TGID_X_EN: 1
; COMPUTE_PGM_RSRC2:TGID_Y_EN: 1
; COMPUTE_PGM_RSRC2:TGID_Z_EN: 0
; COMPUTE_PGM_RSRC2:TIDIG_COMP_CNT: 1
	.section	.text._ZN2at6native12_GLOBAL__N_135GammaBetaBackwardCUDAKernelTemplateIN3c104HalfEfLj64ELj8ELj64ELb0ELb0ELb1EEEvllPKT_S7_PKT0_SA_PS5_SB_,"axG",@progbits,_ZN2at6native12_GLOBAL__N_135GammaBetaBackwardCUDAKernelTemplateIN3c104HalfEfLj64ELj8ELj64ELb0ELb0ELb1EEEvllPKT_S7_PKT0_SA_PS5_SB_,comdat
	.globl	_ZN2at6native12_GLOBAL__N_135GammaBetaBackwardCUDAKernelTemplateIN3c104HalfEfLj64ELj8ELj64ELb0ELb0ELb1EEEvllPKT_S7_PKT0_SA_PS5_SB_ ; -- Begin function _ZN2at6native12_GLOBAL__N_135GammaBetaBackwardCUDAKernelTemplateIN3c104HalfEfLj64ELj8ELj64ELb0ELb0ELb1EEEvllPKT_S7_PKT0_SA_PS5_SB_
	.p2align	8
	.type	_ZN2at6native12_GLOBAL__N_135GammaBetaBackwardCUDAKernelTemplateIN3c104HalfEfLj64ELj8ELj64ELb0ELb0ELb1EEEvllPKT_S7_PKT0_SA_PS5_SB_,@function
_ZN2at6native12_GLOBAL__N_135GammaBetaBackwardCUDAKernelTemplateIN3c104HalfEfLj64ELj8ELj64ELb0ELb0ELb1EEEvllPKT_S7_PKT0_SA_PS5_SB_: ; @_ZN2at6native12_GLOBAL__N_135GammaBetaBackwardCUDAKernelTemplateIN3c104HalfEfLj64ELj8ELj64ELb0ELb0ELb1EEEvllPKT_S7_PKT0_SA_PS5_SB_
; %bb.0:
	s_clause 0x1
	s_load_b256 s[4:11], s[0:1], 0x0
	s_load_b64 s[12:13], s[0:1], 0x28
	s_lshl_b32 s33, s14, 6
	s_mov_b32 s25, 0
	s_or_b32 s24, s33, 63
	s_waitcnt lgkmcnt(0)
	v_cmp_ge_i64_e64 s2, s[24:25], s[6:7]
	s_lshl_b32 s24, s15, 6
	s_delay_alu instid0(SALU_CYCLE_1) | instskip(NEXT) | instid1(VALU_DEP_2)
	v_cmp_lt_i64_e64 s15, s[24:25], s[4:5]
	s_and_b32 vcc_lo, exec_lo, s2
	s_delay_alu instid0(VALU_DEP_1) | instskip(NEXT) | instid1(VALU_DEP_1)
	v_cndmask_b32_e64 v1, 0, 1, s15
	v_cmp_ne_u32_e64 s2, 1, v1
	s_cbranch_vccz .LBB170_49
; %bb.1:
	v_mov_b32_e32 v1, 0
	s_delay_alu instid0(VALU_DEP_2)
	s_and_b32 vcc_lo, exec_lo, s2
	s_cbranch_vccnz .LBB170_50
; %bb.2:
	v_bfe_u32 v27, v0, 10, 10
	s_load_b32 s3, s[0:1], 0x44
	v_dual_mov_b32 v2, 0 :: v_dual_and_b32 v29, 0x3ff, v0
	s_add_u32 s26, s0, 64
	s_delay_alu instid0(VALU_DEP_2) | instskip(NEXT) | instid1(VALU_DEP_2)
	v_lshlrev_b32_e32 v28, 3, v27
	v_dual_mov_b32 v62, 0 :: v_dual_add_nc_u32 v1, s33, v29
	s_addc_u32 s27, s1, 0
	s_mov_b32 s16, 0
	s_delay_alu instid0(VALU_DEP_2) | instskip(NEXT) | instid1(VALU_DEP_1)
	v_add_co_u32 v9, s2, v28, s24
	v_add_co_ci_u32_e64 v10, null, 0, 0, s2
	v_cmp_gt_i64_e64 s2, s[6:7], v[1:2]
	s_delay_alu instid0(VALU_DEP_3) | instskip(NEXT) | instid1(VALU_DEP_3)
	v_add_co_u32 v5, vcc_lo, v9, 7
	v_add_co_ci_u32_e32 v3, vcc_lo, 0, v10, vcc_lo
	v_add_co_u32 v8, vcc_lo, v9, 6
	s_delay_alu instid0(VALU_DEP_3) | instskip(NEXT) | instid1(VALU_DEP_3)
	v_mul_lo_u32 v6, s7, v5
	v_mul_lo_u32 v7, s6, v3
	v_mad_u64_u32 v[3:4], null, s6, v5, 0
	v_add_co_ci_u32_e32 v5, vcc_lo, 0, v10, vcc_lo
	v_lshlrev_b64 v[25:26], 1, v[1:2]
	v_mul_lo_u32 v1, s7, v8
	s_waitcnt lgkmcnt(0)
	s_lshl_b32 s36, s3, 6
	s_mov_b64 s[34:35], s[24:25]
	s_delay_alu instid0(VALU_DEP_4) | instskip(SKIP_3) | instid1(VALU_DEP_3)
	v_add3_u32 v4, v4, v7, v6
	v_mul_lo_u32 v7, s6, v5
	v_mad_u64_u32 v[5:6], null, s6, v8, 0
	s_mul_i32 s3, s7, s36
	v_lshlrev_b64 v[3:4], 1, v[3:4]
	s_mul_hi_u32 s17, s6, s36
	s_mul_i32 s18, s6, s36
	s_add_i32 s19, s17, s3
	s_delay_alu instid0(VALU_DEP_2) | instskip(NEXT) | instid1(VALU_DEP_2)
	v_add3_u32 v6, v6, v7, v1
	v_add_co_u32 v30, vcc_lo, s8, v3
	v_add_co_ci_u32_e32 v31, vcc_lo, s9, v4, vcc_lo
	v_add_co_u32 v1, vcc_lo, v9, 5
	v_add_co_u32 v32, s3, s10, v3
	s_delay_alu instid0(VALU_DEP_1) | instskip(SKIP_4) | instid1(VALU_DEP_3)
	v_add_co_ci_u32_e64 v33, s3, s11, v4, s3
	v_lshlrev_b64 v[3:4], 1, v[5:6]
	v_add_co_ci_u32_e32 v5, vcc_lo, 0, v10, vcc_lo
	v_add_co_u32 v12, vcc_lo, v9, 4
	v_mul_lo_u32 v11, s7, v1
	v_mul_lo_u32 v13, s6, v5
	v_mad_u64_u32 v[5:6], null, s6, v1, 0
	v_add_co_ci_u32_e32 v7, vcc_lo, 0, v10, vcc_lo
	v_mul_lo_u32 v1, s7, v12
	v_add_co_u32 v34, vcc_lo, s8, v3
	s_delay_alu instid0(VALU_DEP_3)
	v_mul_lo_u32 v14, s6, v7
	v_mad_u64_u32 v[7:8], null, s6, v12, 0
	v_add3_u32 v6, v6, v13, v11
	v_add_co_ci_u32_e32 v35, vcc_lo, s9, v4, vcc_lo
	v_add_co_u32 v36, vcc_lo, s10, v3
	v_add_co_ci_u32_e32 v37, vcc_lo, s11, v4, vcc_lo
	s_delay_alu instid0(VALU_DEP_4) | instskip(SKIP_3) | instid1(VALU_DEP_4)
	v_lshlrev_b64 v[3:4], 1, v[5:6]
	v_add3_u32 v8, v8, v14, v1
	v_add_co_u32 v1, vcc_lo, v9, 3
	v_add_co_ci_u32_e32 v11, vcc_lo, 0, v10, vcc_lo
	v_add_co_u32 v38, vcc_lo, s8, v3
	s_delay_alu instid0(VALU_DEP_4)
	v_lshlrev_b64 v[5:6], 1, v[7:8]
	v_add_co_ci_u32_e32 v39, vcc_lo, s9, v4, vcc_lo
	v_mul_lo_u32 v12, s7, v1
	v_mul_lo_u32 v11, s6, v11
	v_mad_u64_u32 v[7:8], null, s6, v1, 0
	v_add_co_u32 v40, vcc_lo, s10, v3
	v_add_co_ci_u32_e32 v41, vcc_lo, s11, v4, vcc_lo
	v_add_co_u32 v42, vcc_lo, s8, v5
	v_add_co_ci_u32_e32 v43, vcc_lo, s9, v6, vcc_lo
	v_add_co_u32 v1, vcc_lo, v9, 2
	v_add3_u32 v8, v8, v11, v12
	v_add_co_ci_u32_e32 v11, vcc_lo, 0, v10, vcc_lo
	v_add_co_u32 v44, vcc_lo, s10, v5
	v_add_co_ci_u32_e32 v45, vcc_lo, s11, v6, vcc_lo
	v_mul_lo_u32 v12, s7, v1
	s_delay_alu instid0(VALU_DEP_4)
	v_mul_lo_u32 v11, s6, v11
	v_mad_u64_u32 v[5:6], null, s6, v1, 0
	v_lshlrev_b64 v[3:4], 1, v[7:8]
	v_mul_lo_u32 v1, s7, v9
	v_mul_lo_u32 v10, s6, v10
	v_mad_u64_u32 v[7:8], null, s6, v9, 0
	s_lshl_b64 s[28:29], s[18:19], 1
	s_delay_alu instid0(VALU_DEP_4)
	v_add_co_u32 v46, vcc_lo, s8, v3
	v_add3_u32 v6, v6, v11, v12
	v_add_co_ci_u32_e32 v47, vcc_lo, s9, v4, vcc_lo
	v_add_co_u32 v48, vcc_lo, s10, v3
	v_add3_u32 v8, v8, v10, v1
	v_add_co_ci_u32_e32 v49, vcc_lo, s11, v4, vcc_lo
	v_lshlrev_b64 v[3:4], 1, v[5:6]
	v_add_co_u32 v5, vcc_lo, v7, s6
	s_delay_alu instid0(VALU_DEP_4) | instskip(SKIP_1) | instid1(VALU_DEP_3)
	v_add_co_ci_u32_e32 v6, vcc_lo, s7, v8, vcc_lo
	s_add_u32 s30, s24, 63
	v_add_co_u32 v50, vcc_lo, s8, v3
	s_delay_alu instid0(VALU_DEP_2) | instskip(SKIP_3) | instid1(VALU_DEP_4)
	v_lshlrev_b64 v[5:6], 1, v[5:6]
	v_add_co_ci_u32_e32 v51, vcc_lo, s9, v4, vcc_lo
	v_add_co_u32 v52, vcc_lo, s10, v3
	v_add_co_ci_u32_e32 v53, vcc_lo, s11, v4, vcc_lo
	v_add_co_u32 v54, vcc_lo, s8, v5
	v_lshlrev_b64 v[3:4], 1, v[7:8]
	v_add_co_ci_u32_e32 v55, vcc_lo, s9, v6, vcc_lo
	v_add_co_u32 v56, vcc_lo, s10, v5
	v_add_co_ci_u32_e32 v57, vcc_lo, s11, v6, vcc_lo
	s_delay_alu instid0(VALU_DEP_4)
	v_add_co_u32 v58, vcc_lo, s8, v3
	v_add_co_ci_u32_e32 v59, vcc_lo, s9, v4, vcc_lo
	v_add_co_u32 v60, vcc_lo, s10, v3
	v_add_co_ci_u32_e32 v61, vcc_lo, s11, v4, vcc_lo
	s_addc_u32 s31, 0, 0
.LBB170_3:                              ; =>This Inner Loop Header: Depth=1
	s_delay_alu instid0(SALU_CYCLE_1) | instskip(SKIP_1) | instid1(VALU_DEP_1)
	v_cmp_ge_i64_e64 s3, s[30:31], s[4:5]
	v_add_co_u32 v63, s17, v28, s30
	v_add_co_ci_u32_e64 v64, null, 0, s31, s17
	s_delay_alu instid0(VALU_DEP_3)
	s_and_b32 vcc_lo, exec_lo, s3
	s_cbranch_vccz .LBB170_25
; %bb.4:                                ;   in Loop: Header=BB170_3 Depth=1
	s_load_b32 s3, s[26:27], 0xc
	v_mov_b32_e32 v65, 0
	s_waitcnt lgkmcnt(0)
	s_and_b32 s3, s3, 0xffff
	s_delay_alu instid0(SALU_CYCLE_1) | instskip(SKIP_1) | instid1(VALU_DEP_1)
	v_mad_u32_u24 v1, v27, s3, v29
	s_mov_b32 s3, exec_lo
	v_and_b32_e32 v1, 31, v1
	s_delay_alu instid0(VALU_DEP_1)
	v_cmpx_gt_u32_e32 8, v1
	s_cbranch_execz .LBB170_8
; %bb.5:                                ;   in Loop: Header=BB170_3 Depth=1
	v_add_co_u32 v1, vcc_lo, v63, v1
	v_add_co_ci_u32_e32 v4, vcc_lo, 0, v64, vcc_lo
	v_mov_b32_e32 v65, 0
	s_delay_alu instid0(VALU_DEP_3) | instskip(NEXT) | instid1(VALU_DEP_3)
	v_add_co_u32 v3, vcc_lo, 0xffffffc1, v1
	v_add_co_ci_u32_e32 v4, vcc_lo, -1, v4, vcc_lo
	s_mov_b32 s17, exec_lo
	s_delay_alu instid0(VALU_DEP_1)
	v_cmpx_gt_i64_e64 s[4:5], v[3:4]
	s_cbranch_execz .LBB170_7
; %bb.6:                                ;   in Loop: Header=BB170_3 Depth=1
	v_lshlrev_b64 v[3:4], 2, v[3:4]
	s_delay_alu instid0(VALU_DEP_1) | instskip(NEXT) | instid1(VALU_DEP_2)
	v_add_co_u32 v3, vcc_lo, s12, v3
	v_add_co_ci_u32_e32 v4, vcc_lo, s13, v4, vcc_lo
	global_load_b32 v65, v[3:4], off
.LBB170_7:                              ;   in Loop: Header=BB170_3 Depth=1
	s_or_b32 exec_lo, exec_lo, s17
.LBB170_8:                              ;   in Loop: Header=BB170_3 Depth=1
	s_delay_alu instid0(SALU_CYCLE_1)
	s_or_b32 exec_lo, exec_lo, s3
	v_add_co_u32 v3, vcc_lo, 0xffffffc1, v63
	v_add_co_ci_u32_e32 v4, vcc_lo, -1, v64, vcc_lo
	s_mov_b32 s22, s16
	s_mov_b32 s23, s16
	;; [unrolled: 1-line block ×7, first 2 shown]
	v_dual_mov_b32 v9, s16 :: v_dual_mov_b32 v10, s17
	v_dual_mov_b32 v15, s22 :: v_dual_mov_b32 v16, s23
	;; [unrolled: 1-line block ×4, first 2 shown]
	v_cmp_gt_i64_e32 vcc_lo, s[4:5], v[3:4]
	s_delay_alu instid0(VALU_DEP_4) | instskip(NEXT) | instid1(VALU_DEP_3)
	v_dual_mov_b32 v24, v16 :: v_dual_mov_b32 v23, v15
	v_dual_mov_b32 v21, v13 :: v_dual_mov_b32 v22, v14
	;; [unrolled: 1-line block ×4, first 2 shown]
	s_and_b32 s17, s2, vcc_lo
	s_delay_alu instid0(SALU_CYCLE_1)
	s_and_saveexec_b32 s3, s17
	s_cbranch_execz .LBB170_10
; %bb.9:                                ;   in Loop: Header=BB170_3 Depth=1
	v_add_co_u32 v3, vcc_lo, v58, v25
	v_add_co_ci_u32_e32 v4, vcc_lo, v59, v26, vcc_lo
	v_add_co_u32 v5, vcc_lo, v60, v25
	v_add_co_ci_u32_e32 v6, vcc_lo, v61, v26, vcc_lo
	v_mov_b32_e32 v8, v2
	global_load_u16 v1, v[3:4], off
	global_load_u16 v9, v[5:6], off
	v_mov_b32_e32 v3, v2
	v_mov_b32_e32 v4, v2
	v_mov_b32_e32 v5, v2
	v_mov_b32_e32 v6, v2
	v_mov_b32_e32 v7, v2
	v_mov_b32_e32 v15, v2
	s_waitcnt vmcnt(1)
	v_cvt_f32_f16_e32 v1, v1
	v_dual_mov_b32 v11, v2 :: v_dual_mov_b32 v24, v8
	v_dual_mov_b32 v10, v2 :: v_dual_mov_b32 v23, v7
	s_waitcnt vmcnt(0)
	v_cvt_f32_f16_e32 v9, v9
	v_dual_mov_b32 v12, v2 :: v_dual_mov_b32 v21, v5
	v_dual_mov_b32 v13, v2 :: v_dual_mov_b32 v20, v4
	v_dual_mov_b32 v14, v2 :: v_dual_mov_b32 v19, v3
	v_dual_mov_b32 v16, v2 :: v_dual_mov_b32 v17, v1
	v_mov_b32_e32 v22, v6
	v_mov_b32_e32 v18, v2
.LBB170_10:                             ;   in Loop: Header=BB170_3 Depth=1
	s_or_b32 exec_lo, exec_lo, s3
	v_add_co_u32 v3, vcc_lo, 0xffffffc2, v63
	v_add_co_ci_u32_e32 v4, vcc_lo, -1, v64, vcc_lo
	s_delay_alu instid0(VALU_DEP_1) | instskip(SKIP_1) | instid1(SALU_CYCLE_1)
	v_cmp_gt_i64_e32 vcc_lo, s[4:5], v[3:4]
	s_and_b32 s17, s2, vcc_lo
	s_and_saveexec_b32 s3, s17
	s_cbranch_execz .LBB170_12
; %bb.11:                               ;   in Loop: Header=BB170_3 Depth=1
	v_add_co_u32 v3, vcc_lo, v54, v25
	v_add_co_ci_u32_e32 v4, vcc_lo, v55, v26, vcc_lo
	v_add_co_u32 v5, vcc_lo, v56, v25
	v_add_co_ci_u32_e32 v6, vcc_lo, v57, v26, vcc_lo
	global_load_u16 v1, v[3:4], off
	global_load_u16 v3, v[5:6], off
	s_waitcnt vmcnt(1)
	v_cvt_f32_f16_e32 v18, v1
	s_waitcnt vmcnt(0)
	v_cvt_f32_f16_e32 v10, v3
.LBB170_12:                             ;   in Loop: Header=BB170_3 Depth=1
	s_or_b32 exec_lo, exec_lo, s3
	v_add_co_u32 v3, vcc_lo, 0xffffffc3, v63
	v_add_co_ci_u32_e32 v4, vcc_lo, -1, v64, vcc_lo
	s_delay_alu instid0(VALU_DEP_1) | instskip(SKIP_1) | instid1(SALU_CYCLE_1)
	v_cmp_gt_i64_e32 vcc_lo, s[4:5], v[3:4]
	s_and_b32 s17, s2, vcc_lo
	s_and_saveexec_b32 s3, s17
	s_cbranch_execz .LBB170_14
; %bb.13:                               ;   in Loop: Header=BB170_3 Depth=1
	v_add_co_u32 v3, vcc_lo, v50, v25
	v_add_co_ci_u32_e32 v4, vcc_lo, v51, v26, vcc_lo
	v_add_co_u32 v5, vcc_lo, v52, v25
	v_add_co_ci_u32_e32 v6, vcc_lo, v53, v26, vcc_lo
	global_load_u16 v1, v[3:4], off
	global_load_u16 v3, v[5:6], off
	s_waitcnt vmcnt(1)
	v_cvt_f32_f16_e32 v19, v1
	s_waitcnt vmcnt(0)
	v_cvt_f32_f16_e32 v11, v3
.LBB170_14:                             ;   in Loop: Header=BB170_3 Depth=1
	;; [unrolled: 20-line block ×7, first 2 shown]
	s_or_b32 exec_lo, exec_lo, s3
	s_waitcnt vmcnt(0)
	ds_bpermute_b32 v1, v2, v65
	ds_bpermute_b32 v3, v2, v65 offset:4
	ds_bpermute_b32 v4, v2, v65 offset:8
	v_mul_f32_e32 v5, v9, v17
	ds_bpermute_b32 v6, v2, v65 offset:12
	v_mul_f32_e32 v7, v10, v18
	ds_bpermute_b32 v8, v2, v65 offset:16
	ds_bpermute_b32 v9, v2, v65 offset:20
	s_waitcnt lgkmcnt(5)
	v_fma_f32 v1, v5, v1, v62
	v_mul_f32_e32 v5, v11, v19
	s_waitcnt lgkmcnt(4)
	s_delay_alu instid0(VALU_DEP_2) | instskip(SKIP_2) | instid1(VALU_DEP_2)
	v_fmac_f32_e32 v1, v7, v3
	v_mul_f32_e32 v3, v12, v20
	s_waitcnt lgkmcnt(3)
	v_fmac_f32_e32 v1, v5, v4
	ds_bpermute_b32 v4, v2, v65 offset:24
	v_mul_f32_e32 v5, v13, v21
	s_waitcnt lgkmcnt(3)
	v_fmac_f32_e32 v1, v3, v6
	v_mul_f32_e32 v6, v14, v22
	ds_bpermute_b32 v3, v2, v65 offset:28
	s_waitcnt lgkmcnt(3)
	v_fmac_f32_e32 v1, v5, v8
	v_mul_f32_e32 v5, v15, v23
	s_waitcnt lgkmcnt(2)
	s_delay_alu instid0(VALU_DEP_2) | instskip(SKIP_1) | instid1(VALU_DEP_1)
	v_fmac_f32_e32 v1, v6, v9
	s_waitcnt lgkmcnt(1)
	v_fmac_f32_e32 v1, v5, v4
	s_branch .LBB170_40
.LBB170_25:                             ;   in Loop: Header=BB170_3 Depth=1
                                        ; implicit-def: $vgpr1
                                        ; implicit-def: $vgpr9_vgpr10_vgpr11_vgpr12_vgpr13_vgpr14_vgpr15_vgpr16
                                        ; implicit-def: $vgpr17_vgpr18_vgpr19_vgpr20_vgpr21_vgpr22_vgpr23_vgpr24
                                        ; implicit-def: $vgpr3
	s_cbranch_execz .LBB170_40
; %bb.26:                               ;   in Loop: Header=BB170_3 Depth=1
	s_load_b32 s3, s[26:27], 0x0
	v_mov_b32_e32 v65, 0
	s_waitcnt lgkmcnt(0)
	s_cmp_lt_u32 s14, s3
	s_cselect_b32 s3, 12, 18
	s_delay_alu instid0(SALU_CYCLE_1)
	s_add_u32 s18, s26, s3
	s_addc_u32 s19, s27, 0
	s_mov_b32 s3, exec_lo
	global_load_u16 v1, v2, s[18:19]
	s_waitcnt vmcnt(0)
	v_mad_u32_u24 v1, v27, v1, v29
	s_delay_alu instid0(VALU_DEP_1) | instskip(NEXT) | instid1(VALU_DEP_1)
	v_and_b32_e32 v1, 31, v1
	v_cmpx_gt_u32_e32 8, v1
	s_cbranch_execz .LBB170_30
; %bb.27:                               ;   in Loop: Header=BB170_3 Depth=1
	v_add_co_u32 v1, vcc_lo, v63, v1
	v_add_co_ci_u32_e32 v4, vcc_lo, 0, v64, vcc_lo
	v_mov_b32_e32 v65, 0
	s_delay_alu instid0(VALU_DEP_3) | instskip(NEXT) | instid1(VALU_DEP_3)
	v_add_co_u32 v3, vcc_lo, 0xffffffc1, v1
	v_add_co_ci_u32_e32 v4, vcc_lo, -1, v4, vcc_lo
	s_mov_b32 s17, exec_lo
	s_delay_alu instid0(VALU_DEP_1)
	v_cmpx_gt_i64_e64 s[4:5], v[3:4]
	s_cbranch_execz .LBB170_29
; %bb.28:                               ;   in Loop: Header=BB170_3 Depth=1
	v_lshlrev_b64 v[3:4], 2, v[3:4]
	s_delay_alu instid0(VALU_DEP_1) | instskip(NEXT) | instid1(VALU_DEP_2)
	v_add_co_u32 v3, vcc_lo, s12, v3
	v_add_co_ci_u32_e32 v4, vcc_lo, s13, v4, vcc_lo
	global_load_b32 v65, v[3:4], off
.LBB170_29:                             ;   in Loop: Header=BB170_3 Depth=1
	s_or_b32 exec_lo, exec_lo, s17
.LBB170_30:                             ;   in Loop: Header=BB170_3 Depth=1
	s_delay_alu instid0(SALU_CYCLE_1)
	s_or_b32 exec_lo, exec_lo, s3
	s_mov_b32 s22, s16
	s_mov_b32 s23, s16
	;; [unrolled: 1-line block ×7, first 2 shown]
	v_dual_mov_b32 v9, s16 :: v_dual_mov_b32 v10, s17
	v_dual_mov_b32 v15, s22 :: v_dual_mov_b32 v16, s23
	;; [unrolled: 1-line block ×4, first 2 shown]
	s_delay_alu instid0(VALU_DEP_3) | instskip(NEXT) | instid1(VALU_DEP_3)
	v_dual_mov_b32 v24, v16 :: v_dual_mov_b32 v23, v15
	v_dual_mov_b32 v20, v12 :: v_dual_mov_b32 v19, v11
	s_delay_alu instid0(VALU_DEP_3)
	v_dual_mov_b32 v22, v14 :: v_dual_mov_b32 v21, v13
	v_dual_mov_b32 v18, v10 :: v_dual_mov_b32 v17, v9
	s_and_saveexec_b32 s3, s2
	s_cbranch_execnz .LBB170_42
; %bb.31:                               ;   in Loop: Header=BB170_3 Depth=1
	s_or_b32 exec_lo, exec_lo, s3
	s_and_saveexec_b32 s3, s2
	s_cbranch_execnz .LBB170_43
.LBB170_32:                             ;   in Loop: Header=BB170_3 Depth=1
	s_or_b32 exec_lo, exec_lo, s3
	s_and_saveexec_b32 s3, s2
	s_cbranch_execnz .LBB170_44
.LBB170_33:                             ;   in Loop: Header=BB170_3 Depth=1
	s_or_b32 exec_lo, exec_lo, s3
	s_and_saveexec_b32 s3, s2
	s_cbranch_execnz .LBB170_45
.LBB170_34:                             ;   in Loop: Header=BB170_3 Depth=1
	s_or_b32 exec_lo, exec_lo, s3
	s_and_saveexec_b32 s3, s2
	s_cbranch_execnz .LBB170_46
.LBB170_35:                             ;   in Loop: Header=BB170_3 Depth=1
	s_or_b32 exec_lo, exec_lo, s3
	s_and_saveexec_b32 s3, s2
	s_cbranch_execnz .LBB170_47
.LBB170_36:                             ;   in Loop: Header=BB170_3 Depth=1
	s_or_b32 exec_lo, exec_lo, s3
	s_and_saveexec_b32 s3, s2
	s_cbranch_execnz .LBB170_48
.LBB170_37:                             ;   in Loop: Header=BB170_3 Depth=1
	s_or_b32 exec_lo, exec_lo, s3
	s_and_saveexec_b32 s3, s2
	s_cbranch_execz .LBB170_39
.LBB170_38:                             ;   in Loop: Header=BB170_3 Depth=1
	v_add_co_u32 v3, vcc_lo, v30, v25
	v_add_co_ci_u32_e32 v4, vcc_lo, v31, v26, vcc_lo
	v_add_co_u32 v5, vcc_lo, v32, v25
	v_add_co_ci_u32_e32 v6, vcc_lo, v33, v26, vcc_lo
	global_load_u16 v1, v[3:4], off
	global_load_u16 v3, v[5:6], off
	s_waitcnt vmcnt(1)
	v_cvt_f32_f16_e32 v24, v1
	s_waitcnt vmcnt(0)
	v_cvt_f32_f16_e32 v16, v3
.LBB170_39:                             ;   in Loop: Header=BB170_3 Depth=1
	s_or_b32 exec_lo, exec_lo, s3
	s_waitcnt vmcnt(0)
	ds_bpermute_b32 v1, v2, v65
	ds_bpermute_b32 v3, v2, v65 offset:4
	ds_bpermute_b32 v4, v2, v65 offset:8
	;; [unrolled: 1-line block ×3, first 2 shown]
	v_mul_f32_e32 v7, v10, v18
	v_mul_f32_e32 v5, v9, v17
	ds_bpermute_b32 v8, v2, v65 offset:16
	s_waitcnt lgkmcnt(4)
	v_dual_fmac_f32 v62, v5, v1 :: v_dual_mul_f32 v1, v11, v19
	ds_bpermute_b32 v5, v2, v65 offset:20
	s_waitcnt lgkmcnt(4)
	v_dual_fmac_f32 v62, v7, v3 :: v_dual_mul_f32 v3, v12, v20
	s_waitcnt lgkmcnt(3)
	s_delay_alu instid0(VALU_DEP_1)
	v_fmac_f32_e32 v62, v1, v4
	ds_bpermute_b32 v1, v2, v65 offset:24
	v_mul_f32_e32 v4, v13, v21
	s_waitcnt lgkmcnt(3)
	v_fmac_f32_e32 v62, v3, v6
	v_mul_f32_e32 v6, v14, v22
	ds_bpermute_b32 v3, v2, v65 offset:28
	s_waitcnt lgkmcnt(3)
	v_fmac_f32_e32 v62, v4, v8
	v_mul_f32_e32 v4, v15, v23
	s_waitcnt lgkmcnt(2)
	s_delay_alu instid0(VALU_DEP_2) | instskip(SKIP_1) | instid1(VALU_DEP_1)
	v_fmac_f32_e32 v62, v6, v5
	s_waitcnt lgkmcnt(1)
	v_fmac_f32_e32 v62, v4, v1
	s_delay_alu instid0(VALU_DEP_1)
	v_mov_b32_e32 v1, v62
.LBB170_40:                             ;   in Loop: Header=BB170_3 Depth=1
	v_add_co_u32 v30, vcc_lo, v30, s28
	v_add_co_ci_u32_e32 v31, vcc_lo, s29, v31, vcc_lo
	v_add_co_u32 v32, vcc_lo, v32, s28
	v_add_co_ci_u32_e32 v33, vcc_lo, s29, v33, vcc_lo
	;; [unrolled: 2-line block ×13, first 2 shown]
	v_add_co_u32 v56, vcc_lo, v56, s28
	s_add_u32 s34, s34, s36
	v_add_co_ci_u32_e32 v57, vcc_lo, s29, v57, vcc_lo
	v_mul_f32_e32 v4, v24, v16
	s_addc_u32 s35, s35, 0
	v_add_co_u32 v58, vcc_lo, v58, s28
	v_cmp_lt_i64_e64 s3, s[34:35], s[4:5]
	v_add_co_ci_u32_e32 v59, vcc_lo, s29, v59, vcc_lo
	v_add_co_u32 v60, vcc_lo, v60, s28
	s_waitcnt lgkmcnt(0)
	v_fmac_f32_e32 v1, v4, v3
	v_add_co_ci_u32_e32 v61, vcc_lo, s29, v61, vcc_lo
	s_add_u32 s30, s30, s36
	s_addc_u32 s31, s31, 0
	s_and_b32 vcc_lo, exec_lo, s3
	s_cbranch_vccz .LBB170_50
; %bb.41:                               ;   in Loop: Header=BB170_3 Depth=1
	v_mov_b32_e32 v62, v1
	s_branch .LBB170_3
.LBB170_42:                             ;   in Loop: Header=BB170_3 Depth=1
	v_add_co_u32 v3, vcc_lo, v58, v25
	v_add_co_ci_u32_e32 v4, vcc_lo, v59, v26, vcc_lo
	v_add_co_u32 v5, vcc_lo, v60, v25
	v_add_co_ci_u32_e32 v6, vcc_lo, v61, v26, vcc_lo
	v_mov_b32_e32 v8, v2
	global_load_u16 v1, v[3:4], off
	global_load_u16 v9, v[5:6], off
	v_mov_b32_e32 v3, v2
	v_mov_b32_e32 v4, v2
	v_mov_b32_e32 v5, v2
	v_mov_b32_e32 v6, v2
	v_mov_b32_e32 v7, v2
	v_mov_b32_e32 v15, v2
	s_waitcnt vmcnt(1)
	v_cvt_f32_f16_e32 v1, v1
	v_dual_mov_b32 v11, v2 :: v_dual_mov_b32 v24, v8
	v_dual_mov_b32 v10, v2 :: v_dual_mov_b32 v23, v7
	s_waitcnt vmcnt(0)
	v_cvt_f32_f16_e32 v9, v9
	v_dual_mov_b32 v12, v2 :: v_dual_mov_b32 v21, v5
	v_dual_mov_b32 v13, v2 :: v_dual_mov_b32 v20, v4
	;; [unrolled: 1-line block ×4, first 2 shown]
	v_mov_b32_e32 v22, v6
	v_mov_b32_e32 v18, v2
	s_or_b32 exec_lo, exec_lo, s3
	s_and_saveexec_b32 s3, s2
	s_cbranch_execz .LBB170_32
.LBB170_43:                             ;   in Loop: Header=BB170_3 Depth=1
	v_add_co_u32 v3, vcc_lo, v54, v25
	v_add_co_ci_u32_e32 v4, vcc_lo, v55, v26, vcc_lo
	v_add_co_u32 v5, vcc_lo, v56, v25
	v_add_co_ci_u32_e32 v6, vcc_lo, v57, v26, vcc_lo
	global_load_u16 v1, v[3:4], off
	global_load_u16 v3, v[5:6], off
	s_waitcnt vmcnt(1)
	v_cvt_f32_f16_e32 v18, v1
	s_waitcnt vmcnt(0)
	v_cvt_f32_f16_e32 v10, v3
	s_or_b32 exec_lo, exec_lo, s3
	s_and_saveexec_b32 s3, s2
	s_cbranch_execz .LBB170_33
.LBB170_44:                             ;   in Loop: Header=BB170_3 Depth=1
	v_add_co_u32 v3, vcc_lo, v50, v25
	v_add_co_ci_u32_e32 v4, vcc_lo, v51, v26, vcc_lo
	v_add_co_u32 v5, vcc_lo, v52, v25
	v_add_co_ci_u32_e32 v6, vcc_lo, v53, v26, vcc_lo
	global_load_u16 v1, v[3:4], off
	global_load_u16 v3, v[5:6], off
	s_waitcnt vmcnt(1)
	v_cvt_f32_f16_e32 v19, v1
	s_waitcnt vmcnt(0)
	v_cvt_f32_f16_e32 v11, v3
	s_or_b32 exec_lo, exec_lo, s3
	s_and_saveexec_b32 s3, s2
	s_cbranch_execz .LBB170_34
.LBB170_45:                             ;   in Loop: Header=BB170_3 Depth=1
	v_add_co_u32 v3, vcc_lo, v46, v25
	v_add_co_ci_u32_e32 v4, vcc_lo, v47, v26, vcc_lo
	v_add_co_u32 v5, vcc_lo, v48, v25
	v_add_co_ci_u32_e32 v6, vcc_lo, v49, v26, vcc_lo
	global_load_u16 v1, v[3:4], off
	global_load_u16 v3, v[5:6], off
	s_waitcnt vmcnt(1)
	v_cvt_f32_f16_e32 v20, v1
	s_waitcnt vmcnt(0)
	v_cvt_f32_f16_e32 v12, v3
	s_or_b32 exec_lo, exec_lo, s3
	s_and_saveexec_b32 s3, s2
	s_cbranch_execz .LBB170_35
.LBB170_46:                             ;   in Loop: Header=BB170_3 Depth=1
	v_add_co_u32 v3, vcc_lo, v42, v25
	v_add_co_ci_u32_e32 v4, vcc_lo, v43, v26, vcc_lo
	v_add_co_u32 v5, vcc_lo, v44, v25
	v_add_co_ci_u32_e32 v6, vcc_lo, v45, v26, vcc_lo
	global_load_u16 v1, v[3:4], off
	global_load_u16 v3, v[5:6], off
	s_waitcnt vmcnt(1)
	v_cvt_f32_f16_e32 v21, v1
	s_waitcnt vmcnt(0)
	v_cvt_f32_f16_e32 v13, v3
	s_or_b32 exec_lo, exec_lo, s3
	s_and_saveexec_b32 s3, s2
	s_cbranch_execz .LBB170_36
.LBB170_47:                             ;   in Loop: Header=BB170_3 Depth=1
	v_add_co_u32 v3, vcc_lo, v38, v25
	v_add_co_ci_u32_e32 v4, vcc_lo, v39, v26, vcc_lo
	v_add_co_u32 v5, vcc_lo, v40, v25
	v_add_co_ci_u32_e32 v6, vcc_lo, v41, v26, vcc_lo
	global_load_u16 v1, v[3:4], off
	global_load_u16 v3, v[5:6], off
	s_waitcnt vmcnt(1)
	v_cvt_f32_f16_e32 v22, v1
	s_waitcnt vmcnt(0)
	v_cvt_f32_f16_e32 v14, v3
	s_or_b32 exec_lo, exec_lo, s3
	s_and_saveexec_b32 s3, s2
	s_cbranch_execz .LBB170_37
.LBB170_48:                             ;   in Loop: Header=BB170_3 Depth=1
	v_add_co_u32 v3, vcc_lo, v34, v25
	v_add_co_ci_u32_e32 v4, vcc_lo, v35, v26, vcc_lo
	v_add_co_u32 v5, vcc_lo, v36, v25
	v_add_co_ci_u32_e32 v6, vcc_lo, v37, v26, vcc_lo
	global_load_u16 v1, v[3:4], off
	global_load_u16 v3, v[5:6], off
	s_waitcnt vmcnt(1)
	v_cvt_f32_f16_e32 v23, v1
	s_waitcnt vmcnt(0)
	v_cvt_f32_f16_e32 v15, v3
	s_or_b32 exec_lo, exec_lo, s3
	s_and_saveexec_b32 s3, s2
	s_cbranch_execnz .LBB170_38
	s_branch .LBB170_39
.LBB170_49:
                                        ; implicit-def: $vgpr1
	s_branch .LBB170_51
.LBB170_50:
	s_cbranch_execnz .LBB170_83
.LBB170_51:
	v_mov_b32_e32 v1, 0
	s_and_not1_b32 vcc_lo, exec_lo, s15
	s_cbranch_vccnz .LBB170_83
; %bb.52:
	s_load_b32 s2, s[0:1], 0x44
	v_dual_mov_b32 v2, 0 :: v_dual_and_b32 v55, 0x3ff, v0
	v_bfe_u32 v56, v0, 10, 10
	s_add_u32 s26, s0, 64
	s_addc_u32 s27, s1, 0
	s_delay_alu instid0(VALU_DEP_2) | instskip(NEXT) | instid1(VALU_DEP_2)
	v_dual_mov_b32 v90, 0 :: v_dual_add_nc_u32 v1, s33, v55
	v_lshlrev_b32_e32 v3, 4, v56
	v_lshlrev_b32_e32 v57, 3, v56
	s_delay_alu instid0(VALU_DEP_3)
	v_lshlrev_b64 v[25:26], 1, v[1:2]
	s_waitcnt lgkmcnt(0)
	s_lshl_b32 s15, s2, 6
	s_add_u32 s28, s24, 63
	s_addc_u32 s29, 0, 0
	s_lshl_b64 s[2:3], s[24:25], 1
	s_mul_i32 s16, s7, s15
	v_add_co_u32 v1, s2, v3, s2
	s_delay_alu instid0(VALU_DEP_1) | instskip(SKIP_1) | instid1(VALU_DEP_3)
	v_add_co_ci_u32_e64 v3, null, 0, s3, s2
	v_add_co_u32 v74, s3, v57, s24
	v_add_co_u32 v7, vcc_lo, v1, 2
	s_delay_alu instid0(VALU_DEP_3) | instskip(SKIP_3) | instid1(VALU_DEP_4)
	v_add_co_ci_u32_e32 v4, vcc_lo, 0, v3, vcc_lo
	v_add_co_u32 v8, vcc_lo, v1, 4
	v_add_co_ci_u32_e32 v5, vcc_lo, 0, v3, vcc_lo
	v_add_co_u32 v11, vcc_lo, v1, 6
	v_mul_lo_u32 v9, s6, v4
	v_add_co_ci_u32_e32 v4, vcc_lo, 0, v3, vcc_lo
	v_add_co_u32 v14, vcc_lo, v1, 8
	v_mul_lo_u32 v12, s6, v5
	;; [unrolled: 3-line block ×4, first 2 shown]
	v_add_co_ci_u32_e32 v5, vcc_lo, 0, v3, vcc_lo
	v_add_co_ci_u32_e64 v75, null, 0, 0, s3
	v_add_co_u32 v1, vcc_lo, v1, 14
	v_mul_lo_u32 v21, s6, v4
	s_delay_alu instid0(VALU_DEP_4) | instskip(SKIP_4) | instid1(VALU_DEP_4)
	v_mul_lo_u32 v23, s6, v5
	v_add_co_ci_u32_e32 v5, vcc_lo, 0, v3, vcc_lo
	v_mul_lo_u32 v6, s7, v74
	v_mul_lo_u32 v41, s6, v75
	v_mad_u64_u32 v[3:4], null, s6, v74, 0
	v_mul_lo_u32 v60, s6, v5
	v_mad_u64_u32 v[27:28], null, s6, v7, s[8:9]
	;; [unrolled: 2-line block ×3, first 2 shown]
	v_add3_u32 v4, v4, v41, v6
	v_mad_u64_u32 v[41:42], null, s6, v7, s[10:11]
	v_mul_lo_u32 v13, s7, v8
	v_mad_u64_u32 v[43:44], null, s6, v8, s[10:11]
	s_delay_alu instid0(VALU_DEP_4)
	v_lshlrev_b64 v[5:6], 1, v[3:4]
	v_add3_u32 v28, v10, v28, v9
	v_mad_u64_u32 v[31:32], null, s6, v11, s[8:9]
	v_add3_u32 v42, v10, v42, v9
	v_add3_u32 v30, v13, v30, v12
	v_add_co_u32 v58, vcc_lo, s8, v5
	v_add_co_ci_u32_e32 v59, vcc_lo, s9, v6, vcc_lo
	v_add_co_u32 v9, vcc_lo, v74, 7
	v_add_co_ci_u32_e32 v7, vcc_lo, 0, v75, vcc_lo
	v_add3_u32 v44, v13, v44, v12
	v_add_co_u32 v12, vcc_lo, v74, 6
	v_mul_lo_u32 v16, s7, v11
	v_mad_u64_u32 v[39:40], null, s6, v1, s[8:9]
	v_mul_lo_u32 v61, s7, v1
	v_mad_u64_u32 v[45:46], null, s6, v11, s[10:11]
	v_mad_u64_u32 v[53:54], null, s6, v1, s[10:11]
	v_mul_lo_u32 v1, s7, v9
	v_mul_lo_u32 v11, s6, v7
	v_mad_u64_u32 v[7:8], null, s6, v9, 0
	v_add_co_ci_u32_e32 v10, vcc_lo, 0, v75, vcc_lo
	v_mad_u64_u32 v[33:34], null, s6, v14, s[8:9]
	v_mul_lo_u32 v19, s7, v14
	v_mad_u64_u32 v[47:48], null, s6, v14, s[10:11]
	v_mul_lo_u32 v13, s7, v12
	v_mul_lo_u32 v14, s6, v10
	v_mad_u64_u32 v[9:10], null, s6, v12, 0
	v_add3_u32 v8, v8, v11, v1
	v_add3_u32 v40, v61, v40, v60
	;; [unrolled: 1-line block ×3, first 2 shown]
	v_add_co_u32 v60, vcc_lo, s10, v5
	v_add_co_ci_u32_e32 v61, vcc_lo, s11, v6, vcc_lo
	v_lshlrev_b64 v[5:6], 1, v[7:8]
	v_add3_u32 v10, v10, v14, v13
	v_add_co_u32 v1, vcc_lo, v74, 5
	v_add_co_ci_u32_e32 v11, vcc_lo, 0, v75, vcc_lo
	s_delay_alu instid0(VALU_DEP_4) | instskip(NEXT) | instid1(VALU_DEP_4)
	v_add_co_u32 v62, vcc_lo, s8, v5
	v_lshlrev_b64 v[7:8], 1, v[9:10]
	v_add_co_ci_u32_e32 v63, vcc_lo, s9, v6, vcc_lo
	v_mul_lo_u32 v12, s7, v1
	v_mul_lo_u32 v11, s6, v11
	v_mad_u64_u32 v[9:10], null, s6, v1, 0
	v_add_co_u32 v64, vcc_lo, s10, v5
	v_add_co_ci_u32_e32 v65, vcc_lo, s11, v6, vcc_lo
	v_add_co_u32 v66, vcc_lo, s8, v7
	v_add_co_ci_u32_e32 v67, vcc_lo, s9, v8, vcc_lo
	s_mul_hi_u32 s2, s6, s15
	v_add_co_u32 v1, vcc_lo, v74, 4
	v_add3_u32 v10, v10, v11, v12
	s_add_i32 s3, s2, s16
	v_add_co_u32 v68, s2, s10, v7
	v_add_co_ci_u32_e32 v7, vcc_lo, 0, v75, vcc_lo
	v_add_co_u32 v12, vcc_lo, v74, 3
	v_lshlrev_b64 v[5:6], 1, v[9:10]
	v_add_co_ci_u32_e32 v9, vcc_lo, 0, v75, vcc_lo
	v_add_co_ci_u32_e64 v69, s2, s11, v8, s2
	v_mul_lo_u32 v11, s7, v1
	v_mul_lo_u32 v13, s6, v7
	v_mad_u64_u32 v[7:8], null, s6, v1, 0
	v_mul_lo_u32 v1, s7, v12
	v_mul_lo_u32 v14, s6, v9
	v_mad_u64_u32 v[9:10], null, s6, v12, 0
	v_add_co_u32 v70, vcc_lo, s8, v5
	v_add_co_ci_u32_e32 v71, vcc_lo, s9, v6, vcc_lo
	v_add3_u32 v8, v8, v13, v11
	v_add_co_u32 v72, vcc_lo, s10, v5
	v_add_co_ci_u32_e32 v73, vcc_lo, s11, v6, vcc_lo
	v_add3_u32 v10, v10, v14, v1
	v_add_co_u32 v1, vcc_lo, v74, 2
	v_lshlrev_b64 v[5:6], 1, v[7:8]
	v_add_co_ci_u32_e32 v11, vcc_lo, 0, v75, vcc_lo
	s_delay_alu instid0(VALU_DEP_4) | instskip(NEXT) | instid1(VALU_DEP_4)
	v_lshlrev_b64 v[7:8], 1, v[9:10]
	v_mul_lo_u32 v12, s7, v1
	v_mad_u64_u32 v[9:10], null, s6, v1, 0
	v_add_co_u32 v74, vcc_lo, s8, v5
	v_mul_lo_u32 v11, s6, v11
	v_add_co_ci_u32_e32 v75, vcc_lo, s9, v6, vcc_lo
	v_add_co_u32 v76, vcc_lo, s10, v5
	v_add_co_ci_u32_e32 v77, vcc_lo, s11, v6, vcc_lo
	v_add_co_u32 v78, vcc_lo, s8, v7
	v_add_co_ci_u32_e32 v79, vcc_lo, s9, v8, vcc_lo
	v_add3_u32 v10, v10, v11, v12
	v_add_co_u32 v80, vcc_lo, s10, v7
	v_add_co_ci_u32_e32 v81, vcc_lo, s11, v8, vcc_lo
	v_add_co_u32 v3, vcc_lo, v3, s6
	s_delay_alu instid0(VALU_DEP_4) | instskip(SKIP_3) | instid1(VALU_DEP_4)
	v_lshlrev_b64 v[5:6], 1, v[9:10]
	v_add_co_ci_u32_e32 v4, vcc_lo, s7, v4, vcc_lo
	v_mad_u64_u32 v[35:36], null, s6, v18, s[8:9]
	v_mul_lo_u32 v22, s7, v18
	v_add_co_u32 v82, vcc_lo, s8, v5
	s_delay_alu instid0(VALU_DEP_4)
	v_lshlrev_b64 v[3:4], 1, v[3:4]
	v_add_co_ci_u32_e32 v83, vcc_lo, s9, v6, vcc_lo
	v_mad_u64_u32 v[37:38], null, s6, v20, s[8:9]
	v_mul_lo_u32 v24, s7, v20
	v_mad_u64_u32 v[49:50], null, s6, v18, s[10:11]
	v_mad_u64_u32 v[51:52], null, s6, v20, s[10:11]
	v_add_co_u32 v84, vcc_lo, s10, v5
	v_add_co_ci_u32_e32 v85, vcc_lo, s11, v6, vcc_lo
	v_add_co_u32 v86, vcc_lo, s8, v3
	v_add_co_ci_u32_e32 v87, vcc_lo, s9, v4, vcc_lo
	v_add_co_u32 v88, vcc_lo, s10, v3
	v_add3_u32 v32, v16, v32, v15
	v_add3_u32 v34, v19, v34, v17
	;; [unrolled: 1-line block ×8, first 2 shown]
	v_add_co_ci_u32_e32 v89, vcc_lo, s11, v4, vcc_lo
	s_mul_i32 s2, s6, s15
	s_mov_b32 s16, 0
	s_lshl_b64 s[2:3], s[2:3], 1
.LBB170_53:                             ; =>This Inner Loop Header: Depth=1
	v_cmp_ge_i64_e64 s8, s[28:29], s[4:5]
	v_add_co_u32 v91, s9, v57, s28
	s_delay_alu instid0(VALU_DEP_1) | instskip(NEXT) | instid1(VALU_DEP_3)
	v_add_co_ci_u32_e64 v92, null, 0, s29, s9
	s_and_b32 vcc_lo, exec_lo, s8
	s_cbranch_vccz .LBB170_75
; %bb.54:                               ;   in Loop: Header=BB170_53 Depth=1
	s_load_b32 s8, s[26:27], 0xc
	v_mov_b32_e32 v93, 0
	s_waitcnt lgkmcnt(0)
	s_and_b32 s8, s8, 0xffff
	s_delay_alu instid0(SALU_CYCLE_1) | instskip(SKIP_1) | instid1(VALU_DEP_1)
	v_mad_u32_u24 v1, v56, s8, v55
	s_mov_b32 s8, exec_lo
	v_and_b32_e32 v1, 31, v1
	s_delay_alu instid0(VALU_DEP_1)
	v_cmpx_gt_u32_e32 8, v1
	s_cbranch_execz .LBB170_58
; %bb.55:                               ;   in Loop: Header=BB170_53 Depth=1
	v_add_co_u32 v1, vcc_lo, v91, v1
	v_add_co_ci_u32_e32 v4, vcc_lo, 0, v92, vcc_lo
	v_mov_b32_e32 v93, 0
	s_delay_alu instid0(VALU_DEP_3) | instskip(NEXT) | instid1(VALU_DEP_3)
	v_add_co_u32 v3, vcc_lo, 0xffffffc1, v1
	v_add_co_ci_u32_e32 v4, vcc_lo, -1, v4, vcc_lo
	s_mov_b32 s9, exec_lo
	s_delay_alu instid0(VALU_DEP_1)
	v_cmpx_gt_i64_e64 s[4:5], v[3:4]
	s_cbranch_execz .LBB170_57
; %bb.56:                               ;   in Loop: Header=BB170_53 Depth=1
	v_lshlrev_b64 v[3:4], 2, v[3:4]
	s_delay_alu instid0(VALU_DEP_1) | instskip(NEXT) | instid1(VALU_DEP_2)
	v_add_co_u32 v3, vcc_lo, s12, v3
	v_add_co_ci_u32_e32 v4, vcc_lo, s13, v4, vcc_lo
	global_load_b32 v93, v[3:4], off
.LBB170_57:                             ;   in Loop: Header=BB170_53 Depth=1
	s_or_b32 exec_lo, exec_lo, s9
.LBB170_58:                             ;   in Loop: Header=BB170_53 Depth=1
	s_delay_alu instid0(SALU_CYCLE_1)
	s_or_b32 exec_lo, exec_lo, s8
	s_mov_b32 s22, s16
	s_mov_b32 s23, s16
	s_mov_b32 s17, s16
	s_mov_b32 s18, s16
	s_mov_b32 s19, s16
	s_mov_b32 s20, s16
	s_mov_b32 s21, s16
	v_dual_mov_b32 v9, s16 :: v_dual_mov_b32 v10, s17
	v_dual_mov_b32 v15, s22 :: v_dual_mov_b32 v16, s23
	;; [unrolled: 1-line block ×4, first 2 shown]
	v_add_co_u32 v3, vcc_lo, 0xffffffc1, v91
	s_delay_alu instid0(VALU_DEP_4) | instskip(SKIP_1) | instid1(VALU_DEP_4)
	v_dual_mov_b32 v24, v16 :: v_dual_mov_b32 v23, v15
	v_add_co_ci_u32_e32 v4, vcc_lo, -1, v92, vcc_lo
	v_dual_mov_b32 v22, v14 :: v_dual_mov_b32 v21, v13
	v_dual_mov_b32 v20, v12 :: v_dual_mov_b32 v19, v11
	v_dual_mov_b32 v18, v10 :: v_dual_mov_b32 v17, v9
	s_mov_b32 s8, exec_lo
	v_cmpx_gt_i64_e64 s[4:5], v[3:4]
	s_cbranch_execz .LBB170_60
; %bb.59:                               ;   in Loop: Header=BB170_53 Depth=1
	v_add_co_u32 v3, vcc_lo, v58, v25
	v_add_co_ci_u32_e32 v4, vcc_lo, v59, v26, vcc_lo
	v_add_co_u32 v5, vcc_lo, v60, v25
	v_add_co_ci_u32_e32 v6, vcc_lo, v61, v26, vcc_lo
	v_mov_b32_e32 v8, v2
	global_load_u16 v1, v[3:4], off
	global_load_u16 v9, v[5:6], off
	v_mov_b32_e32 v3, v2
	v_mov_b32_e32 v4, v2
	;; [unrolled: 1-line block ×6, first 2 shown]
	s_waitcnt vmcnt(1)
	v_cvt_f32_f16_e32 v1, v1
	v_dual_mov_b32 v11, v2 :: v_dual_mov_b32 v24, v8
	v_dual_mov_b32 v10, v2 :: v_dual_mov_b32 v23, v7
	s_waitcnt vmcnt(0)
	v_cvt_f32_f16_e32 v9, v9
	v_dual_mov_b32 v12, v2 :: v_dual_mov_b32 v21, v5
	v_dual_mov_b32 v13, v2 :: v_dual_mov_b32 v20, v4
	;; [unrolled: 1-line block ×4, first 2 shown]
	v_mov_b32_e32 v22, v6
	v_mov_b32_e32 v18, v2
.LBB170_60:                             ;   in Loop: Header=BB170_53 Depth=1
	s_or_b32 exec_lo, exec_lo, s8
	v_add_co_u32 v3, vcc_lo, 0xffffffc2, v91
	v_add_co_ci_u32_e32 v4, vcc_lo, -1, v92, vcc_lo
	s_mov_b32 s8, exec_lo
	s_delay_alu instid0(VALU_DEP_1)
	v_cmpx_gt_i64_e64 s[4:5], v[3:4]
	s_cbranch_execz .LBB170_62
; %bb.61:                               ;   in Loop: Header=BB170_53 Depth=1
	v_add_co_u32 v3, vcc_lo, v86, v25
	v_add_co_ci_u32_e32 v4, vcc_lo, v87, v26, vcc_lo
	v_add_co_u32 v5, vcc_lo, v88, v25
	v_add_co_ci_u32_e32 v6, vcc_lo, v89, v26, vcc_lo
	global_load_u16 v1, v[3:4], off
	global_load_u16 v3, v[5:6], off
	s_waitcnt vmcnt(1)
	v_cvt_f32_f16_e32 v18, v1
	s_waitcnt vmcnt(0)
	v_cvt_f32_f16_e32 v10, v3
.LBB170_62:                             ;   in Loop: Header=BB170_53 Depth=1
	s_or_b32 exec_lo, exec_lo, s8
	v_add_co_u32 v3, vcc_lo, 0xffffffc3, v91
	v_add_co_ci_u32_e32 v4, vcc_lo, -1, v92, vcc_lo
	s_mov_b32 s8, exec_lo
	s_delay_alu instid0(VALU_DEP_1)
	v_cmpx_gt_i64_e64 s[4:5], v[3:4]
	s_cbranch_execz .LBB170_64
; %bb.63:                               ;   in Loop: Header=BB170_53 Depth=1
	v_add_co_u32 v3, vcc_lo, v82, v25
	v_add_co_ci_u32_e32 v4, vcc_lo, v83, v26, vcc_lo
	v_add_co_u32 v5, vcc_lo, v84, v25
	v_add_co_ci_u32_e32 v6, vcc_lo, v85, v26, vcc_lo
	global_load_u16 v1, v[3:4], off
	global_load_u16 v3, v[5:6], off
	s_waitcnt vmcnt(1)
	v_cvt_f32_f16_e32 v19, v1
	s_waitcnt vmcnt(0)
	v_cvt_f32_f16_e32 v11, v3
.LBB170_64:                             ;   in Loop: Header=BB170_53 Depth=1
	;; [unrolled: 19-line block ×7, first 2 shown]
	s_or_b32 exec_lo, exec_lo, s8
	s_waitcnt vmcnt(0)
	ds_bpermute_b32 v1, v2, v93
	ds_bpermute_b32 v3, v2, v93 offset:4
	ds_bpermute_b32 v4, v2, v93 offset:8
	v_mul_f32_e32 v5, v9, v17
	ds_bpermute_b32 v6, v2, v93 offset:12
	v_mul_f32_e32 v7, v10, v18
	ds_bpermute_b32 v8, v2, v93 offset:16
	ds_bpermute_b32 v9, v2, v93 offset:20
	s_waitcnt lgkmcnt(5)
	v_fma_f32 v1, v5, v1, v90
	v_mul_f32_e32 v5, v11, v19
	s_waitcnt lgkmcnt(4)
	s_delay_alu instid0(VALU_DEP_2)
	v_fmac_f32_e32 v1, v7, v3
	v_mul_f32_e32 v3, v12, v20
	ds_bpermute_b32 v7, v2, v93 offset:24
	s_waitcnt lgkmcnt(4)
	v_fmac_f32_e32 v1, v5, v4
	v_dual_mul_f32 v4, v13, v21 :: v_dual_mul_f32 v5, v14, v22
	s_waitcnt lgkmcnt(3)
	s_delay_alu instid0(VALU_DEP_2) | instskip(SKIP_4) | instid1(VALU_DEP_1)
	v_fmac_f32_e32 v1, v3, v6
	ds_bpermute_b32 v3, v2, v93 offset:28
	s_waitcnt lgkmcnt(3)
	v_dual_fmac_f32 v1, v4, v8 :: v_dual_mul_f32 v4, v15, v23
	s_waitcnt lgkmcnt(2)
	v_fmac_f32_e32 v1, v5, v9
	s_waitcnt lgkmcnt(1)
	s_delay_alu instid0(VALU_DEP_1) | instskip(SKIP_2) | instid1(VALU_DEP_1)
	v_fmac_f32_e32 v1, v4, v7
	v_mul_f32_e32 v4, v16, v24
	s_waitcnt lgkmcnt(0)
	v_fmac_f32_e32 v1, v4, v3
	s_branch .LBB170_81
.LBB170_75:                             ;   in Loop: Header=BB170_53 Depth=1
                                        ; implicit-def: $vgpr1
	s_cbranch_execz .LBB170_81
; %bb.76:                               ;   in Loop: Header=BB170_53 Depth=1
	s_load_b32 s8, s[26:27], 0x0
	s_waitcnt lgkmcnt(0)
	s_cmp_lt_u32 s14, s8
	s_cselect_b32 s8, 12, 18
	s_delay_alu instid0(SALU_CYCLE_1)
	s_add_u32 s8, s26, s8
	s_addc_u32 s9, s27, 0
	global_load_u16 v1, v2, s[8:9]
	s_mov_b32 s8, exec_lo
	s_waitcnt vmcnt(0)
	v_mad_u32_u24 v1, v56, v1, v55
	s_delay_alu instid0(VALU_DEP_1) | instskip(SKIP_1) | instid1(VALU_DEP_2)
	v_and_b32_e32 v3, 31, v1
	v_mov_b32_e32 v1, 0
	v_cmpx_gt_u32_e32 8, v3
	s_cbranch_execz .LBB170_80
; %bb.77:                               ;   in Loop: Header=BB170_53 Depth=1
	v_add_co_u32 v1, vcc_lo, v91, v3
	v_add_co_ci_u32_e32 v4, vcc_lo, 0, v92, vcc_lo
	s_mov_b32 s9, exec_lo
	s_delay_alu instid0(VALU_DEP_2) | instskip(NEXT) | instid1(VALU_DEP_2)
	v_add_co_u32 v3, vcc_lo, 0xffffffc1, v1
	v_add_co_ci_u32_e32 v4, vcc_lo, -1, v4, vcc_lo
	v_mov_b32_e32 v1, 0
	s_delay_alu instid0(VALU_DEP_2)
	v_cmpx_gt_i64_e64 s[4:5], v[3:4]
	s_cbranch_execz .LBB170_79
; %bb.78:                               ;   in Loop: Header=BB170_53 Depth=1
	v_lshlrev_b64 v[3:4], 2, v[3:4]
	s_delay_alu instid0(VALU_DEP_1) | instskip(NEXT) | instid1(VALU_DEP_2)
	v_add_co_u32 v3, vcc_lo, s12, v3
	v_add_co_ci_u32_e32 v4, vcc_lo, s13, v4, vcc_lo
	global_load_b32 v1, v[3:4], off
.LBB170_79:                             ;   in Loop: Header=BB170_53 Depth=1
	s_or_b32 exec_lo, exec_lo, s9
.LBB170_80:                             ;   in Loop: Header=BB170_53 Depth=1
	s_delay_alu instid0(SALU_CYCLE_1)
	s_or_b32 exec_lo, exec_lo, s8
	v_add_co_u32 v3, vcc_lo, v58, v25
	v_add_co_ci_u32_e32 v4, vcc_lo, v59, v26, vcc_lo
	v_add_co_u32 v5, vcc_lo, v60, v25
	v_add_co_ci_u32_e32 v6, vcc_lo, v61, v26, vcc_lo
	;; [unrolled: 2-line block ×5, first 2 shown]
	global_load_u16 v13, v[3:4], off
	global_load_u16 v14, v[5:6], off
	;; [unrolled: 1-line block ×5, first 2 shown]
	v_add_co_u32 v3, vcc_lo, v43, v25
	v_add_co_ci_u32_e32 v4, vcc_lo, v44, v26, vcc_lo
	v_add_co_u32 v5, vcc_lo, v31, v25
	v_add_co_ci_u32_e32 v6, vcc_lo, v32, v26, vcc_lo
	;; [unrolled: 2-line block ×5, first 2 shown]
	global_load_u16 v18, v[3:4], off
	global_load_u16 v19, v[5:6], off
	;; [unrolled: 1-line block ×5, first 2 shown]
	v_add_co_u32 v3, vcc_lo, v35, v25
	v_add_co_ci_u32_e32 v4, vcc_lo, v36, v26, vcc_lo
	v_add_co_u32 v5, vcc_lo, v49, v25
	v_add_co_ci_u32_e32 v6, vcc_lo, v50, v26, vcc_lo
	;; [unrolled: 2-line block ×4, first 2 shown]
	global_load_u16 v12, v[3:4], off
	global_load_u16 v22, v[5:6], off
	;; [unrolled: 1-line block ×4, first 2 shown]
	v_add_co_u32 v3, vcc_lo, v39, v25
	v_add_co_ci_u32_e32 v4, vcc_lo, v40, v26, vcc_lo
	v_add_co_u32 v5, vcc_lo, v53, v25
	v_add_co_ci_u32_e32 v6, vcc_lo, v54, v26, vcc_lo
	global_load_u16 v3, v[3:4], off
	global_load_u16 v4, v[5:6], off
	s_waitcnt vmcnt(16)
	ds_bpermute_b32 v5, v2, v1
	ds_bpermute_b32 v6, v2, v1 offset:4
	ds_bpermute_b32 v9, v2, v1 offset:8
	s_waitcnt vmcnt(15)
	v_cvt_f32_f16_e32 v10, v13
	s_waitcnt vmcnt(14)
	v_cvt_f32_f16_e32 v13, v14
	ds_bpermute_b32 v14, v2, v1 offset:12
	s_waitcnt vmcnt(13)
	v_cvt_f32_f16_e32 v15, v15
	s_waitcnt vmcnt(12)
	v_cvt_f32_f16_e32 v16, v16
	;; [unrolled: 2-line block ×3, first 2 shown]
	v_mul_f32_e32 v10, v10, v13
	ds_bpermute_b32 v13, v2, v1 offset:16
	v_mul_f32_e32 v15, v15, v16
	s_waitcnt vmcnt(10)
	v_cvt_f32_f16_e32 v18, v18
	s_waitcnt lgkmcnt(4)
	v_fmac_f32_e32 v90, v10, v5
	ds_bpermute_b32 v5, v2, v1 offset:20
	s_waitcnt vmcnt(9)
	v_cvt_f32_f16_e32 v10, v19
	s_waitcnt vmcnt(8)
	v_cvt_f32_f16_e32 v16, v20
	v_mul_f32_e32 v17, v17, v18
	s_waitcnt lgkmcnt(4)
	v_fmac_f32_e32 v90, v15, v6
	ds_bpermute_b32 v6, v2, v1 offset:24
	s_waitcnt vmcnt(7)
	v_cvt_f32_f16_e32 v15, v21
	s_waitcnt vmcnt(6)
	v_cvt_f32_f16_e32 v11, v11
	v_mul_f32_e32 v10, v10, v16
	ds_bpermute_b32 v1, v2, v1 offset:28
	v_mul_f32_e32 v11, v15, v11
	s_waitcnt vmcnt(3)
	v_cvt_f32_f16_e32 v7, v7
	s_waitcnt vmcnt(2)
	v_cvt_f32_f16_e32 v8, v8
	s_waitcnt lgkmcnt(5)
	v_fmac_f32_e32 v90, v17, v9
	v_cvt_f32_f16_e32 v9, v12
	v_cvt_f32_f16_e32 v12, v22
	v_mul_f32_e32 v7, v7, v8
	s_delay_alu instid0(VALU_DEP_2)
	v_mul_f32_e32 v9, v9, v12
	s_waitcnt vmcnt(1)
	v_cvt_f32_f16_e32 v3, v3
	s_waitcnt vmcnt(0)
	v_cvt_f32_f16_e32 v4, v4
	s_waitcnt lgkmcnt(4)
	s_delay_alu instid0(VALU_DEP_1) | instskip(SKIP_1) | instid1(VALU_DEP_1)
	v_dual_fmac_f32 v90, v10, v14 :: v_dual_mul_f32 v3, v3, v4
	s_waitcnt lgkmcnt(3)
	v_fmac_f32_e32 v90, v11, v13
	s_waitcnt lgkmcnt(2)
	s_delay_alu instid0(VALU_DEP_1) | instskip(SKIP_1) | instid1(VALU_DEP_1)
	v_fmac_f32_e32 v90, v9, v5
	s_waitcnt lgkmcnt(1)
	v_fmac_f32_e32 v90, v7, v6
	s_waitcnt lgkmcnt(0)
	s_delay_alu instid0(VALU_DEP_1) | instskip(NEXT) | instid1(VALU_DEP_1)
	v_fmac_f32_e32 v90, v3, v1
	v_mov_b32_e32 v1, v90
.LBB170_81:                             ;   in Loop: Header=BB170_53 Depth=1
	v_add_co_u32 v27, vcc_lo, v27, s2
	v_add_co_ci_u32_e32 v28, vcc_lo, s3, v28, vcc_lo
	v_add_co_u32 v29, vcc_lo, v29, s2
	v_add_co_ci_u32_e32 v30, vcc_lo, s3, v30, vcc_lo
	;; [unrolled: 2-line block ×27, first 2 shown]
	v_add_co_u32 v84, vcc_lo, v84, s2
	s_add_u32 s24, s24, s15
	v_add_co_ci_u32_e32 v85, vcc_lo, s3, v85, vcc_lo
	s_addc_u32 s25, s25, 0
	v_add_co_u32 v86, vcc_lo, v86, s2
	v_cmp_ge_i64_e64 s8, s[24:25], s[4:5]
	v_add_co_ci_u32_e32 v87, vcc_lo, s3, v87, vcc_lo
	v_add_co_u32 v88, vcc_lo, v88, s2
	v_add_co_ci_u32_e32 v89, vcc_lo, s3, v89, vcc_lo
	s_add_u32 s28, s28, s15
	s_addc_u32 s29, s29, 0
	s_and_b32 vcc_lo, exec_lo, s8
	s_cbranch_vccnz .LBB170_83
; %bb.82:                               ;   in Loop: Header=BB170_53 Depth=1
	v_mov_b32_e32 v90, v1
	s_branch .LBB170_53
.LBB170_83:
	v_and_b32_e32 v4, 0x3ff, v0
	v_bfe_u32 v0, v0, 10, 10
	s_mov_b32 s15, 0
	s_mov_b32 s2, exec_lo
	s_delay_alu instid0(VALU_DEP_1) | instskip(NEXT) | instid1(VALU_DEP_1)
	v_mad_u32_u24 v2, 0x41, v0, v4
	v_sub_nc_u32_e32 v0, v2, v0
	v_lshl_add_u32 v3, v2, 2, 0
	v_mov_b32_e32 v2, 0
	ds_store_b32 v3, v1
	ds_store_b32 v3, v2 offset:2080
	s_waitcnt lgkmcnt(0)
	s_barrier
	buffer_gl0_inv
	v_cmpx_gt_u32_e32 0x800, v0
	s_cbranch_execz .LBB170_90
; %bb.84:
	v_mbcnt_lo_u32_b32 v1, -1, 0
	s_load_b64 s[8:9], s[0:1], 0x30
	v_lshrrev_b32_e32 v3, 5, v0
	v_and_b32_e32 v5, 31, v4
	v_cmp_ne_u32_e32 vcc_lo, 0, v4
	v_xor_b32_e32 v0, 4, v1
	v_xor_b32_e32 v4, 2, v1
	s_lshl_b64 s[4:5], s[14:15], 6
	v_cmp_gt_u32_e64 s0, 8, v5
	v_mul_u32_u24_e32 v7, 0x104, v5
	v_cmp_gt_i32_e64 s1, 32, v0
	v_xor_b32_e32 v5, 1, v1
	v_lshlrev_b32_e32 v8, 2, v3
	s_delay_alu instid0(VALU_DEP_3) | instskip(SKIP_1) | instid1(VALU_DEP_3)
	v_cndmask_b32_e64 v0, v1, v0, s1
	v_cmp_gt_i32_e64 s1, 32, v4
	v_add3_u32 v7, v7, v8, 0
                                        ; implicit-def: $vgpr8
	s_delay_alu instid0(VALU_DEP_2)
	v_cndmask_b32_e64 v6, v1, v4, s1
	v_cmp_gt_i32_e64 s1, 32, v5
	s_waitcnt lgkmcnt(0)
	s_cmp_eq_u64 s[8:9], 0
	v_lshlrev_b32_e32 v4, 2, v0
	v_lshlrev_b32_e32 v0, 1, v3
	s_cselect_b32 s3, -1, 0
	s_lshl_b64 s[10:11], s[14:15], 7
	v_cndmask_b32_e64 v1, v1, v5, s1
	s_add_u32 s1, s8, s10
	s_addc_u32 s2, s9, s11
	v_add_co_u32 v0, s1, s1, v0
	v_lshlrev_b32_e32 v5, 2, v6
	v_lshlrev_b32_e32 v6, 2, v1
	v_add_co_ci_u32_e64 v1, null, s2, 0, s1
	s_set_inst_prefetch_distance 0x1
	s_branch .LBB170_86
	.p2align	6
.LBB170_85:                             ;   in Loop: Header=BB170_86 Depth=1
	s_or_b32 exec_lo, exec_lo, s1
	v_add_co_u32 v3, s1, v3, 16
	s_delay_alu instid0(VALU_DEP_1) | instskip(SKIP_1) | instid1(VALU_DEP_3)
	v_add_co_ci_u32_e64 v2, s1, 0, v2, s1
	v_add_co_u32 v0, s2, v0, 32
	v_add_nc_u32_e32 v9, -16, v3
	v_add_nc_u32_e32 v7, 64, v7
	v_add_co_ci_u32_e64 v1, s2, 0, v1, s2
	s_delay_alu instid0(VALU_DEP_3) | instskip(NEXT) | instid1(VALU_DEP_1)
	v_cmp_lt_u32_e64 s1, 47, v9
	s_or_b32 s15, s1, s15
	s_delay_alu instid0(SALU_CYCLE_1)
	s_and_not1_b32 exec_lo, exec_lo, s15
	s_cbranch_execz .LBB170_90
.LBB170_86:                             ; =>This Inner Loop Header: Depth=1
	s_and_saveexec_b32 s1, s0
	s_cbranch_execz .LBB170_88
; %bb.87:                               ;   in Loop: Header=BB170_86 Depth=1
	ds_load_b32 v8, v7
.LBB170_88:                             ;   in Loop: Header=BB170_86 Depth=1
	s_or_b32 exec_lo, exec_lo, s1
	s_waitcnt lgkmcnt(0)
	ds_bpermute_b32 v9, v4, v8
	s_waitcnt lgkmcnt(0)
	v_add_f32_e32 v8, v8, v9
	ds_bpermute_b32 v9, v5, v8
	s_waitcnt lgkmcnt(0)
	v_add_f32_e32 v10, v8, v9
	v_add_co_u32 v8, s1, s4, v3
	s_delay_alu instid0(VALU_DEP_1) | instskip(SKIP_2) | instid1(VALU_DEP_1)
	v_add_co_ci_u32_e64 v9, s1, s5, v2, s1
	ds_bpermute_b32 v11, v6, v10
	v_cmp_le_i64_e64 s1, s[6:7], v[8:9]
	s_or_b32 s1, vcc_lo, s1
	s_delay_alu instid0(SALU_CYCLE_1) | instskip(NEXT) | instid1(SALU_CYCLE_1)
	s_or_b32 s1, s3, s1
	s_xor_b32 s2, s1, -1
	s_waitcnt lgkmcnt(0)
	v_add_f32_e32 v8, v10, v11
	s_and_saveexec_b32 s1, s2
	s_cbranch_execz .LBB170_85
; %bb.89:                               ;   in Loop: Header=BB170_86 Depth=1
	s_delay_alu instid0(VALU_DEP_1)
	v_cvt_f16_f32_e32 v9, v8
	global_store_b16 v[0:1], v9, off
	s_branch .LBB170_85
.LBB170_90:
	s_set_inst_prefetch_distance 0x2
	s_nop 0
	s_sendmsg sendmsg(MSG_DEALLOC_VGPRS)
	s_endpgm
	.section	.rodata,"a",@progbits
	.p2align	6, 0x0
	.amdhsa_kernel _ZN2at6native12_GLOBAL__N_135GammaBetaBackwardCUDAKernelTemplateIN3c104HalfEfLj64ELj8ELj64ELb0ELb0ELb1EEEvllPKT_S7_PKT0_SA_PS5_SB_
		.amdhsa_group_segment_fixed_size 0
		.amdhsa_private_segment_fixed_size 0
		.amdhsa_kernarg_size 320
		.amdhsa_user_sgpr_count 14
		.amdhsa_user_sgpr_dispatch_ptr 0
		.amdhsa_user_sgpr_queue_ptr 0
		.amdhsa_user_sgpr_kernarg_segment_ptr 1
		.amdhsa_user_sgpr_dispatch_id 0
		.amdhsa_user_sgpr_private_segment_size 0
		.amdhsa_wavefront_size32 1
		.amdhsa_uses_dynamic_stack 0
		.amdhsa_enable_private_segment 0
		.amdhsa_system_sgpr_workgroup_id_x 1
		.amdhsa_system_sgpr_workgroup_id_y 1
		.amdhsa_system_sgpr_workgroup_id_z 0
		.amdhsa_system_sgpr_workgroup_info 0
		.amdhsa_system_vgpr_workitem_id 1
		.amdhsa_next_free_vgpr 94
		.amdhsa_next_free_sgpr 37
		.amdhsa_reserve_vcc 1
		.amdhsa_float_round_mode_32 0
		.amdhsa_float_round_mode_16_64 0
		.amdhsa_float_denorm_mode_32 3
		.amdhsa_float_denorm_mode_16_64 3
		.amdhsa_dx10_clamp 1
		.amdhsa_ieee_mode 1
		.amdhsa_fp16_overflow 0
		.amdhsa_workgroup_processor_mode 1
		.amdhsa_memory_ordered 1
		.amdhsa_forward_progress 0
		.amdhsa_shared_vgpr_count 0
		.amdhsa_exception_fp_ieee_invalid_op 0
		.amdhsa_exception_fp_denorm_src 0
		.amdhsa_exception_fp_ieee_div_zero 0
		.amdhsa_exception_fp_ieee_overflow 0
		.amdhsa_exception_fp_ieee_underflow 0
		.amdhsa_exception_fp_ieee_inexact 0
		.amdhsa_exception_int_div_zero 0
	.end_amdhsa_kernel
	.section	.text._ZN2at6native12_GLOBAL__N_135GammaBetaBackwardCUDAKernelTemplateIN3c104HalfEfLj64ELj8ELj64ELb0ELb0ELb1EEEvllPKT_S7_PKT0_SA_PS5_SB_,"axG",@progbits,_ZN2at6native12_GLOBAL__N_135GammaBetaBackwardCUDAKernelTemplateIN3c104HalfEfLj64ELj8ELj64ELb0ELb0ELb1EEEvllPKT_S7_PKT0_SA_PS5_SB_,comdat
.Lfunc_end170:
	.size	_ZN2at6native12_GLOBAL__N_135GammaBetaBackwardCUDAKernelTemplateIN3c104HalfEfLj64ELj8ELj64ELb0ELb0ELb1EEEvllPKT_S7_PKT0_SA_PS5_SB_, .Lfunc_end170-_ZN2at6native12_GLOBAL__N_135GammaBetaBackwardCUDAKernelTemplateIN3c104HalfEfLj64ELj8ELj64ELb0ELb0ELb1EEEvllPKT_S7_PKT0_SA_PS5_SB_
                                        ; -- End function
	.section	.AMDGPU.csdata,"",@progbits
; Kernel info:
; codeLenInByte = 7812
; NumSgprs: 39
; NumVgprs: 94
; ScratchSize: 0
; MemoryBound: 0
; FloatMode: 240
; IeeeMode: 1
; LDSByteSize: 0 bytes/workgroup (compile time only)
; SGPRBlocks: 4
; VGPRBlocks: 11
; NumSGPRsForWavesPerEU: 39
; NumVGPRsForWavesPerEU: 94
; Occupancy: 16
; WaveLimiterHint : 0
; COMPUTE_PGM_RSRC2:SCRATCH_EN: 0
; COMPUTE_PGM_RSRC2:USER_SGPR: 14
; COMPUTE_PGM_RSRC2:TRAP_HANDLER: 0
; COMPUTE_PGM_RSRC2:TGID_X_EN: 1
; COMPUTE_PGM_RSRC2:TGID_Y_EN: 1
; COMPUTE_PGM_RSRC2:TGID_Z_EN: 0
; COMPUTE_PGM_RSRC2:TIDIG_COMP_CNT: 1
	.section	.text._ZN2at6native12_GLOBAL__N_135GammaBetaBackwardCUDAKernelTemplateIN3c104HalfEfLj64ELj16ELj128ELb0ELb1ELb1EEEvllPKT_S7_PKT0_SA_PS5_SB_,"axG",@progbits,_ZN2at6native12_GLOBAL__N_135GammaBetaBackwardCUDAKernelTemplateIN3c104HalfEfLj64ELj16ELj128ELb0ELb1ELb1EEEvllPKT_S7_PKT0_SA_PS5_SB_,comdat
	.globl	_ZN2at6native12_GLOBAL__N_135GammaBetaBackwardCUDAKernelTemplateIN3c104HalfEfLj64ELj16ELj128ELb0ELb1ELb1EEEvllPKT_S7_PKT0_SA_PS5_SB_ ; -- Begin function _ZN2at6native12_GLOBAL__N_135GammaBetaBackwardCUDAKernelTemplateIN3c104HalfEfLj64ELj16ELj128ELb0ELb1ELb1EEEvllPKT_S7_PKT0_SA_PS5_SB_
	.p2align	8
	.type	_ZN2at6native12_GLOBAL__N_135GammaBetaBackwardCUDAKernelTemplateIN3c104HalfEfLj64ELj16ELj128ELb0ELb1ELb1EEEvllPKT_S7_PKT0_SA_PS5_SB_,@function
_ZN2at6native12_GLOBAL__N_135GammaBetaBackwardCUDAKernelTemplateIN3c104HalfEfLj64ELj16ELj128ELb0ELb1ELb1EEEvllPKT_S7_PKT0_SA_PS5_SB_: ; @_ZN2at6native12_GLOBAL__N_135GammaBetaBackwardCUDAKernelTemplateIN3c104HalfEfLj64ELj16ELj128ELb0ELb1ELb1EEEvllPKT_S7_PKT0_SA_PS5_SB_
; %bb.0:
	s_load_b128 s[4:7], s[0:1], 0x0
	s_mov_b32 s13, 0
	s_lshl_b32 s12, s15, 7
	v_bfe_u32 v7, v0, 10, 10
	s_waitcnt lgkmcnt(0)
	v_cmp_lt_i64_e64 s2, s[12:13], s[4:5]
	s_delay_alu instid0(VALU_DEP_1)
	s_and_b32 vcc_lo, exec_lo, s2
	s_cbranch_vccnz .LBB171_2
; %bb.1:
	v_bfe_u32 v1, v0, 10, 10
	s_mov_b32 s8, 0
	s_mov_b32 s9, s13
	s_branch .LBB171_3
.LBB171_2:
	s_mov_b32 s9, -1
                                        ; implicit-def: $sgpr8
                                        ; implicit-def: $vgpr1
.LBB171_3:
	s_load_b64 s[2:3], s[0:1], 0x30
	v_and_b32_e32 v6, 0x3ff, v0
	v_mov_b32_e32 v0, s8
	s_and_not1_b32 vcc_lo, exec_lo, s9
	s_cbranch_vccnz .LBB171_11
; %bb.4:
	s_clause 0x3
	s_load_b32 s15, s[0:1], 0x4c
	s_load_b32 s16, s[0:1], 0x44
	s_load_b128 s[8:11], s[0:1], 0x10
	s_load_b64 s[18:19], s[0:1], 0x28
	v_dual_mov_b32 v9, 4 :: v_dual_lshlrev_b32 v2, 3, v7
	v_dual_mov_b32 v8, 8 :: v_dual_mov_b32 v1, 0
	v_lshl_add_u32 v0, s14, 6, v6
	s_delay_alu instid0(VALU_DEP_3) | instskip(NEXT) | instid1(VALU_DEP_1)
	v_add_co_u32 v2, s1, v2, s12
	v_add_co_ci_u32_e64 v3, null, 0, 0, s1
	s_delay_alu instid0(VALU_DEP_3) | instskip(NEXT) | instid1(VALU_DEP_3)
	v_lshlrev_b64 v[15:16], 1, v[0:1]
	v_mul_lo_u32 v17, s7, v2
	v_dual_mov_b32 v10, 12 :: v_dual_mov_b32 v11, 16
	s_delay_alu instid0(VALU_DEP_4)
	v_mul_lo_u32 v18, s6, v3
	v_dual_mov_b32 v13, 24 :: v_dual_mov_b32 v14, 28
	s_waitcnt lgkmcnt(0)
	s_and_b32 s0, s15, 0xffff
	s_lshl_b32 s16, s16, 7
	v_mad_u32_u24 v4, v7, s0, v6
	v_mov_b32_e32 v12, 20
	s_mul_i32 s1, s7, s16
	s_mul_hi_u32 s15, s6, s16
	s_delay_alu instid0(VALU_DEP_2) | instskip(SKIP_3) | instid1(VALU_DEP_2)
	v_dual_mov_b32 v0, 0 :: v_dual_and_b32 v21, 31, v4
	v_mad_u64_u32 v[4:5], null, s6, v2, 0
	s_mov_b32 s17, 0
	s_add_i32 s21, s15, s1
	v_add_co_u32 v2, vcc_lo, v2, v21
	v_add_co_ci_u32_e32 v3, vcc_lo, 0, v3, vcc_lo
	s_delay_alu instid0(VALU_DEP_3) | instskip(SKIP_2) | instid1(VALU_DEP_3)
	v_add3_u32 v5, v5, v18, v17
	v_cmp_gt_u32_e64 s0, 8, v21
	s_mul_i32 s20, s6, s16
	v_lshlrev_b64 v[17:18], 2, v[2:3]
	s_lshl_b64 s[20:21], s[20:21], 1
	v_lshlrev_b64 v[19:20], 1, v[4:5]
	s_lshl_b64 s[6:7], s[6:7], 1
	s_delay_alu instid0(VALU_DEP_2) | instskip(NEXT) | instid1(VALU_DEP_3)
	v_add_co_u32 v4, vcc_lo, s18, v17
	v_add_co_ci_u32_e32 v5, vcc_lo, s19, v18, vcc_lo
	s_delay_alu instid0(VALU_DEP_3) | instskip(NEXT) | instid1(VALU_DEP_4)
	v_add_co_u32 v15, vcc_lo, v19, v15
	v_add_co_ci_u32_e32 v16, vcc_lo, v20, v16, vcc_lo
	s_lshl_b64 s[18:19], s[16:17], 2
	s_branch .LBB171_7
.LBB171_5:                              ;   in Loop: Header=BB171_7 Depth=1
	s_or_b32 exec_lo, exec_lo, s15
.LBB171_6:                              ;   in Loop: Header=BB171_7 Depth=1
	s_delay_alu instid0(SALU_CYCLE_1) | instskip(SKIP_4) | instid1(VALU_DEP_4)
	s_or_b32 exec_lo, exec_lo, s1
	v_add_co_u32 v18, vcc_lo, s8, v15
	v_add_co_ci_u32_e32 v19, vcc_lo, s9, v16, vcc_lo
	v_add_co_u32 v20, vcc_lo, s10, v15
	v_add_co_ci_u32_e32 v21, vcc_lo, s11, v16, vcc_lo
	v_add_co_u32 v22, vcc_lo, v18, s6
	s_delay_alu instid0(VALU_DEP_4)
	v_add_co_ci_u32_e32 v23, vcc_lo, s7, v19, vcc_lo
	global_load_u16 v28, v[18:19], off
	global_load_u16 v29, v[20:21], off
	;; [unrolled: 1-line block ×3, first 2 shown]
	v_add_co_u32 v18, vcc_lo, v20, s6
	v_add_co_ci_u32_e32 v19, vcc_lo, s7, v21, vcc_lo
	v_add_co_u32 v20, vcc_lo, v22, s6
	v_add_co_ci_u32_e32 v21, vcc_lo, s7, v23, vcc_lo
	s_delay_alu instid0(VALU_DEP_4) | instskip(NEXT) | instid1(VALU_DEP_4)
	v_add_co_u32 v22, vcc_lo, v18, s6
	v_add_co_ci_u32_e32 v23, vcc_lo, s7, v19, vcc_lo
	s_delay_alu instid0(VALU_DEP_4) | instskip(NEXT) | instid1(VALU_DEP_4)
	;; [unrolled: 3-line block ×3, first 2 shown]
	v_add_co_u32 v26, vcc_lo, v22, s6
	v_add_co_ci_u32_e32 v27, vcc_lo, s7, v23, vcc_lo
	global_load_u16 v31, v[18:19], off
	global_load_u16 v32, v[20:21], off
	;; [unrolled: 1-line block ×5, first 2 shown]
	v_add_co_u32 v18, vcc_lo, v24, s6
	v_add_co_ci_u32_e32 v19, vcc_lo, s7, v25, vcc_lo
	v_add_co_u32 v20, vcc_lo, v26, s6
	v_add_co_ci_u32_e32 v21, vcc_lo, s7, v27, vcc_lo
	s_delay_alu instid0(VALU_DEP_4) | instskip(NEXT) | instid1(VALU_DEP_4)
	v_add_co_u32 v22, vcc_lo, v18, s6
	v_add_co_ci_u32_e32 v23, vcc_lo, s7, v19, vcc_lo
	s_delay_alu instid0(VALU_DEP_4) | instskip(NEXT) | instid1(VALU_DEP_4)
	;; [unrolled: 3-line block ×3, first 2 shown]
	v_add_co_u32 v26, vcc_lo, v22, s6
	v_add_co_ci_u32_e32 v27, vcc_lo, s7, v23, vcc_lo
	global_load_u16 v36, v[18:19], off
	global_load_u16 v37, v[20:21], off
	;; [unrolled: 1-line block ×5, first 2 shown]
	v_add_co_u32 v18, vcc_lo, v24, s6
	v_add_co_ci_u32_e32 v19, vcc_lo, s7, v25, vcc_lo
	v_add_co_u32 v20, vcc_lo, v26, s6
	v_add_co_ci_u32_e32 v21, vcc_lo, s7, v27, vcc_lo
	s_delay_alu instid0(VALU_DEP_4) | instskip(NEXT) | instid1(VALU_DEP_4)
	v_add_co_u32 v22, vcc_lo, v18, s6
	v_add_co_ci_u32_e32 v23, vcc_lo, s7, v19, vcc_lo
	global_load_u16 v18, v[18:19], off
	global_load_u16 v19, v[20:21], off
	;; [unrolled: 1-line block ×3, first 2 shown]
	s_waitcnt vmcnt(16)
	ds_bpermute_b32 v21, v1, v17
	ds_bpermute_b32 v22, v9, v17
	ds_bpermute_b32 v25, v8, v17
	ds_bpermute_b32 v27, v10, v17
	v_add_co_u32 v4, vcc_lo, v4, s18
	s_add_u32 s12, s12, s16
	v_add_co_ci_u32_e32 v5, vcc_lo, s19, v5, vcc_lo
	s_addc_u32 s13, s13, 0
	v_add_co_u32 v2, vcc_lo, v2, s16
	v_add_co_ci_u32_e32 v3, vcc_lo, 0, v3, vcc_lo
	v_cmp_lt_i64_e64 s1, s[12:13], s[4:5]
	v_add_co_u32 v15, vcc_lo, v15, s20
	v_add_co_ci_u32_e32 v16, vcc_lo, s21, v16, vcc_lo
	s_delay_alu instid0(VALU_DEP_3)
	s_and_b32 vcc_lo, exec_lo, s1
	s_waitcnt vmcnt(15)
	v_cvt_f32_f16_e32 v23, v28
	s_waitcnt vmcnt(14)
	v_cvt_f32_f16_e32 v24, v29
	;; [unrolled: 2-line block ×3, first 2 shown]
	s_delay_alu instid0(VALU_DEP_2)
	v_mul_f32_e32 v23, v23, v24
	s_waitcnt vmcnt(12)
	v_cvt_f32_f16_e32 v24, v31
	s_waitcnt vmcnt(11)
	v_cvt_f32_f16_e32 v28, v32
	s_waitcnt lgkmcnt(3)
	v_fmac_f32_e32 v0, v23, v21
	s_waitcnt vmcnt(10)
	v_cvt_f32_f16_e32 v23, v33
	s_waitcnt vmcnt(9)
	v_cvt_f32_f16_e32 v29, v34
	v_mul_f32_e32 v21, v26, v24
	ds_bpermute_b32 v24, v11, v17
	ds_bpermute_b32 v26, v12, v17
	s_waitcnt lgkmcnt(4)
	v_fmac_f32_e32 v0, v21, v22
	s_waitcnt vmcnt(8)
	v_cvt_f32_f16_e32 v22, v35
	s_waitcnt vmcnt(2)
	v_cvt_f32_f16_e32 v18, v18
	v_mul_f32_e32 v21, v28, v23
	ds_bpermute_b32 v23, v13, v17
	v_cvt_f32_f16_e32 v28, v36
	ds_bpermute_b32 v17, v14, v17
	s_waitcnt vmcnt(1)
	v_cvt_f32_f16_e32 v19, v19
	s_waitcnt lgkmcnt(5)
	v_fmac_f32_e32 v0, v21, v25
	v_mul_f32_e32 v21, v29, v22
	v_cvt_f32_f16_e32 v22, v37
	v_cvt_f32_f16_e32 v25, v38
	;; [unrolled: 1-line block ×3, first 2 shown]
	s_waitcnt vmcnt(0)
	v_cvt_f32_f16_e32 v20, v20
	s_waitcnt lgkmcnt(4)
	v_dual_fmac_f32 v0, v21, v27 :: v_dual_mul_f32 v21, v28, v22
	v_cvt_f32_f16_e32 v22, v40
	s_waitcnt lgkmcnt(3)
	s_delay_alu instid0(VALU_DEP_2) | instskip(NEXT) | instid1(VALU_DEP_2)
	v_fmac_f32_e32 v0, v21, v24
	v_dual_mul_f32 v21, v25, v29 :: v_dual_mul_f32 v18, v22, v18
	s_waitcnt lgkmcnt(2)
	s_delay_alu instid0(VALU_DEP_1) | instskip(SKIP_1) | instid1(VALU_DEP_1)
	v_fmac_f32_e32 v0, v21, v26
	s_waitcnt lgkmcnt(1)
	v_fmac_f32_e32 v0, v18, v23
	v_mul_f32_e32 v18, v19, v20
	s_waitcnt lgkmcnt(0)
	s_delay_alu instid0(VALU_DEP_1)
	v_fmac_f32_e32 v0, v18, v17
	s_cbranch_vccz .LBB171_10
.LBB171_7:                              ; =>This Inner Loop Header: Depth=1
	v_mov_b32_e32 v17, 0
	s_and_saveexec_b32 s1, s0
	s_cbranch_execz .LBB171_6
; %bb.8:                                ;   in Loop: Header=BB171_7 Depth=1
	v_mov_b32_e32 v17, 0
	s_mov_b32 s15, exec_lo
	v_cmpx_gt_i64_e64 s[4:5], v[2:3]
	s_cbranch_execz .LBB171_5
; %bb.9:                                ;   in Loop: Header=BB171_7 Depth=1
	global_load_b32 v17, v[4:5], off
	s_branch .LBB171_5
.LBB171_10:
	v_mov_b32_e32 v1, v7
.LBB171_11:
	s_delay_alu instid0(VALU_DEP_1) | instskip(SKIP_3) | instid1(VALU_DEP_2)
	v_mad_u32_u24 v2, 0x41, v1, v6
	v_mov_b32_e32 v3, 0
	s_mov_b32 s15, 0
	s_mov_b32 s0, exec_lo
	v_sub_nc_u32_e32 v1, v2, v1
	v_lshl_add_u32 v2, v2, 2, 0
	ds_store_b32 v2, v0
	ds_store_b32 v2, v3 offset:4160
	s_waitcnt lgkmcnt(0)
	s_barrier
	buffer_gl0_inv
	v_cmpx_gt_u32_e32 0x800, v1
	s_cbranch_execz .LBB171_18
; %bb.12:
	v_mbcnt_lo_u32_b32 v2, -1, 0
	v_cmp_eq_u32_e64 s0, 0, v6
	s_cmp_lg_u64 s[2:3], 0
	v_and_b32_e32 v0, 31, v6
	s_cselect_b32 s1, -1, 0
	v_xor_b32_e32 v3, 8, v2
	s_and_b32 s1, s0, s1
	v_xor_b32_e32 v4, 4, v2
	v_xor_b32_e32 v5, 2, v2
	;; [unrolled: 1-line block ×3, first 2 shown]
	v_cmp_gt_i32_e64 s0, 32, v3
	v_lshrrev_b32_e32 v1, 5, v1
	v_cmp_gt_u32_e32 vcc_lo, 16, v0
	v_mul_u32_u24_e32 v0, 0x104, v0
	s_lshl_b64 s[4:5], s[14:15], 7
	v_cndmask_b32_e64 v3, v2, v3, s0
	v_cmp_gt_i32_e64 s0, 32, v4
	v_lshlrev_b32_e32 v7, 2, v1
                                        ; implicit-def: $vgpr8
	s_delay_alu instid0(VALU_DEP_2) | instskip(SKIP_1) | instid1(VALU_DEP_1)
	v_cndmask_b32_e64 v4, v2, v4, s0
	v_cmp_gt_i32_e64 s0, 32, v5
	v_cndmask_b32_e64 v5, v2, v5, s0
	v_cmp_gt_i32_e64 s0, 32, v6
	s_delay_alu instid0(VALU_DEP_1)
	v_cndmask_b32_e64 v6, v2, v6, s0
	v_lshlrev_b32_e32 v2, 2, v3
	v_lshlrev_b32_e32 v3, 2, v4
	;; [unrolled: 1-line block ×3, first 2 shown]
	s_add_u32 s0, s2, s4
	v_lshlrev_b32_e32 v5, 2, v6
	v_add3_u32 v6, v0, v7, 0
	v_lshlrev_b32_e32 v0, 1, v1
	s_addc_u32 s2, s3, s5
	v_subrev_nc_u32_e32 v7, 32, v1
	s_delay_alu instid0(VALU_DEP_2) | instskip(NEXT) | instid1(VALU_DEP_1)
	v_add_co_u32 v0, s0, s0, v0
	v_add_co_ci_u32_e64 v1, null, s2, 0, s0
	s_set_inst_prefetch_distance 0x1
	s_branch .LBB171_14
	.p2align	6
.LBB171_13:                             ;   in Loop: Header=BB171_14 Depth=1
	s_or_b32 exec_lo, exec_lo, s0
	v_add_co_u32 v7, s0, v7, 32
	s_delay_alu instid0(VALU_DEP_1) | instskip(SKIP_4) | instid1(SALU_CYCLE_1)
	s_xor_b32 s2, s0, -1
	v_add_co_u32 v0, s0, v0, 64
	v_add_nc_u32_e32 v6, 0x80, v6
	v_add_co_ci_u32_e64 v1, s0, 0, v1, s0
	s_and_b32 s0, exec_lo, s2
	s_or_b32 s15, s0, s15
	s_delay_alu instid0(SALU_CYCLE_1)
	s_and_not1_b32 exec_lo, exec_lo, s15
	s_cbranch_execz .LBB171_18
.LBB171_14:                             ; =>This Inner Loop Header: Depth=1
	s_and_saveexec_b32 s0, vcc_lo
	s_cbranch_execz .LBB171_16
; %bb.15:                               ;   in Loop: Header=BB171_14 Depth=1
	ds_load_b32 v8, v6
.LBB171_16:                             ;   in Loop: Header=BB171_14 Depth=1
	s_or_b32 exec_lo, exec_lo, s0
	s_waitcnt lgkmcnt(0)
	ds_bpermute_b32 v9, v2, v8
	s_waitcnt lgkmcnt(0)
	v_add_f32_e32 v8, v8, v9
	ds_bpermute_b32 v9, v3, v8
	s_waitcnt lgkmcnt(0)
	v_add_f32_e32 v8, v8, v9
	;; [unrolled: 3-line block ×4, first 2 shown]
	s_and_saveexec_b32 s0, s1
	s_cbranch_execz .LBB171_13
; %bb.17:                               ;   in Loop: Header=BB171_14 Depth=1
	s_delay_alu instid0(VALU_DEP_1)
	v_cvt_f16_f32_e32 v9, v8
	global_store_b16 v[0:1], v9, off
	s_branch .LBB171_13
.LBB171_18:
	s_set_inst_prefetch_distance 0x2
	s_nop 0
	s_sendmsg sendmsg(MSG_DEALLOC_VGPRS)
	s_endpgm
	.section	.rodata,"a",@progbits
	.p2align	6, 0x0
	.amdhsa_kernel _ZN2at6native12_GLOBAL__N_135GammaBetaBackwardCUDAKernelTemplateIN3c104HalfEfLj64ELj16ELj128ELb0ELb1ELb1EEEvllPKT_S7_PKT0_SA_PS5_SB_
		.amdhsa_group_segment_fixed_size 0
		.amdhsa_private_segment_fixed_size 0
		.amdhsa_kernarg_size 320
		.amdhsa_user_sgpr_count 14
		.amdhsa_user_sgpr_dispatch_ptr 0
		.amdhsa_user_sgpr_queue_ptr 0
		.amdhsa_user_sgpr_kernarg_segment_ptr 1
		.amdhsa_user_sgpr_dispatch_id 0
		.amdhsa_user_sgpr_private_segment_size 0
		.amdhsa_wavefront_size32 1
		.amdhsa_uses_dynamic_stack 0
		.amdhsa_enable_private_segment 0
		.amdhsa_system_sgpr_workgroup_id_x 1
		.amdhsa_system_sgpr_workgroup_id_y 1
		.amdhsa_system_sgpr_workgroup_id_z 0
		.amdhsa_system_sgpr_workgroup_info 0
		.amdhsa_system_vgpr_workitem_id 1
		.amdhsa_next_free_vgpr 41
		.amdhsa_next_free_sgpr 22
		.amdhsa_reserve_vcc 1
		.amdhsa_float_round_mode_32 0
		.amdhsa_float_round_mode_16_64 0
		.amdhsa_float_denorm_mode_32 3
		.amdhsa_float_denorm_mode_16_64 3
		.amdhsa_dx10_clamp 1
		.amdhsa_ieee_mode 1
		.amdhsa_fp16_overflow 0
		.amdhsa_workgroup_processor_mode 1
		.amdhsa_memory_ordered 1
		.amdhsa_forward_progress 0
		.amdhsa_shared_vgpr_count 0
		.amdhsa_exception_fp_ieee_invalid_op 0
		.amdhsa_exception_fp_denorm_src 0
		.amdhsa_exception_fp_ieee_div_zero 0
		.amdhsa_exception_fp_ieee_overflow 0
		.amdhsa_exception_fp_ieee_underflow 0
		.amdhsa_exception_fp_ieee_inexact 0
		.amdhsa_exception_int_div_zero 0
	.end_amdhsa_kernel
	.section	.text._ZN2at6native12_GLOBAL__N_135GammaBetaBackwardCUDAKernelTemplateIN3c104HalfEfLj64ELj16ELj128ELb0ELb1ELb1EEEvllPKT_S7_PKT0_SA_PS5_SB_,"axG",@progbits,_ZN2at6native12_GLOBAL__N_135GammaBetaBackwardCUDAKernelTemplateIN3c104HalfEfLj64ELj16ELj128ELb0ELb1ELb1EEEvllPKT_S7_PKT0_SA_PS5_SB_,comdat
.Lfunc_end171:
	.size	_ZN2at6native12_GLOBAL__N_135GammaBetaBackwardCUDAKernelTemplateIN3c104HalfEfLj64ELj16ELj128ELb0ELb1ELb1EEEvllPKT_S7_PKT0_SA_PS5_SB_, .Lfunc_end171-_ZN2at6native12_GLOBAL__N_135GammaBetaBackwardCUDAKernelTemplateIN3c104HalfEfLj64ELj16ELj128ELb0ELb1ELb1EEEvllPKT_S7_PKT0_SA_PS5_SB_
                                        ; -- End function
	.section	.AMDGPU.csdata,"",@progbits
; Kernel info:
; codeLenInByte = 1648
; NumSgprs: 24
; NumVgprs: 41
; ScratchSize: 0
; MemoryBound: 0
; FloatMode: 240
; IeeeMode: 1
; LDSByteSize: 0 bytes/workgroup (compile time only)
; SGPRBlocks: 2
; VGPRBlocks: 5
; NumSGPRsForWavesPerEU: 24
; NumVGPRsForWavesPerEU: 41
; Occupancy: 16
; WaveLimiterHint : 0
; COMPUTE_PGM_RSRC2:SCRATCH_EN: 0
; COMPUTE_PGM_RSRC2:USER_SGPR: 14
; COMPUTE_PGM_RSRC2:TRAP_HANDLER: 0
; COMPUTE_PGM_RSRC2:TGID_X_EN: 1
; COMPUTE_PGM_RSRC2:TGID_Y_EN: 1
; COMPUTE_PGM_RSRC2:TGID_Z_EN: 0
; COMPUTE_PGM_RSRC2:TIDIG_COMP_CNT: 1
	.section	.text._ZN2at6native12_GLOBAL__N_135GammaBetaBackwardCUDAKernelTemplateIN3c104HalfEfLj64ELj16ELj128ELb0ELb0ELb1EEEvllPKT_S7_PKT0_SA_PS5_SB_,"axG",@progbits,_ZN2at6native12_GLOBAL__N_135GammaBetaBackwardCUDAKernelTemplateIN3c104HalfEfLj64ELj16ELj128ELb0ELb0ELb1EEEvllPKT_S7_PKT0_SA_PS5_SB_,comdat
	.globl	_ZN2at6native12_GLOBAL__N_135GammaBetaBackwardCUDAKernelTemplateIN3c104HalfEfLj64ELj16ELj128ELb0ELb0ELb1EEEvllPKT_S7_PKT0_SA_PS5_SB_ ; -- Begin function _ZN2at6native12_GLOBAL__N_135GammaBetaBackwardCUDAKernelTemplateIN3c104HalfEfLj64ELj16ELj128ELb0ELb0ELb1EEEvllPKT_S7_PKT0_SA_PS5_SB_
	.p2align	8
	.type	_ZN2at6native12_GLOBAL__N_135GammaBetaBackwardCUDAKernelTemplateIN3c104HalfEfLj64ELj16ELj128ELb0ELb0ELb1EEEvllPKT_S7_PKT0_SA_PS5_SB_,@function
_ZN2at6native12_GLOBAL__N_135GammaBetaBackwardCUDAKernelTemplateIN3c104HalfEfLj64ELj16ELj128ELb0ELb0ELb1EEEvllPKT_S7_PKT0_SA_PS5_SB_: ; @_ZN2at6native12_GLOBAL__N_135GammaBetaBackwardCUDAKernelTemplateIN3c104HalfEfLj64ELj16ELj128ELb0ELb0ELb1EEEvllPKT_S7_PKT0_SA_PS5_SB_
; %bb.0:
	s_clause 0x1
	s_load_b256 s[4:11], s[0:1], 0x0
	s_load_b64 s[12:13], s[0:1], 0x28
	s_lshl_b32 s33, s14, 6
	s_mov_b32 s25, 0
	s_or_b32 s24, s33, 63
	s_waitcnt lgkmcnt(0)
	v_cmp_ge_i64_e64 s2, s[24:25], s[6:7]
	s_lshl_b32 s24, s15, 7
	s_delay_alu instid0(SALU_CYCLE_1) | instskip(NEXT) | instid1(VALU_DEP_2)
	v_cmp_lt_i64_e64 s15, s[24:25], s[4:5]
	s_and_b32 vcc_lo, exec_lo, s2
	s_delay_alu instid0(VALU_DEP_1) | instskip(NEXT) | instid1(VALU_DEP_1)
	v_cndmask_b32_e64 v1, 0, 1, s15
	v_cmp_ne_u32_e64 s2, 1, v1
	s_cbranch_vccz .LBB172_49
; %bb.1:
	v_mov_b32_e32 v1, 0
	s_delay_alu instid0(VALU_DEP_2)
	s_and_b32 vcc_lo, exec_lo, s2
	s_cbranch_vccnz .LBB172_50
; %bb.2:
	v_bfe_u32 v27, v0, 10, 10
	s_load_b32 s3, s[0:1], 0x44
	v_dual_mov_b32 v2, 0 :: v_dual_and_b32 v29, 0x3ff, v0
	s_add_u32 s26, s0, 64
	s_delay_alu instid0(VALU_DEP_2) | instskip(NEXT) | instid1(VALU_DEP_2)
	v_lshlrev_b32_e32 v28, 3, v27
	v_dual_mov_b32 v62, 0 :: v_dual_add_nc_u32 v1, s33, v29
	s_addc_u32 s27, s1, 0
	s_mov_b32 s16, 0
	s_delay_alu instid0(VALU_DEP_2) | instskip(NEXT) | instid1(VALU_DEP_1)
	v_add_co_u32 v9, s2, v28, s24
	v_add_co_ci_u32_e64 v10, null, 0, 0, s2
	v_cmp_gt_i64_e64 s2, s[6:7], v[1:2]
	s_delay_alu instid0(VALU_DEP_3) | instskip(NEXT) | instid1(VALU_DEP_3)
	v_add_co_u32 v5, vcc_lo, v9, 7
	v_add_co_ci_u32_e32 v3, vcc_lo, 0, v10, vcc_lo
	v_add_co_u32 v8, vcc_lo, v9, 6
	s_delay_alu instid0(VALU_DEP_3) | instskip(NEXT) | instid1(VALU_DEP_3)
	v_mul_lo_u32 v6, s7, v5
	v_mul_lo_u32 v7, s6, v3
	v_mad_u64_u32 v[3:4], null, s6, v5, 0
	v_add_co_ci_u32_e32 v5, vcc_lo, 0, v10, vcc_lo
	v_lshlrev_b64 v[25:26], 1, v[1:2]
	v_mul_lo_u32 v1, s7, v8
	s_waitcnt lgkmcnt(0)
	s_lshl_b32 s36, s3, 7
	s_mov_b64 s[34:35], s[24:25]
	s_delay_alu instid0(VALU_DEP_4) | instskip(SKIP_3) | instid1(VALU_DEP_3)
	v_add3_u32 v4, v4, v7, v6
	v_mul_lo_u32 v7, s6, v5
	v_mad_u64_u32 v[5:6], null, s6, v8, 0
	s_mul_i32 s3, s7, s36
	v_lshlrev_b64 v[3:4], 1, v[3:4]
	s_mul_hi_u32 s17, s6, s36
	s_mul_i32 s18, s6, s36
	s_add_i32 s19, s17, s3
	s_delay_alu instid0(VALU_DEP_2) | instskip(NEXT) | instid1(VALU_DEP_2)
	v_add3_u32 v6, v6, v7, v1
	v_add_co_u32 v30, vcc_lo, s8, v3
	v_add_co_ci_u32_e32 v31, vcc_lo, s9, v4, vcc_lo
	v_add_co_u32 v1, vcc_lo, v9, 5
	v_add_co_u32 v32, s3, s10, v3
	s_delay_alu instid0(VALU_DEP_1) | instskip(SKIP_4) | instid1(VALU_DEP_3)
	v_add_co_ci_u32_e64 v33, s3, s11, v4, s3
	v_lshlrev_b64 v[3:4], 1, v[5:6]
	v_add_co_ci_u32_e32 v5, vcc_lo, 0, v10, vcc_lo
	v_add_co_u32 v12, vcc_lo, v9, 4
	v_mul_lo_u32 v11, s7, v1
	v_mul_lo_u32 v13, s6, v5
	v_mad_u64_u32 v[5:6], null, s6, v1, 0
	v_add_co_ci_u32_e32 v7, vcc_lo, 0, v10, vcc_lo
	v_mul_lo_u32 v1, s7, v12
	v_add_co_u32 v34, vcc_lo, s8, v3
	s_delay_alu instid0(VALU_DEP_3)
	v_mul_lo_u32 v14, s6, v7
	v_mad_u64_u32 v[7:8], null, s6, v12, 0
	v_add3_u32 v6, v6, v13, v11
	v_add_co_ci_u32_e32 v35, vcc_lo, s9, v4, vcc_lo
	v_add_co_u32 v36, vcc_lo, s10, v3
	v_add_co_ci_u32_e32 v37, vcc_lo, s11, v4, vcc_lo
	s_delay_alu instid0(VALU_DEP_4) | instskip(SKIP_3) | instid1(VALU_DEP_4)
	v_lshlrev_b64 v[3:4], 1, v[5:6]
	v_add3_u32 v8, v8, v14, v1
	v_add_co_u32 v1, vcc_lo, v9, 3
	v_add_co_ci_u32_e32 v11, vcc_lo, 0, v10, vcc_lo
	v_add_co_u32 v38, vcc_lo, s8, v3
	s_delay_alu instid0(VALU_DEP_4)
	v_lshlrev_b64 v[5:6], 1, v[7:8]
	v_add_co_ci_u32_e32 v39, vcc_lo, s9, v4, vcc_lo
	v_mul_lo_u32 v12, s7, v1
	v_mul_lo_u32 v11, s6, v11
	v_mad_u64_u32 v[7:8], null, s6, v1, 0
	v_add_co_u32 v40, vcc_lo, s10, v3
	v_add_co_ci_u32_e32 v41, vcc_lo, s11, v4, vcc_lo
	v_add_co_u32 v42, vcc_lo, s8, v5
	v_add_co_ci_u32_e32 v43, vcc_lo, s9, v6, vcc_lo
	v_add_co_u32 v1, vcc_lo, v9, 2
	v_add3_u32 v8, v8, v11, v12
	v_add_co_ci_u32_e32 v11, vcc_lo, 0, v10, vcc_lo
	v_add_co_u32 v44, vcc_lo, s10, v5
	v_add_co_ci_u32_e32 v45, vcc_lo, s11, v6, vcc_lo
	v_mul_lo_u32 v12, s7, v1
	s_delay_alu instid0(VALU_DEP_4)
	v_mul_lo_u32 v11, s6, v11
	v_mad_u64_u32 v[5:6], null, s6, v1, 0
	v_lshlrev_b64 v[3:4], 1, v[7:8]
	v_mul_lo_u32 v1, s7, v9
	v_mul_lo_u32 v10, s6, v10
	v_mad_u64_u32 v[7:8], null, s6, v9, 0
	s_lshl_b64 s[28:29], s[18:19], 1
	s_delay_alu instid0(VALU_DEP_4)
	v_add_co_u32 v46, vcc_lo, s8, v3
	v_add3_u32 v6, v6, v11, v12
	v_add_co_ci_u32_e32 v47, vcc_lo, s9, v4, vcc_lo
	v_add_co_u32 v48, vcc_lo, s10, v3
	v_add3_u32 v8, v8, v10, v1
	v_add_co_ci_u32_e32 v49, vcc_lo, s11, v4, vcc_lo
	v_lshlrev_b64 v[3:4], 1, v[5:6]
	v_add_co_u32 v5, vcc_lo, v7, s6
	s_delay_alu instid0(VALU_DEP_4) | instskip(SKIP_1) | instid1(VALU_DEP_3)
	v_add_co_ci_u32_e32 v6, vcc_lo, s7, v8, vcc_lo
	s_add_u32 s30, s24, 0x7f
	v_add_co_u32 v50, vcc_lo, s8, v3
	s_delay_alu instid0(VALU_DEP_2) | instskip(SKIP_3) | instid1(VALU_DEP_4)
	v_lshlrev_b64 v[5:6], 1, v[5:6]
	v_add_co_ci_u32_e32 v51, vcc_lo, s9, v4, vcc_lo
	v_add_co_u32 v52, vcc_lo, s10, v3
	v_add_co_ci_u32_e32 v53, vcc_lo, s11, v4, vcc_lo
	v_add_co_u32 v54, vcc_lo, s8, v5
	v_lshlrev_b64 v[3:4], 1, v[7:8]
	v_add_co_ci_u32_e32 v55, vcc_lo, s9, v6, vcc_lo
	v_add_co_u32 v56, vcc_lo, s10, v5
	v_add_co_ci_u32_e32 v57, vcc_lo, s11, v6, vcc_lo
	s_delay_alu instid0(VALU_DEP_4)
	v_add_co_u32 v58, vcc_lo, s8, v3
	v_add_co_ci_u32_e32 v59, vcc_lo, s9, v4, vcc_lo
	v_add_co_u32 v60, vcc_lo, s10, v3
	v_add_co_ci_u32_e32 v61, vcc_lo, s11, v4, vcc_lo
	s_addc_u32 s31, 0, 0
.LBB172_3:                              ; =>This Inner Loop Header: Depth=1
	s_delay_alu instid0(SALU_CYCLE_1) | instskip(SKIP_1) | instid1(VALU_DEP_1)
	v_cmp_ge_i64_e64 s3, s[30:31], s[4:5]
	v_add_co_u32 v63, s17, v28, s30
	v_add_co_ci_u32_e64 v64, null, 0, s31, s17
	s_delay_alu instid0(VALU_DEP_3)
	s_and_b32 vcc_lo, exec_lo, s3
	s_cbranch_vccz .LBB172_25
; %bb.4:                                ;   in Loop: Header=BB172_3 Depth=1
	s_load_b32 s3, s[26:27], 0xc
	v_mov_b32_e32 v65, 0
	s_waitcnt lgkmcnt(0)
	s_and_b32 s3, s3, 0xffff
	s_delay_alu instid0(SALU_CYCLE_1) | instskip(SKIP_1) | instid1(VALU_DEP_1)
	v_mad_u32_u24 v1, v27, s3, v29
	s_mov_b32 s3, exec_lo
	v_and_b32_e32 v1, 31, v1
	s_delay_alu instid0(VALU_DEP_1)
	v_cmpx_gt_u32_e32 8, v1
	s_cbranch_execz .LBB172_8
; %bb.5:                                ;   in Loop: Header=BB172_3 Depth=1
	v_add_co_u32 v1, vcc_lo, v63, v1
	v_add_co_ci_u32_e32 v4, vcc_lo, 0, v64, vcc_lo
	v_mov_b32_e32 v65, 0
	s_delay_alu instid0(VALU_DEP_3) | instskip(NEXT) | instid1(VALU_DEP_3)
	v_add_co_u32 v3, vcc_lo, 0xffffff81, v1
	v_add_co_ci_u32_e32 v4, vcc_lo, -1, v4, vcc_lo
	s_mov_b32 s17, exec_lo
	s_delay_alu instid0(VALU_DEP_1)
	v_cmpx_gt_i64_e64 s[4:5], v[3:4]
	s_cbranch_execz .LBB172_7
; %bb.6:                                ;   in Loop: Header=BB172_3 Depth=1
	v_lshlrev_b64 v[3:4], 2, v[3:4]
	s_delay_alu instid0(VALU_DEP_1) | instskip(NEXT) | instid1(VALU_DEP_2)
	v_add_co_u32 v3, vcc_lo, s12, v3
	v_add_co_ci_u32_e32 v4, vcc_lo, s13, v4, vcc_lo
	global_load_b32 v65, v[3:4], off
.LBB172_7:                              ;   in Loop: Header=BB172_3 Depth=1
	s_or_b32 exec_lo, exec_lo, s17
.LBB172_8:                              ;   in Loop: Header=BB172_3 Depth=1
	s_delay_alu instid0(SALU_CYCLE_1)
	s_or_b32 exec_lo, exec_lo, s3
	v_add_co_u32 v3, vcc_lo, 0xffffff81, v63
	v_add_co_ci_u32_e32 v4, vcc_lo, -1, v64, vcc_lo
	s_mov_b32 s22, s16
	s_mov_b32 s23, s16
	;; [unrolled: 1-line block ×7, first 2 shown]
	v_dual_mov_b32 v9, s16 :: v_dual_mov_b32 v10, s17
	v_dual_mov_b32 v15, s22 :: v_dual_mov_b32 v16, s23
	;; [unrolled: 1-line block ×4, first 2 shown]
	v_cmp_gt_i64_e32 vcc_lo, s[4:5], v[3:4]
	s_delay_alu instid0(VALU_DEP_4) | instskip(NEXT) | instid1(VALU_DEP_3)
	v_dual_mov_b32 v24, v16 :: v_dual_mov_b32 v23, v15
	v_dual_mov_b32 v21, v13 :: v_dual_mov_b32 v22, v14
	;; [unrolled: 1-line block ×4, first 2 shown]
	s_and_b32 s17, s2, vcc_lo
	s_delay_alu instid0(SALU_CYCLE_1)
	s_and_saveexec_b32 s3, s17
	s_cbranch_execz .LBB172_10
; %bb.9:                                ;   in Loop: Header=BB172_3 Depth=1
	v_add_co_u32 v3, vcc_lo, v58, v25
	v_add_co_ci_u32_e32 v4, vcc_lo, v59, v26, vcc_lo
	v_add_co_u32 v5, vcc_lo, v60, v25
	v_add_co_ci_u32_e32 v6, vcc_lo, v61, v26, vcc_lo
	v_mov_b32_e32 v8, v2
	global_load_u16 v1, v[3:4], off
	global_load_u16 v9, v[5:6], off
	v_mov_b32_e32 v3, v2
	v_mov_b32_e32 v4, v2
	;; [unrolled: 1-line block ×6, first 2 shown]
	s_waitcnt vmcnt(1)
	v_cvt_f32_f16_e32 v1, v1
	v_dual_mov_b32 v11, v2 :: v_dual_mov_b32 v24, v8
	v_dual_mov_b32 v10, v2 :: v_dual_mov_b32 v23, v7
	s_waitcnt vmcnt(0)
	v_cvt_f32_f16_e32 v9, v9
	v_dual_mov_b32 v12, v2 :: v_dual_mov_b32 v21, v5
	v_dual_mov_b32 v13, v2 :: v_dual_mov_b32 v20, v4
	;; [unrolled: 1-line block ×4, first 2 shown]
	v_mov_b32_e32 v22, v6
	v_mov_b32_e32 v18, v2
.LBB172_10:                             ;   in Loop: Header=BB172_3 Depth=1
	s_or_b32 exec_lo, exec_lo, s3
	v_add_co_u32 v3, vcc_lo, 0xffffff82, v63
	v_add_co_ci_u32_e32 v4, vcc_lo, -1, v64, vcc_lo
	s_delay_alu instid0(VALU_DEP_1) | instskip(SKIP_1) | instid1(SALU_CYCLE_1)
	v_cmp_gt_i64_e32 vcc_lo, s[4:5], v[3:4]
	s_and_b32 s17, s2, vcc_lo
	s_and_saveexec_b32 s3, s17
	s_cbranch_execz .LBB172_12
; %bb.11:                               ;   in Loop: Header=BB172_3 Depth=1
	v_add_co_u32 v3, vcc_lo, v54, v25
	v_add_co_ci_u32_e32 v4, vcc_lo, v55, v26, vcc_lo
	v_add_co_u32 v5, vcc_lo, v56, v25
	v_add_co_ci_u32_e32 v6, vcc_lo, v57, v26, vcc_lo
	global_load_u16 v1, v[3:4], off
	global_load_u16 v3, v[5:6], off
	s_waitcnt vmcnt(1)
	v_cvt_f32_f16_e32 v18, v1
	s_waitcnt vmcnt(0)
	v_cvt_f32_f16_e32 v10, v3
.LBB172_12:                             ;   in Loop: Header=BB172_3 Depth=1
	s_or_b32 exec_lo, exec_lo, s3
	v_add_co_u32 v3, vcc_lo, 0xffffff83, v63
	v_add_co_ci_u32_e32 v4, vcc_lo, -1, v64, vcc_lo
	s_delay_alu instid0(VALU_DEP_1) | instskip(SKIP_1) | instid1(SALU_CYCLE_1)
	v_cmp_gt_i64_e32 vcc_lo, s[4:5], v[3:4]
	s_and_b32 s17, s2, vcc_lo
	s_and_saveexec_b32 s3, s17
	s_cbranch_execz .LBB172_14
; %bb.13:                               ;   in Loop: Header=BB172_3 Depth=1
	v_add_co_u32 v3, vcc_lo, v50, v25
	v_add_co_ci_u32_e32 v4, vcc_lo, v51, v26, vcc_lo
	v_add_co_u32 v5, vcc_lo, v52, v25
	v_add_co_ci_u32_e32 v6, vcc_lo, v53, v26, vcc_lo
	global_load_u16 v1, v[3:4], off
	global_load_u16 v3, v[5:6], off
	s_waitcnt vmcnt(1)
	v_cvt_f32_f16_e32 v19, v1
	s_waitcnt vmcnt(0)
	v_cvt_f32_f16_e32 v11, v3
.LBB172_14:                             ;   in Loop: Header=BB172_3 Depth=1
	s_or_b32 exec_lo, exec_lo, s3
	v_add_co_u32 v3, vcc_lo, 0xffffff84, v63
	v_add_co_ci_u32_e32 v4, vcc_lo, -1, v64, vcc_lo
	s_delay_alu instid0(VALU_DEP_1) | instskip(SKIP_1) | instid1(SALU_CYCLE_1)
	v_cmp_gt_i64_e32 vcc_lo, s[4:5], v[3:4]
	s_and_b32 s17, s2, vcc_lo
	s_and_saveexec_b32 s3, s17
	s_cbranch_execz .LBB172_16
; %bb.15:                               ;   in Loop: Header=BB172_3 Depth=1
	v_add_co_u32 v3, vcc_lo, v46, v25
	v_add_co_ci_u32_e32 v4, vcc_lo, v47, v26, vcc_lo
	v_add_co_u32 v5, vcc_lo, v48, v25
	v_add_co_ci_u32_e32 v6, vcc_lo, v49, v26, vcc_lo
	global_load_u16 v1, v[3:4], off
	global_load_u16 v3, v[5:6], off
	s_waitcnt vmcnt(1)
	v_cvt_f32_f16_e32 v20, v1
	s_waitcnt vmcnt(0)
	v_cvt_f32_f16_e32 v12, v3
.LBB172_16:                             ;   in Loop: Header=BB172_3 Depth=1
	s_or_b32 exec_lo, exec_lo, s3
	v_add_co_u32 v3, vcc_lo, 0xffffff85, v63
	v_add_co_ci_u32_e32 v4, vcc_lo, -1, v64, vcc_lo
	s_delay_alu instid0(VALU_DEP_1) | instskip(SKIP_1) | instid1(SALU_CYCLE_1)
	v_cmp_gt_i64_e32 vcc_lo, s[4:5], v[3:4]
	s_and_b32 s17, s2, vcc_lo
	s_and_saveexec_b32 s3, s17
	s_cbranch_execz .LBB172_18
; %bb.17:                               ;   in Loop: Header=BB172_3 Depth=1
	v_add_co_u32 v3, vcc_lo, v42, v25
	v_add_co_ci_u32_e32 v4, vcc_lo, v43, v26, vcc_lo
	v_add_co_u32 v5, vcc_lo, v44, v25
	v_add_co_ci_u32_e32 v6, vcc_lo, v45, v26, vcc_lo
	global_load_u16 v1, v[3:4], off
	global_load_u16 v3, v[5:6], off
	s_waitcnt vmcnt(1)
	v_cvt_f32_f16_e32 v21, v1
	s_waitcnt vmcnt(0)
	v_cvt_f32_f16_e32 v13, v3
.LBB172_18:                             ;   in Loop: Header=BB172_3 Depth=1
	s_or_b32 exec_lo, exec_lo, s3
	v_add_co_u32 v3, vcc_lo, 0xffffff86, v63
	v_add_co_ci_u32_e32 v4, vcc_lo, -1, v64, vcc_lo
	s_delay_alu instid0(VALU_DEP_1) | instskip(SKIP_1) | instid1(SALU_CYCLE_1)
	v_cmp_gt_i64_e32 vcc_lo, s[4:5], v[3:4]
	s_and_b32 s17, s2, vcc_lo
	s_and_saveexec_b32 s3, s17
	s_cbranch_execz .LBB172_20
; %bb.19:                               ;   in Loop: Header=BB172_3 Depth=1
	v_add_co_u32 v3, vcc_lo, v38, v25
	v_add_co_ci_u32_e32 v4, vcc_lo, v39, v26, vcc_lo
	v_add_co_u32 v5, vcc_lo, v40, v25
	v_add_co_ci_u32_e32 v6, vcc_lo, v41, v26, vcc_lo
	global_load_u16 v1, v[3:4], off
	global_load_u16 v3, v[5:6], off
	s_waitcnt vmcnt(1)
	v_cvt_f32_f16_e32 v22, v1
	s_waitcnt vmcnt(0)
	v_cvt_f32_f16_e32 v14, v3
.LBB172_20:                             ;   in Loop: Header=BB172_3 Depth=1
	s_or_b32 exec_lo, exec_lo, s3
	v_add_co_u32 v3, vcc_lo, 0xffffff87, v63
	v_add_co_ci_u32_e32 v4, vcc_lo, -1, v64, vcc_lo
	s_delay_alu instid0(VALU_DEP_1) | instskip(SKIP_1) | instid1(SALU_CYCLE_1)
	v_cmp_gt_i64_e32 vcc_lo, s[4:5], v[3:4]
	s_and_b32 s17, s2, vcc_lo
	s_and_saveexec_b32 s3, s17
	s_cbranch_execz .LBB172_22
; %bb.21:                               ;   in Loop: Header=BB172_3 Depth=1
	v_add_co_u32 v3, vcc_lo, v34, v25
	v_add_co_ci_u32_e32 v4, vcc_lo, v35, v26, vcc_lo
	v_add_co_u32 v5, vcc_lo, v36, v25
	v_add_co_ci_u32_e32 v6, vcc_lo, v37, v26, vcc_lo
	global_load_u16 v1, v[3:4], off
	global_load_u16 v3, v[5:6], off
	s_waitcnt vmcnt(1)
	v_cvt_f32_f16_e32 v23, v1
	s_waitcnt vmcnt(0)
	v_cvt_f32_f16_e32 v15, v3
.LBB172_22:                             ;   in Loop: Header=BB172_3 Depth=1
	s_or_b32 exec_lo, exec_lo, s3
	v_add_co_u32 v3, vcc_lo, 0xffffff88, v63
	v_add_co_ci_u32_e32 v4, vcc_lo, -1, v64, vcc_lo
	s_delay_alu instid0(VALU_DEP_1) | instskip(SKIP_1) | instid1(SALU_CYCLE_1)
	v_cmp_gt_i64_e32 vcc_lo, s[4:5], v[3:4]
	s_and_b32 s17, s2, vcc_lo
	s_and_saveexec_b32 s3, s17
	s_cbranch_execz .LBB172_24
; %bb.23:                               ;   in Loop: Header=BB172_3 Depth=1
	v_add_co_u32 v3, vcc_lo, v30, v25
	v_add_co_ci_u32_e32 v4, vcc_lo, v31, v26, vcc_lo
	v_add_co_u32 v5, vcc_lo, v32, v25
	v_add_co_ci_u32_e32 v6, vcc_lo, v33, v26, vcc_lo
	global_load_u16 v1, v[3:4], off
	global_load_u16 v3, v[5:6], off
	s_waitcnt vmcnt(1)
	v_cvt_f32_f16_e32 v24, v1
	s_waitcnt vmcnt(0)
	v_cvt_f32_f16_e32 v16, v3
.LBB172_24:                             ;   in Loop: Header=BB172_3 Depth=1
	s_or_b32 exec_lo, exec_lo, s3
	s_waitcnt vmcnt(0)
	ds_bpermute_b32 v1, v2, v65
	ds_bpermute_b32 v3, v2, v65 offset:4
	ds_bpermute_b32 v4, v2, v65 offset:8
	v_mul_f32_e32 v5, v9, v17
	ds_bpermute_b32 v6, v2, v65 offset:12
	v_mul_f32_e32 v7, v10, v18
	ds_bpermute_b32 v8, v2, v65 offset:16
	ds_bpermute_b32 v9, v2, v65 offset:20
	s_waitcnt lgkmcnt(5)
	v_fma_f32 v1, v5, v1, v62
	v_mul_f32_e32 v5, v11, v19
	s_waitcnt lgkmcnt(4)
	s_delay_alu instid0(VALU_DEP_2) | instskip(SKIP_2) | instid1(VALU_DEP_2)
	v_fmac_f32_e32 v1, v7, v3
	v_mul_f32_e32 v3, v12, v20
	s_waitcnt lgkmcnt(3)
	v_fmac_f32_e32 v1, v5, v4
	ds_bpermute_b32 v4, v2, v65 offset:24
	v_mul_f32_e32 v5, v13, v21
	s_waitcnt lgkmcnt(3)
	v_fmac_f32_e32 v1, v3, v6
	v_mul_f32_e32 v6, v14, v22
	ds_bpermute_b32 v3, v2, v65 offset:28
	s_waitcnt lgkmcnt(3)
	v_fmac_f32_e32 v1, v5, v8
	v_mul_f32_e32 v5, v15, v23
	s_waitcnt lgkmcnt(2)
	s_delay_alu instid0(VALU_DEP_2) | instskip(SKIP_1) | instid1(VALU_DEP_1)
	v_fmac_f32_e32 v1, v6, v9
	s_waitcnt lgkmcnt(1)
	v_fmac_f32_e32 v1, v5, v4
	s_branch .LBB172_40
.LBB172_25:                             ;   in Loop: Header=BB172_3 Depth=1
                                        ; implicit-def: $vgpr1
                                        ; implicit-def: $vgpr9_vgpr10_vgpr11_vgpr12_vgpr13_vgpr14_vgpr15_vgpr16
                                        ; implicit-def: $vgpr17_vgpr18_vgpr19_vgpr20_vgpr21_vgpr22_vgpr23_vgpr24
                                        ; implicit-def: $vgpr3
	s_cbranch_execz .LBB172_40
; %bb.26:                               ;   in Loop: Header=BB172_3 Depth=1
	s_load_b32 s3, s[26:27], 0x0
	v_mov_b32_e32 v65, 0
	s_waitcnt lgkmcnt(0)
	s_cmp_lt_u32 s14, s3
	s_cselect_b32 s3, 12, 18
	s_delay_alu instid0(SALU_CYCLE_1)
	s_add_u32 s18, s26, s3
	s_addc_u32 s19, s27, 0
	s_mov_b32 s3, exec_lo
	global_load_u16 v1, v2, s[18:19]
	s_waitcnt vmcnt(0)
	v_mad_u32_u24 v1, v27, v1, v29
	s_delay_alu instid0(VALU_DEP_1) | instskip(NEXT) | instid1(VALU_DEP_1)
	v_and_b32_e32 v1, 31, v1
	v_cmpx_gt_u32_e32 8, v1
	s_cbranch_execz .LBB172_30
; %bb.27:                               ;   in Loop: Header=BB172_3 Depth=1
	v_add_co_u32 v1, vcc_lo, v63, v1
	v_add_co_ci_u32_e32 v4, vcc_lo, 0, v64, vcc_lo
	v_mov_b32_e32 v65, 0
	s_delay_alu instid0(VALU_DEP_3) | instskip(NEXT) | instid1(VALU_DEP_3)
	v_add_co_u32 v3, vcc_lo, 0xffffff81, v1
	v_add_co_ci_u32_e32 v4, vcc_lo, -1, v4, vcc_lo
	s_mov_b32 s17, exec_lo
	s_delay_alu instid0(VALU_DEP_1)
	v_cmpx_gt_i64_e64 s[4:5], v[3:4]
	s_cbranch_execz .LBB172_29
; %bb.28:                               ;   in Loop: Header=BB172_3 Depth=1
	v_lshlrev_b64 v[3:4], 2, v[3:4]
	s_delay_alu instid0(VALU_DEP_1) | instskip(NEXT) | instid1(VALU_DEP_2)
	v_add_co_u32 v3, vcc_lo, s12, v3
	v_add_co_ci_u32_e32 v4, vcc_lo, s13, v4, vcc_lo
	global_load_b32 v65, v[3:4], off
.LBB172_29:                             ;   in Loop: Header=BB172_3 Depth=1
	s_or_b32 exec_lo, exec_lo, s17
.LBB172_30:                             ;   in Loop: Header=BB172_3 Depth=1
	s_delay_alu instid0(SALU_CYCLE_1)
	s_or_b32 exec_lo, exec_lo, s3
	s_mov_b32 s22, s16
	s_mov_b32 s23, s16
	;; [unrolled: 1-line block ×7, first 2 shown]
	v_dual_mov_b32 v9, s16 :: v_dual_mov_b32 v10, s17
	v_dual_mov_b32 v15, s22 :: v_dual_mov_b32 v16, s23
	;; [unrolled: 1-line block ×4, first 2 shown]
	s_delay_alu instid0(VALU_DEP_3) | instskip(NEXT) | instid1(VALU_DEP_3)
	v_dual_mov_b32 v24, v16 :: v_dual_mov_b32 v23, v15
	v_dual_mov_b32 v20, v12 :: v_dual_mov_b32 v19, v11
	s_delay_alu instid0(VALU_DEP_3)
	v_dual_mov_b32 v22, v14 :: v_dual_mov_b32 v21, v13
	v_dual_mov_b32 v18, v10 :: v_dual_mov_b32 v17, v9
	s_and_saveexec_b32 s3, s2
	s_cbranch_execnz .LBB172_42
; %bb.31:                               ;   in Loop: Header=BB172_3 Depth=1
	s_or_b32 exec_lo, exec_lo, s3
	s_and_saveexec_b32 s3, s2
	s_cbranch_execnz .LBB172_43
.LBB172_32:                             ;   in Loop: Header=BB172_3 Depth=1
	s_or_b32 exec_lo, exec_lo, s3
	s_and_saveexec_b32 s3, s2
	s_cbranch_execnz .LBB172_44
.LBB172_33:                             ;   in Loop: Header=BB172_3 Depth=1
	s_or_b32 exec_lo, exec_lo, s3
	s_and_saveexec_b32 s3, s2
	s_cbranch_execnz .LBB172_45
.LBB172_34:                             ;   in Loop: Header=BB172_3 Depth=1
	s_or_b32 exec_lo, exec_lo, s3
	s_and_saveexec_b32 s3, s2
	s_cbranch_execnz .LBB172_46
.LBB172_35:                             ;   in Loop: Header=BB172_3 Depth=1
	s_or_b32 exec_lo, exec_lo, s3
	s_and_saveexec_b32 s3, s2
	s_cbranch_execnz .LBB172_47
.LBB172_36:                             ;   in Loop: Header=BB172_3 Depth=1
	s_or_b32 exec_lo, exec_lo, s3
	s_and_saveexec_b32 s3, s2
	s_cbranch_execnz .LBB172_48
.LBB172_37:                             ;   in Loop: Header=BB172_3 Depth=1
	s_or_b32 exec_lo, exec_lo, s3
	s_and_saveexec_b32 s3, s2
	s_cbranch_execz .LBB172_39
.LBB172_38:                             ;   in Loop: Header=BB172_3 Depth=1
	v_add_co_u32 v3, vcc_lo, v30, v25
	v_add_co_ci_u32_e32 v4, vcc_lo, v31, v26, vcc_lo
	v_add_co_u32 v5, vcc_lo, v32, v25
	v_add_co_ci_u32_e32 v6, vcc_lo, v33, v26, vcc_lo
	global_load_u16 v1, v[3:4], off
	global_load_u16 v3, v[5:6], off
	s_waitcnt vmcnt(1)
	v_cvt_f32_f16_e32 v24, v1
	s_waitcnt vmcnt(0)
	v_cvt_f32_f16_e32 v16, v3
.LBB172_39:                             ;   in Loop: Header=BB172_3 Depth=1
	s_or_b32 exec_lo, exec_lo, s3
	s_waitcnt vmcnt(0)
	ds_bpermute_b32 v1, v2, v65
	ds_bpermute_b32 v3, v2, v65 offset:4
	ds_bpermute_b32 v4, v2, v65 offset:8
	;; [unrolled: 1-line block ×3, first 2 shown]
	v_mul_f32_e32 v7, v10, v18
	v_mul_f32_e32 v5, v9, v17
	ds_bpermute_b32 v8, v2, v65 offset:16
	s_waitcnt lgkmcnt(4)
	v_dual_fmac_f32 v62, v5, v1 :: v_dual_mul_f32 v1, v11, v19
	ds_bpermute_b32 v5, v2, v65 offset:20
	s_waitcnt lgkmcnt(4)
	v_dual_fmac_f32 v62, v7, v3 :: v_dual_mul_f32 v3, v12, v20
	s_waitcnt lgkmcnt(3)
	s_delay_alu instid0(VALU_DEP_1)
	v_fmac_f32_e32 v62, v1, v4
	ds_bpermute_b32 v1, v2, v65 offset:24
	v_mul_f32_e32 v4, v13, v21
	s_waitcnt lgkmcnt(3)
	v_fmac_f32_e32 v62, v3, v6
	v_mul_f32_e32 v6, v14, v22
	ds_bpermute_b32 v3, v2, v65 offset:28
	s_waitcnt lgkmcnt(3)
	v_fmac_f32_e32 v62, v4, v8
	v_mul_f32_e32 v4, v15, v23
	s_waitcnt lgkmcnt(2)
	s_delay_alu instid0(VALU_DEP_2) | instskip(SKIP_1) | instid1(VALU_DEP_1)
	v_fmac_f32_e32 v62, v6, v5
	s_waitcnt lgkmcnt(1)
	v_fmac_f32_e32 v62, v4, v1
	s_delay_alu instid0(VALU_DEP_1)
	v_mov_b32_e32 v1, v62
.LBB172_40:                             ;   in Loop: Header=BB172_3 Depth=1
	v_add_co_u32 v30, vcc_lo, v30, s28
	v_add_co_ci_u32_e32 v31, vcc_lo, s29, v31, vcc_lo
	v_add_co_u32 v32, vcc_lo, v32, s28
	v_add_co_ci_u32_e32 v33, vcc_lo, s29, v33, vcc_lo
	;; [unrolled: 2-line block ×13, first 2 shown]
	v_add_co_u32 v56, vcc_lo, v56, s28
	s_add_u32 s34, s34, s36
	v_add_co_ci_u32_e32 v57, vcc_lo, s29, v57, vcc_lo
	v_mul_f32_e32 v4, v24, v16
	s_addc_u32 s35, s35, 0
	v_add_co_u32 v58, vcc_lo, v58, s28
	v_cmp_lt_i64_e64 s3, s[34:35], s[4:5]
	v_add_co_ci_u32_e32 v59, vcc_lo, s29, v59, vcc_lo
	v_add_co_u32 v60, vcc_lo, v60, s28
	s_waitcnt lgkmcnt(0)
	v_fmac_f32_e32 v1, v4, v3
	v_add_co_ci_u32_e32 v61, vcc_lo, s29, v61, vcc_lo
	s_add_u32 s30, s30, s36
	s_addc_u32 s31, s31, 0
	s_and_b32 vcc_lo, exec_lo, s3
	s_cbranch_vccz .LBB172_50
; %bb.41:                               ;   in Loop: Header=BB172_3 Depth=1
	v_mov_b32_e32 v62, v1
	s_branch .LBB172_3
.LBB172_42:                             ;   in Loop: Header=BB172_3 Depth=1
	v_add_co_u32 v3, vcc_lo, v58, v25
	v_add_co_ci_u32_e32 v4, vcc_lo, v59, v26, vcc_lo
	v_add_co_u32 v5, vcc_lo, v60, v25
	v_add_co_ci_u32_e32 v6, vcc_lo, v61, v26, vcc_lo
	v_mov_b32_e32 v8, v2
	global_load_u16 v1, v[3:4], off
	global_load_u16 v9, v[5:6], off
	v_mov_b32_e32 v3, v2
	v_mov_b32_e32 v4, v2
	;; [unrolled: 1-line block ×6, first 2 shown]
	s_waitcnt vmcnt(1)
	v_cvt_f32_f16_e32 v1, v1
	v_dual_mov_b32 v11, v2 :: v_dual_mov_b32 v24, v8
	v_dual_mov_b32 v10, v2 :: v_dual_mov_b32 v23, v7
	s_waitcnt vmcnt(0)
	v_cvt_f32_f16_e32 v9, v9
	v_dual_mov_b32 v12, v2 :: v_dual_mov_b32 v21, v5
	v_dual_mov_b32 v13, v2 :: v_dual_mov_b32 v20, v4
	;; [unrolled: 1-line block ×4, first 2 shown]
	v_mov_b32_e32 v22, v6
	v_mov_b32_e32 v18, v2
	s_or_b32 exec_lo, exec_lo, s3
	s_and_saveexec_b32 s3, s2
	s_cbranch_execz .LBB172_32
.LBB172_43:                             ;   in Loop: Header=BB172_3 Depth=1
	v_add_co_u32 v3, vcc_lo, v54, v25
	v_add_co_ci_u32_e32 v4, vcc_lo, v55, v26, vcc_lo
	v_add_co_u32 v5, vcc_lo, v56, v25
	v_add_co_ci_u32_e32 v6, vcc_lo, v57, v26, vcc_lo
	global_load_u16 v1, v[3:4], off
	global_load_u16 v3, v[5:6], off
	s_waitcnt vmcnt(1)
	v_cvt_f32_f16_e32 v18, v1
	s_waitcnt vmcnt(0)
	v_cvt_f32_f16_e32 v10, v3
	s_or_b32 exec_lo, exec_lo, s3
	s_and_saveexec_b32 s3, s2
	s_cbranch_execz .LBB172_33
.LBB172_44:                             ;   in Loop: Header=BB172_3 Depth=1
	v_add_co_u32 v3, vcc_lo, v50, v25
	v_add_co_ci_u32_e32 v4, vcc_lo, v51, v26, vcc_lo
	v_add_co_u32 v5, vcc_lo, v52, v25
	v_add_co_ci_u32_e32 v6, vcc_lo, v53, v26, vcc_lo
	global_load_u16 v1, v[3:4], off
	global_load_u16 v3, v[5:6], off
	s_waitcnt vmcnt(1)
	v_cvt_f32_f16_e32 v19, v1
	s_waitcnt vmcnt(0)
	v_cvt_f32_f16_e32 v11, v3
	s_or_b32 exec_lo, exec_lo, s3
	s_and_saveexec_b32 s3, s2
	s_cbranch_execz .LBB172_34
.LBB172_45:                             ;   in Loop: Header=BB172_3 Depth=1
	v_add_co_u32 v3, vcc_lo, v46, v25
	v_add_co_ci_u32_e32 v4, vcc_lo, v47, v26, vcc_lo
	v_add_co_u32 v5, vcc_lo, v48, v25
	v_add_co_ci_u32_e32 v6, vcc_lo, v49, v26, vcc_lo
	global_load_u16 v1, v[3:4], off
	global_load_u16 v3, v[5:6], off
	s_waitcnt vmcnt(1)
	v_cvt_f32_f16_e32 v20, v1
	s_waitcnt vmcnt(0)
	v_cvt_f32_f16_e32 v12, v3
	s_or_b32 exec_lo, exec_lo, s3
	s_and_saveexec_b32 s3, s2
	s_cbranch_execz .LBB172_35
.LBB172_46:                             ;   in Loop: Header=BB172_3 Depth=1
	v_add_co_u32 v3, vcc_lo, v42, v25
	v_add_co_ci_u32_e32 v4, vcc_lo, v43, v26, vcc_lo
	v_add_co_u32 v5, vcc_lo, v44, v25
	v_add_co_ci_u32_e32 v6, vcc_lo, v45, v26, vcc_lo
	global_load_u16 v1, v[3:4], off
	global_load_u16 v3, v[5:6], off
	s_waitcnt vmcnt(1)
	v_cvt_f32_f16_e32 v21, v1
	s_waitcnt vmcnt(0)
	v_cvt_f32_f16_e32 v13, v3
	s_or_b32 exec_lo, exec_lo, s3
	s_and_saveexec_b32 s3, s2
	s_cbranch_execz .LBB172_36
.LBB172_47:                             ;   in Loop: Header=BB172_3 Depth=1
	v_add_co_u32 v3, vcc_lo, v38, v25
	v_add_co_ci_u32_e32 v4, vcc_lo, v39, v26, vcc_lo
	v_add_co_u32 v5, vcc_lo, v40, v25
	v_add_co_ci_u32_e32 v6, vcc_lo, v41, v26, vcc_lo
	global_load_u16 v1, v[3:4], off
	global_load_u16 v3, v[5:6], off
	s_waitcnt vmcnt(1)
	v_cvt_f32_f16_e32 v22, v1
	s_waitcnt vmcnt(0)
	v_cvt_f32_f16_e32 v14, v3
	s_or_b32 exec_lo, exec_lo, s3
	s_and_saveexec_b32 s3, s2
	s_cbranch_execz .LBB172_37
.LBB172_48:                             ;   in Loop: Header=BB172_3 Depth=1
	v_add_co_u32 v3, vcc_lo, v34, v25
	v_add_co_ci_u32_e32 v4, vcc_lo, v35, v26, vcc_lo
	v_add_co_u32 v5, vcc_lo, v36, v25
	v_add_co_ci_u32_e32 v6, vcc_lo, v37, v26, vcc_lo
	global_load_u16 v1, v[3:4], off
	global_load_u16 v3, v[5:6], off
	s_waitcnt vmcnt(1)
	v_cvt_f32_f16_e32 v23, v1
	s_waitcnt vmcnt(0)
	v_cvt_f32_f16_e32 v15, v3
	s_or_b32 exec_lo, exec_lo, s3
	s_and_saveexec_b32 s3, s2
	s_cbranch_execnz .LBB172_38
	s_branch .LBB172_39
.LBB172_49:
                                        ; implicit-def: $vgpr1
	s_branch .LBB172_51
.LBB172_50:
	s_cbranch_execnz .LBB172_83
.LBB172_51:
	v_mov_b32_e32 v1, 0
	s_and_not1_b32 vcc_lo, exec_lo, s15
	s_cbranch_vccnz .LBB172_83
; %bb.52:
	s_load_b32 s2, s[0:1], 0x44
	v_dual_mov_b32 v2, 0 :: v_dual_and_b32 v55, 0x3ff, v0
	v_bfe_u32 v56, v0, 10, 10
	s_add_u32 s26, s0, 64
	s_addc_u32 s27, s1, 0
	s_delay_alu instid0(VALU_DEP_2) | instskip(NEXT) | instid1(VALU_DEP_2)
	v_dual_mov_b32 v90, 0 :: v_dual_add_nc_u32 v1, s33, v55
	v_lshlrev_b32_e32 v3, 4, v56
	v_lshlrev_b32_e32 v57, 3, v56
	s_delay_alu instid0(VALU_DEP_3)
	v_lshlrev_b64 v[25:26], 1, v[1:2]
	s_waitcnt lgkmcnt(0)
	s_lshl_b32 s15, s2, 7
	s_add_u32 s28, s24, 0x7f
	s_addc_u32 s29, 0, 0
	s_lshl_b64 s[2:3], s[24:25], 1
	s_mul_i32 s16, s7, s15
	v_add_co_u32 v1, s2, v3, s2
	s_delay_alu instid0(VALU_DEP_1) | instskip(SKIP_1) | instid1(VALU_DEP_3)
	v_add_co_ci_u32_e64 v3, null, 0, s3, s2
	v_add_co_u32 v74, s3, v57, s24
	v_add_co_u32 v7, vcc_lo, v1, 2
	s_delay_alu instid0(VALU_DEP_3) | instskip(SKIP_3) | instid1(VALU_DEP_4)
	v_add_co_ci_u32_e32 v4, vcc_lo, 0, v3, vcc_lo
	v_add_co_u32 v8, vcc_lo, v1, 4
	v_add_co_ci_u32_e32 v5, vcc_lo, 0, v3, vcc_lo
	v_add_co_u32 v11, vcc_lo, v1, 6
	v_mul_lo_u32 v9, s6, v4
	v_add_co_ci_u32_e32 v4, vcc_lo, 0, v3, vcc_lo
	v_add_co_u32 v14, vcc_lo, v1, 8
	v_mul_lo_u32 v12, s6, v5
	;; [unrolled: 3-line block ×4, first 2 shown]
	v_add_co_ci_u32_e32 v5, vcc_lo, 0, v3, vcc_lo
	v_add_co_ci_u32_e64 v75, null, 0, 0, s3
	v_add_co_u32 v1, vcc_lo, v1, 14
	v_mul_lo_u32 v21, s6, v4
	s_delay_alu instid0(VALU_DEP_4) | instskip(SKIP_4) | instid1(VALU_DEP_4)
	v_mul_lo_u32 v23, s6, v5
	v_add_co_ci_u32_e32 v5, vcc_lo, 0, v3, vcc_lo
	v_mul_lo_u32 v6, s7, v74
	v_mul_lo_u32 v41, s6, v75
	v_mad_u64_u32 v[3:4], null, s6, v74, 0
	v_mul_lo_u32 v60, s6, v5
	v_mad_u64_u32 v[27:28], null, s6, v7, s[8:9]
	v_mul_lo_u32 v10, s7, v7
	v_mad_u64_u32 v[29:30], null, s6, v8, s[8:9]
	v_add3_u32 v4, v4, v41, v6
	v_mad_u64_u32 v[41:42], null, s6, v7, s[10:11]
	v_mul_lo_u32 v13, s7, v8
	v_mad_u64_u32 v[43:44], null, s6, v8, s[10:11]
	s_delay_alu instid0(VALU_DEP_4)
	v_lshlrev_b64 v[5:6], 1, v[3:4]
	v_add3_u32 v28, v10, v28, v9
	v_mad_u64_u32 v[31:32], null, s6, v11, s[8:9]
	v_add3_u32 v42, v10, v42, v9
	v_add3_u32 v30, v13, v30, v12
	v_add_co_u32 v58, vcc_lo, s8, v5
	v_add_co_ci_u32_e32 v59, vcc_lo, s9, v6, vcc_lo
	v_add_co_u32 v9, vcc_lo, v74, 7
	v_add_co_ci_u32_e32 v7, vcc_lo, 0, v75, vcc_lo
	v_add3_u32 v44, v13, v44, v12
	v_add_co_u32 v12, vcc_lo, v74, 6
	v_mul_lo_u32 v16, s7, v11
	v_mad_u64_u32 v[39:40], null, s6, v1, s[8:9]
	v_mul_lo_u32 v61, s7, v1
	v_mad_u64_u32 v[45:46], null, s6, v11, s[10:11]
	v_mad_u64_u32 v[53:54], null, s6, v1, s[10:11]
	v_mul_lo_u32 v1, s7, v9
	v_mul_lo_u32 v11, s6, v7
	v_mad_u64_u32 v[7:8], null, s6, v9, 0
	v_add_co_ci_u32_e32 v10, vcc_lo, 0, v75, vcc_lo
	v_mad_u64_u32 v[33:34], null, s6, v14, s[8:9]
	v_mul_lo_u32 v19, s7, v14
	v_mad_u64_u32 v[47:48], null, s6, v14, s[10:11]
	v_mul_lo_u32 v13, s7, v12
	v_mul_lo_u32 v14, s6, v10
	v_mad_u64_u32 v[9:10], null, s6, v12, 0
	v_add3_u32 v8, v8, v11, v1
	v_add3_u32 v40, v61, v40, v60
	;; [unrolled: 1-line block ×3, first 2 shown]
	v_add_co_u32 v60, vcc_lo, s10, v5
	v_add_co_ci_u32_e32 v61, vcc_lo, s11, v6, vcc_lo
	v_lshlrev_b64 v[5:6], 1, v[7:8]
	v_add3_u32 v10, v10, v14, v13
	v_add_co_u32 v1, vcc_lo, v74, 5
	v_add_co_ci_u32_e32 v11, vcc_lo, 0, v75, vcc_lo
	s_delay_alu instid0(VALU_DEP_4) | instskip(NEXT) | instid1(VALU_DEP_4)
	v_add_co_u32 v62, vcc_lo, s8, v5
	v_lshlrev_b64 v[7:8], 1, v[9:10]
	v_add_co_ci_u32_e32 v63, vcc_lo, s9, v6, vcc_lo
	v_mul_lo_u32 v12, s7, v1
	v_mul_lo_u32 v11, s6, v11
	v_mad_u64_u32 v[9:10], null, s6, v1, 0
	v_add_co_u32 v64, vcc_lo, s10, v5
	v_add_co_ci_u32_e32 v65, vcc_lo, s11, v6, vcc_lo
	v_add_co_u32 v66, vcc_lo, s8, v7
	v_add_co_ci_u32_e32 v67, vcc_lo, s9, v8, vcc_lo
	s_mul_hi_u32 s2, s6, s15
	v_add_co_u32 v1, vcc_lo, v74, 4
	v_add3_u32 v10, v10, v11, v12
	s_add_i32 s3, s2, s16
	v_add_co_u32 v68, s2, s10, v7
	v_add_co_ci_u32_e32 v7, vcc_lo, 0, v75, vcc_lo
	v_add_co_u32 v12, vcc_lo, v74, 3
	v_lshlrev_b64 v[5:6], 1, v[9:10]
	v_add_co_ci_u32_e32 v9, vcc_lo, 0, v75, vcc_lo
	v_add_co_ci_u32_e64 v69, s2, s11, v8, s2
	v_mul_lo_u32 v11, s7, v1
	v_mul_lo_u32 v13, s6, v7
	v_mad_u64_u32 v[7:8], null, s6, v1, 0
	v_mul_lo_u32 v1, s7, v12
	v_mul_lo_u32 v14, s6, v9
	v_mad_u64_u32 v[9:10], null, s6, v12, 0
	v_add_co_u32 v70, vcc_lo, s8, v5
	v_add_co_ci_u32_e32 v71, vcc_lo, s9, v6, vcc_lo
	v_add3_u32 v8, v8, v13, v11
	v_add_co_u32 v72, vcc_lo, s10, v5
	v_add_co_ci_u32_e32 v73, vcc_lo, s11, v6, vcc_lo
	v_add3_u32 v10, v10, v14, v1
	v_add_co_u32 v1, vcc_lo, v74, 2
	v_lshlrev_b64 v[5:6], 1, v[7:8]
	v_add_co_ci_u32_e32 v11, vcc_lo, 0, v75, vcc_lo
	s_delay_alu instid0(VALU_DEP_4) | instskip(NEXT) | instid1(VALU_DEP_4)
	v_lshlrev_b64 v[7:8], 1, v[9:10]
	v_mul_lo_u32 v12, s7, v1
	v_mad_u64_u32 v[9:10], null, s6, v1, 0
	v_add_co_u32 v74, vcc_lo, s8, v5
	v_mul_lo_u32 v11, s6, v11
	v_add_co_ci_u32_e32 v75, vcc_lo, s9, v6, vcc_lo
	v_add_co_u32 v76, vcc_lo, s10, v5
	v_add_co_ci_u32_e32 v77, vcc_lo, s11, v6, vcc_lo
	v_add_co_u32 v78, vcc_lo, s8, v7
	v_add_co_ci_u32_e32 v79, vcc_lo, s9, v8, vcc_lo
	v_add3_u32 v10, v10, v11, v12
	v_add_co_u32 v80, vcc_lo, s10, v7
	v_add_co_ci_u32_e32 v81, vcc_lo, s11, v8, vcc_lo
	v_add_co_u32 v3, vcc_lo, v3, s6
	s_delay_alu instid0(VALU_DEP_4) | instskip(SKIP_3) | instid1(VALU_DEP_4)
	v_lshlrev_b64 v[5:6], 1, v[9:10]
	v_add_co_ci_u32_e32 v4, vcc_lo, s7, v4, vcc_lo
	v_mad_u64_u32 v[35:36], null, s6, v18, s[8:9]
	v_mul_lo_u32 v22, s7, v18
	v_add_co_u32 v82, vcc_lo, s8, v5
	s_delay_alu instid0(VALU_DEP_4)
	v_lshlrev_b64 v[3:4], 1, v[3:4]
	v_add_co_ci_u32_e32 v83, vcc_lo, s9, v6, vcc_lo
	v_mad_u64_u32 v[37:38], null, s6, v20, s[8:9]
	v_mul_lo_u32 v24, s7, v20
	v_mad_u64_u32 v[49:50], null, s6, v18, s[10:11]
	v_mad_u64_u32 v[51:52], null, s6, v20, s[10:11]
	v_add_co_u32 v84, vcc_lo, s10, v5
	v_add_co_ci_u32_e32 v85, vcc_lo, s11, v6, vcc_lo
	v_add_co_u32 v86, vcc_lo, s8, v3
	v_add_co_ci_u32_e32 v87, vcc_lo, s9, v4, vcc_lo
	v_add_co_u32 v88, vcc_lo, s10, v3
	v_add3_u32 v32, v16, v32, v15
	v_add3_u32 v34, v19, v34, v17
	;; [unrolled: 1-line block ×8, first 2 shown]
	v_add_co_ci_u32_e32 v89, vcc_lo, s11, v4, vcc_lo
	s_mul_i32 s2, s6, s15
	s_mov_b32 s16, 0
	s_lshl_b64 s[2:3], s[2:3], 1
.LBB172_53:                             ; =>This Inner Loop Header: Depth=1
	v_cmp_ge_i64_e64 s8, s[28:29], s[4:5]
	v_add_co_u32 v91, s9, v57, s28
	s_delay_alu instid0(VALU_DEP_1) | instskip(NEXT) | instid1(VALU_DEP_3)
	v_add_co_ci_u32_e64 v92, null, 0, s29, s9
	s_and_b32 vcc_lo, exec_lo, s8
	s_cbranch_vccz .LBB172_75
; %bb.54:                               ;   in Loop: Header=BB172_53 Depth=1
	s_load_b32 s8, s[26:27], 0xc
	v_mov_b32_e32 v93, 0
	s_waitcnt lgkmcnt(0)
	s_and_b32 s8, s8, 0xffff
	s_delay_alu instid0(SALU_CYCLE_1) | instskip(SKIP_1) | instid1(VALU_DEP_1)
	v_mad_u32_u24 v1, v56, s8, v55
	s_mov_b32 s8, exec_lo
	v_and_b32_e32 v1, 31, v1
	s_delay_alu instid0(VALU_DEP_1)
	v_cmpx_gt_u32_e32 8, v1
	s_cbranch_execz .LBB172_58
; %bb.55:                               ;   in Loop: Header=BB172_53 Depth=1
	v_add_co_u32 v1, vcc_lo, v91, v1
	v_add_co_ci_u32_e32 v4, vcc_lo, 0, v92, vcc_lo
	v_mov_b32_e32 v93, 0
	s_delay_alu instid0(VALU_DEP_3) | instskip(NEXT) | instid1(VALU_DEP_3)
	v_add_co_u32 v3, vcc_lo, 0xffffff81, v1
	v_add_co_ci_u32_e32 v4, vcc_lo, -1, v4, vcc_lo
	s_mov_b32 s9, exec_lo
	s_delay_alu instid0(VALU_DEP_1)
	v_cmpx_gt_i64_e64 s[4:5], v[3:4]
	s_cbranch_execz .LBB172_57
; %bb.56:                               ;   in Loop: Header=BB172_53 Depth=1
	v_lshlrev_b64 v[3:4], 2, v[3:4]
	s_delay_alu instid0(VALU_DEP_1) | instskip(NEXT) | instid1(VALU_DEP_2)
	v_add_co_u32 v3, vcc_lo, s12, v3
	v_add_co_ci_u32_e32 v4, vcc_lo, s13, v4, vcc_lo
	global_load_b32 v93, v[3:4], off
.LBB172_57:                             ;   in Loop: Header=BB172_53 Depth=1
	s_or_b32 exec_lo, exec_lo, s9
.LBB172_58:                             ;   in Loop: Header=BB172_53 Depth=1
	s_delay_alu instid0(SALU_CYCLE_1)
	s_or_b32 exec_lo, exec_lo, s8
	s_mov_b32 s22, s16
	s_mov_b32 s23, s16
	;; [unrolled: 1-line block ×7, first 2 shown]
	v_dual_mov_b32 v9, s16 :: v_dual_mov_b32 v10, s17
	v_dual_mov_b32 v15, s22 :: v_dual_mov_b32 v16, s23
	;; [unrolled: 1-line block ×4, first 2 shown]
	v_add_co_u32 v3, vcc_lo, 0xffffff81, v91
	s_delay_alu instid0(VALU_DEP_4) | instskip(SKIP_1) | instid1(VALU_DEP_4)
	v_dual_mov_b32 v24, v16 :: v_dual_mov_b32 v23, v15
	v_add_co_ci_u32_e32 v4, vcc_lo, -1, v92, vcc_lo
	v_dual_mov_b32 v22, v14 :: v_dual_mov_b32 v21, v13
	v_dual_mov_b32 v20, v12 :: v_dual_mov_b32 v19, v11
	;; [unrolled: 1-line block ×3, first 2 shown]
	s_mov_b32 s8, exec_lo
	v_cmpx_gt_i64_e64 s[4:5], v[3:4]
	s_cbranch_execz .LBB172_60
; %bb.59:                               ;   in Loop: Header=BB172_53 Depth=1
	v_add_co_u32 v3, vcc_lo, v58, v25
	v_add_co_ci_u32_e32 v4, vcc_lo, v59, v26, vcc_lo
	v_add_co_u32 v5, vcc_lo, v60, v25
	v_add_co_ci_u32_e32 v6, vcc_lo, v61, v26, vcc_lo
	v_mov_b32_e32 v8, v2
	global_load_u16 v1, v[3:4], off
	global_load_u16 v9, v[5:6], off
	v_mov_b32_e32 v3, v2
	v_mov_b32_e32 v4, v2
	;; [unrolled: 1-line block ×6, first 2 shown]
	s_waitcnt vmcnt(1)
	v_cvt_f32_f16_e32 v1, v1
	v_dual_mov_b32 v11, v2 :: v_dual_mov_b32 v24, v8
	v_dual_mov_b32 v10, v2 :: v_dual_mov_b32 v23, v7
	s_waitcnt vmcnt(0)
	v_cvt_f32_f16_e32 v9, v9
	v_dual_mov_b32 v12, v2 :: v_dual_mov_b32 v21, v5
	v_dual_mov_b32 v13, v2 :: v_dual_mov_b32 v20, v4
	;; [unrolled: 1-line block ×4, first 2 shown]
	v_mov_b32_e32 v22, v6
	v_mov_b32_e32 v18, v2
.LBB172_60:                             ;   in Loop: Header=BB172_53 Depth=1
	s_or_b32 exec_lo, exec_lo, s8
	v_add_co_u32 v3, vcc_lo, 0xffffff82, v91
	v_add_co_ci_u32_e32 v4, vcc_lo, -1, v92, vcc_lo
	s_mov_b32 s8, exec_lo
	s_delay_alu instid0(VALU_DEP_1)
	v_cmpx_gt_i64_e64 s[4:5], v[3:4]
	s_cbranch_execz .LBB172_62
; %bb.61:                               ;   in Loop: Header=BB172_53 Depth=1
	v_add_co_u32 v3, vcc_lo, v86, v25
	v_add_co_ci_u32_e32 v4, vcc_lo, v87, v26, vcc_lo
	v_add_co_u32 v5, vcc_lo, v88, v25
	v_add_co_ci_u32_e32 v6, vcc_lo, v89, v26, vcc_lo
	global_load_u16 v1, v[3:4], off
	global_load_u16 v3, v[5:6], off
	s_waitcnt vmcnt(1)
	v_cvt_f32_f16_e32 v18, v1
	s_waitcnt vmcnt(0)
	v_cvt_f32_f16_e32 v10, v3
.LBB172_62:                             ;   in Loop: Header=BB172_53 Depth=1
	s_or_b32 exec_lo, exec_lo, s8
	v_add_co_u32 v3, vcc_lo, 0xffffff83, v91
	v_add_co_ci_u32_e32 v4, vcc_lo, -1, v92, vcc_lo
	s_mov_b32 s8, exec_lo
	s_delay_alu instid0(VALU_DEP_1)
	v_cmpx_gt_i64_e64 s[4:5], v[3:4]
	s_cbranch_execz .LBB172_64
; %bb.63:                               ;   in Loop: Header=BB172_53 Depth=1
	v_add_co_u32 v3, vcc_lo, v82, v25
	v_add_co_ci_u32_e32 v4, vcc_lo, v83, v26, vcc_lo
	v_add_co_u32 v5, vcc_lo, v84, v25
	v_add_co_ci_u32_e32 v6, vcc_lo, v85, v26, vcc_lo
	global_load_u16 v1, v[3:4], off
	global_load_u16 v3, v[5:6], off
	s_waitcnt vmcnt(1)
	v_cvt_f32_f16_e32 v19, v1
	s_waitcnt vmcnt(0)
	v_cvt_f32_f16_e32 v11, v3
.LBB172_64:                             ;   in Loop: Header=BB172_53 Depth=1
	;; [unrolled: 19-line block ×7, first 2 shown]
	s_or_b32 exec_lo, exec_lo, s8
	s_waitcnt vmcnt(0)
	ds_bpermute_b32 v1, v2, v93
	ds_bpermute_b32 v3, v2, v93 offset:4
	ds_bpermute_b32 v4, v2, v93 offset:8
	v_mul_f32_e32 v5, v9, v17
	ds_bpermute_b32 v6, v2, v93 offset:12
	v_mul_f32_e32 v7, v10, v18
	ds_bpermute_b32 v8, v2, v93 offset:16
	ds_bpermute_b32 v9, v2, v93 offset:20
	s_waitcnt lgkmcnt(5)
	v_fma_f32 v1, v5, v1, v90
	v_mul_f32_e32 v5, v11, v19
	s_waitcnt lgkmcnt(4)
	s_delay_alu instid0(VALU_DEP_2)
	v_fmac_f32_e32 v1, v7, v3
	v_mul_f32_e32 v3, v12, v20
	ds_bpermute_b32 v7, v2, v93 offset:24
	s_waitcnt lgkmcnt(4)
	v_fmac_f32_e32 v1, v5, v4
	v_dual_mul_f32 v4, v13, v21 :: v_dual_mul_f32 v5, v14, v22
	s_waitcnt lgkmcnt(3)
	s_delay_alu instid0(VALU_DEP_2) | instskip(SKIP_4) | instid1(VALU_DEP_1)
	v_fmac_f32_e32 v1, v3, v6
	ds_bpermute_b32 v3, v2, v93 offset:28
	s_waitcnt lgkmcnt(3)
	v_dual_fmac_f32 v1, v4, v8 :: v_dual_mul_f32 v4, v15, v23
	s_waitcnt lgkmcnt(2)
	v_fmac_f32_e32 v1, v5, v9
	s_waitcnt lgkmcnt(1)
	s_delay_alu instid0(VALU_DEP_1) | instskip(SKIP_2) | instid1(VALU_DEP_1)
	v_fmac_f32_e32 v1, v4, v7
	v_mul_f32_e32 v4, v16, v24
	s_waitcnt lgkmcnt(0)
	v_fmac_f32_e32 v1, v4, v3
	s_branch .LBB172_81
.LBB172_75:                             ;   in Loop: Header=BB172_53 Depth=1
                                        ; implicit-def: $vgpr1
	s_cbranch_execz .LBB172_81
; %bb.76:                               ;   in Loop: Header=BB172_53 Depth=1
	s_load_b32 s8, s[26:27], 0x0
	s_waitcnt lgkmcnt(0)
	s_cmp_lt_u32 s14, s8
	s_cselect_b32 s8, 12, 18
	s_delay_alu instid0(SALU_CYCLE_1)
	s_add_u32 s8, s26, s8
	s_addc_u32 s9, s27, 0
	global_load_u16 v1, v2, s[8:9]
	s_mov_b32 s8, exec_lo
	s_waitcnt vmcnt(0)
	v_mad_u32_u24 v1, v56, v1, v55
	s_delay_alu instid0(VALU_DEP_1) | instskip(SKIP_1) | instid1(VALU_DEP_2)
	v_and_b32_e32 v3, 31, v1
	v_mov_b32_e32 v1, 0
	v_cmpx_gt_u32_e32 8, v3
	s_cbranch_execz .LBB172_80
; %bb.77:                               ;   in Loop: Header=BB172_53 Depth=1
	v_add_co_u32 v1, vcc_lo, v91, v3
	v_add_co_ci_u32_e32 v4, vcc_lo, 0, v92, vcc_lo
	s_mov_b32 s9, exec_lo
	s_delay_alu instid0(VALU_DEP_2) | instskip(NEXT) | instid1(VALU_DEP_2)
	v_add_co_u32 v3, vcc_lo, 0xffffff81, v1
	v_add_co_ci_u32_e32 v4, vcc_lo, -1, v4, vcc_lo
	v_mov_b32_e32 v1, 0
	s_delay_alu instid0(VALU_DEP_2)
	v_cmpx_gt_i64_e64 s[4:5], v[3:4]
	s_cbranch_execz .LBB172_79
; %bb.78:                               ;   in Loop: Header=BB172_53 Depth=1
	v_lshlrev_b64 v[3:4], 2, v[3:4]
	s_delay_alu instid0(VALU_DEP_1) | instskip(NEXT) | instid1(VALU_DEP_2)
	v_add_co_u32 v3, vcc_lo, s12, v3
	v_add_co_ci_u32_e32 v4, vcc_lo, s13, v4, vcc_lo
	global_load_b32 v1, v[3:4], off
.LBB172_79:                             ;   in Loop: Header=BB172_53 Depth=1
	s_or_b32 exec_lo, exec_lo, s9
.LBB172_80:                             ;   in Loop: Header=BB172_53 Depth=1
	s_delay_alu instid0(SALU_CYCLE_1)
	s_or_b32 exec_lo, exec_lo, s8
	v_add_co_u32 v3, vcc_lo, v58, v25
	v_add_co_ci_u32_e32 v4, vcc_lo, v59, v26, vcc_lo
	v_add_co_u32 v5, vcc_lo, v60, v25
	v_add_co_ci_u32_e32 v6, vcc_lo, v61, v26, vcc_lo
	;; [unrolled: 2-line block ×5, first 2 shown]
	global_load_u16 v13, v[3:4], off
	global_load_u16 v14, v[5:6], off
	;; [unrolled: 1-line block ×5, first 2 shown]
	v_add_co_u32 v3, vcc_lo, v43, v25
	v_add_co_ci_u32_e32 v4, vcc_lo, v44, v26, vcc_lo
	v_add_co_u32 v5, vcc_lo, v31, v25
	v_add_co_ci_u32_e32 v6, vcc_lo, v32, v26, vcc_lo
	;; [unrolled: 2-line block ×5, first 2 shown]
	global_load_u16 v18, v[3:4], off
	global_load_u16 v19, v[5:6], off
	;; [unrolled: 1-line block ×5, first 2 shown]
	v_add_co_u32 v3, vcc_lo, v35, v25
	v_add_co_ci_u32_e32 v4, vcc_lo, v36, v26, vcc_lo
	v_add_co_u32 v5, vcc_lo, v49, v25
	v_add_co_ci_u32_e32 v6, vcc_lo, v50, v26, vcc_lo
	v_add_co_u32 v7, vcc_lo, v37, v25
	v_add_co_ci_u32_e32 v8, vcc_lo, v38, v26, vcc_lo
	v_add_co_u32 v9, vcc_lo, v51, v25
	v_add_co_ci_u32_e32 v10, vcc_lo, v52, v26, vcc_lo
	global_load_u16 v12, v[3:4], off
	global_load_u16 v22, v[5:6], off
	;; [unrolled: 1-line block ×4, first 2 shown]
	v_add_co_u32 v3, vcc_lo, v39, v25
	v_add_co_ci_u32_e32 v4, vcc_lo, v40, v26, vcc_lo
	v_add_co_u32 v5, vcc_lo, v53, v25
	v_add_co_ci_u32_e32 v6, vcc_lo, v54, v26, vcc_lo
	global_load_u16 v3, v[3:4], off
	global_load_u16 v4, v[5:6], off
	s_waitcnt vmcnt(16)
	ds_bpermute_b32 v5, v2, v1
	ds_bpermute_b32 v6, v2, v1 offset:4
	ds_bpermute_b32 v9, v2, v1 offset:8
	s_waitcnt vmcnt(15)
	v_cvt_f32_f16_e32 v10, v13
	s_waitcnt vmcnt(14)
	v_cvt_f32_f16_e32 v13, v14
	ds_bpermute_b32 v14, v2, v1 offset:12
	s_waitcnt vmcnt(13)
	v_cvt_f32_f16_e32 v15, v15
	s_waitcnt vmcnt(12)
	v_cvt_f32_f16_e32 v16, v16
	;; [unrolled: 2-line block ×3, first 2 shown]
	v_mul_f32_e32 v10, v10, v13
	ds_bpermute_b32 v13, v2, v1 offset:16
	v_mul_f32_e32 v15, v15, v16
	s_waitcnt vmcnt(10)
	v_cvt_f32_f16_e32 v18, v18
	s_waitcnt lgkmcnt(4)
	v_fmac_f32_e32 v90, v10, v5
	ds_bpermute_b32 v5, v2, v1 offset:20
	s_waitcnt vmcnt(9)
	v_cvt_f32_f16_e32 v10, v19
	s_waitcnt vmcnt(8)
	v_cvt_f32_f16_e32 v16, v20
	v_mul_f32_e32 v17, v17, v18
	s_waitcnt lgkmcnt(4)
	v_fmac_f32_e32 v90, v15, v6
	ds_bpermute_b32 v6, v2, v1 offset:24
	s_waitcnt vmcnt(7)
	v_cvt_f32_f16_e32 v15, v21
	s_waitcnt vmcnt(6)
	v_cvt_f32_f16_e32 v11, v11
	v_mul_f32_e32 v10, v10, v16
	ds_bpermute_b32 v1, v2, v1 offset:28
	v_mul_f32_e32 v11, v15, v11
	s_waitcnt vmcnt(3)
	v_cvt_f32_f16_e32 v7, v7
	s_waitcnt vmcnt(2)
	v_cvt_f32_f16_e32 v8, v8
	s_waitcnt lgkmcnt(5)
	v_fmac_f32_e32 v90, v17, v9
	v_cvt_f32_f16_e32 v9, v12
	v_cvt_f32_f16_e32 v12, v22
	v_mul_f32_e32 v7, v7, v8
	s_delay_alu instid0(VALU_DEP_2)
	v_mul_f32_e32 v9, v9, v12
	s_waitcnt vmcnt(1)
	v_cvt_f32_f16_e32 v3, v3
	s_waitcnt vmcnt(0)
	v_cvt_f32_f16_e32 v4, v4
	s_waitcnt lgkmcnt(4)
	s_delay_alu instid0(VALU_DEP_1) | instskip(SKIP_1) | instid1(VALU_DEP_1)
	v_dual_fmac_f32 v90, v10, v14 :: v_dual_mul_f32 v3, v3, v4
	s_waitcnt lgkmcnt(3)
	v_fmac_f32_e32 v90, v11, v13
	s_waitcnt lgkmcnt(2)
	s_delay_alu instid0(VALU_DEP_1) | instskip(SKIP_1) | instid1(VALU_DEP_1)
	v_fmac_f32_e32 v90, v9, v5
	s_waitcnt lgkmcnt(1)
	v_fmac_f32_e32 v90, v7, v6
	s_waitcnt lgkmcnt(0)
	s_delay_alu instid0(VALU_DEP_1) | instskip(NEXT) | instid1(VALU_DEP_1)
	v_fmac_f32_e32 v90, v3, v1
	v_mov_b32_e32 v1, v90
.LBB172_81:                             ;   in Loop: Header=BB172_53 Depth=1
	v_add_co_u32 v27, vcc_lo, v27, s2
	v_add_co_ci_u32_e32 v28, vcc_lo, s3, v28, vcc_lo
	v_add_co_u32 v29, vcc_lo, v29, s2
	v_add_co_ci_u32_e32 v30, vcc_lo, s3, v30, vcc_lo
	;; [unrolled: 2-line block ×27, first 2 shown]
	v_add_co_u32 v84, vcc_lo, v84, s2
	s_add_u32 s24, s24, s15
	v_add_co_ci_u32_e32 v85, vcc_lo, s3, v85, vcc_lo
	s_addc_u32 s25, s25, 0
	v_add_co_u32 v86, vcc_lo, v86, s2
	v_cmp_ge_i64_e64 s8, s[24:25], s[4:5]
	v_add_co_ci_u32_e32 v87, vcc_lo, s3, v87, vcc_lo
	v_add_co_u32 v88, vcc_lo, v88, s2
	v_add_co_ci_u32_e32 v89, vcc_lo, s3, v89, vcc_lo
	s_add_u32 s28, s28, s15
	s_addc_u32 s29, s29, 0
	s_and_b32 vcc_lo, exec_lo, s8
	s_cbranch_vccnz .LBB172_83
; %bb.82:                               ;   in Loop: Header=BB172_53 Depth=1
	v_mov_b32_e32 v90, v1
	s_branch .LBB172_53
.LBB172_83:
	v_and_b32_e32 v4, 0x3ff, v0
	v_bfe_u32 v0, v0, 10, 10
	s_mov_b32 s15, 0
	s_mov_b32 s2, exec_lo
	s_delay_alu instid0(VALU_DEP_1) | instskip(NEXT) | instid1(VALU_DEP_1)
	v_mad_u32_u24 v2, 0x41, v0, v4
	v_sub_nc_u32_e32 v0, v2, v0
	v_lshl_add_u32 v3, v2, 2, 0
	v_mov_b32_e32 v2, 0
	ds_store_b32 v3, v1
	ds_store_b32 v3, v2 offset:4160
	s_waitcnt lgkmcnt(0)
	s_barrier
	buffer_gl0_inv
	v_cmpx_gt_u32_e32 0x800, v0
	s_cbranch_execz .LBB172_90
; %bb.84:
	v_mbcnt_lo_u32_b32 v5, -1, 0
	v_lshrrev_b32_e32 v3, 5, v0
	s_load_b64 s[8:9], s[0:1], 0x30
	v_and_b32_e32 v1, 31, v4
	v_cmp_ne_u32_e32 vcc_lo, 0, v4
	v_xor_b32_e32 v0, 8, v5
	v_xor_b32_e32 v4, 4, v5
	;; [unrolled: 1-line block ×4, first 2 shown]
	s_lshl_b64 s[4:5], s[14:15], 6
	v_cmp_gt_i32_e64 s1, 32, v0
	v_cmp_gt_u32_e64 s0, 16, v1
	v_mul_u32_u24_e32 v1, 0x104, v1
	v_lshlrev_b32_e32 v9, 1, v3
	s_delay_alu instid0(VALU_DEP_4) | instskip(SKIP_1) | instid1(VALU_DEP_1)
	v_cndmask_b32_e64 v0, v5, v0, s1
	v_cmp_gt_i32_e64 s1, 32, v4
	v_cndmask_b32_e64 v8, v5, v4, s1
	v_cmp_gt_i32_e64 s1, 32, v6
	s_waitcnt lgkmcnt(0)
	s_cmp_eq_u64 s[8:9], 0
	v_lshlrev_b32_e32 v4, 2, v0
	v_lshlrev_b32_e32 v0, 2, v3
	s_cselect_b32 s3, -1, 0
	v_cndmask_b32_e64 v6, v5, v6, s1
	v_cmp_gt_i32_e64 s1, 32, v7
	s_lshl_b64 s[10:11], s[14:15], 7
	s_delay_alu instid0(VALU_DEP_2) | instskip(NEXT) | instid1(VALU_DEP_2)
	v_lshlrev_b32_e32 v6, 2, v6
	v_cndmask_b32_e64 v7, v5, v7, s1
	s_add_u32 s1, s8, s10
	v_lshlrev_b32_e32 v5, 2, v8
	v_add3_u32 v8, v1, v0, 0
	s_addc_u32 s2, s9, s11
	v_add_co_u32 v0, s1, s1, v9
	v_lshlrev_b32_e32 v7, 2, v7
	v_add_co_ci_u32_e64 v1, null, s2, 0, s1
                                        ; implicit-def: $vgpr9
	s_branch .LBB172_86
.LBB172_85:                             ;   in Loop: Header=BB172_86 Depth=1
	s_or_b32 exec_lo, exec_lo, s1
	v_add_co_u32 v3, s1, v3, 32
	s_delay_alu instid0(VALU_DEP_1) | instskip(SKIP_1) | instid1(VALU_DEP_3)
	v_add_co_ci_u32_e64 v2, s1, 0, v2, s1
	v_add_co_u32 v0, s2, v0, 64
	v_subrev_nc_u32_e32 v10, 32, v3
	v_add_nc_u32_e32 v8, 0x80, v8
	v_add_co_ci_u32_e64 v1, s2, 0, v1, s2
	s_delay_alu instid0(VALU_DEP_3) | instskip(NEXT) | instid1(VALU_DEP_1)
	v_cmp_lt_u32_e64 s1, 31, v10
	s_or_b32 s15, s1, s15
	s_delay_alu instid0(SALU_CYCLE_1)
	s_and_not1_b32 exec_lo, exec_lo, s15
	s_cbranch_execz .LBB172_90
.LBB172_86:                             ; =>This Inner Loop Header: Depth=1
	s_and_saveexec_b32 s1, s0
	s_cbranch_execz .LBB172_88
; %bb.87:                               ;   in Loop: Header=BB172_86 Depth=1
	ds_load_b32 v9, v8
.LBB172_88:                             ;   in Loop: Header=BB172_86 Depth=1
	s_or_b32 exec_lo, exec_lo, s1
	s_waitcnt lgkmcnt(0)
	ds_bpermute_b32 v10, v4, v9
	s_waitcnt lgkmcnt(0)
	v_add_f32_e32 v9, v9, v10
	ds_bpermute_b32 v10, v5, v9
	s_waitcnt lgkmcnt(0)
	v_add_f32_e32 v9, v9, v10
	;; [unrolled: 3-line block ×3, first 2 shown]
	v_add_co_u32 v9, s1, s4, v3
	s_delay_alu instid0(VALU_DEP_1) | instskip(SKIP_2) | instid1(VALU_DEP_1)
	v_add_co_ci_u32_e64 v10, s1, s5, v2, s1
	ds_bpermute_b32 v12, v7, v11
	v_cmp_le_i64_e64 s1, s[6:7], v[9:10]
	s_or_b32 s1, vcc_lo, s1
	s_delay_alu instid0(SALU_CYCLE_1) | instskip(NEXT) | instid1(SALU_CYCLE_1)
	s_or_b32 s1, s3, s1
	s_xor_b32 s2, s1, -1
	s_waitcnt lgkmcnt(0)
	v_add_f32_e32 v9, v11, v12
	s_and_saveexec_b32 s1, s2
	s_cbranch_execz .LBB172_85
; %bb.89:                               ;   in Loop: Header=BB172_86 Depth=1
	s_delay_alu instid0(VALU_DEP_1)
	v_cvt_f16_f32_e32 v10, v9
	global_store_b16 v[0:1], v10, off
	s_branch .LBB172_85
.LBB172_90:
	s_nop 0
	s_sendmsg sendmsg(MSG_DEALLOC_VGPRS)
	s_endpgm
	.section	.rodata,"a",@progbits
	.p2align	6, 0x0
	.amdhsa_kernel _ZN2at6native12_GLOBAL__N_135GammaBetaBackwardCUDAKernelTemplateIN3c104HalfEfLj64ELj16ELj128ELb0ELb0ELb1EEEvllPKT_S7_PKT0_SA_PS5_SB_
		.amdhsa_group_segment_fixed_size 0
		.amdhsa_private_segment_fixed_size 0
		.amdhsa_kernarg_size 320
		.amdhsa_user_sgpr_count 14
		.amdhsa_user_sgpr_dispatch_ptr 0
		.amdhsa_user_sgpr_queue_ptr 0
		.amdhsa_user_sgpr_kernarg_segment_ptr 1
		.amdhsa_user_sgpr_dispatch_id 0
		.amdhsa_user_sgpr_private_segment_size 0
		.amdhsa_wavefront_size32 1
		.amdhsa_uses_dynamic_stack 0
		.amdhsa_enable_private_segment 0
		.amdhsa_system_sgpr_workgroup_id_x 1
		.amdhsa_system_sgpr_workgroup_id_y 1
		.amdhsa_system_sgpr_workgroup_id_z 0
		.amdhsa_system_sgpr_workgroup_info 0
		.amdhsa_system_vgpr_workitem_id 1
		.amdhsa_next_free_vgpr 94
		.amdhsa_next_free_sgpr 37
		.amdhsa_reserve_vcc 1
		.amdhsa_float_round_mode_32 0
		.amdhsa_float_round_mode_16_64 0
		.amdhsa_float_denorm_mode_32 3
		.amdhsa_float_denorm_mode_16_64 3
		.amdhsa_dx10_clamp 1
		.amdhsa_ieee_mode 1
		.amdhsa_fp16_overflow 0
		.amdhsa_workgroup_processor_mode 1
		.amdhsa_memory_ordered 1
		.amdhsa_forward_progress 0
		.amdhsa_shared_vgpr_count 0
		.amdhsa_exception_fp_ieee_invalid_op 0
		.amdhsa_exception_fp_denorm_src 0
		.amdhsa_exception_fp_ieee_div_zero 0
		.amdhsa_exception_fp_ieee_overflow 0
		.amdhsa_exception_fp_ieee_underflow 0
		.amdhsa_exception_fp_ieee_inexact 0
		.amdhsa_exception_int_div_zero 0
	.end_amdhsa_kernel
	.section	.text._ZN2at6native12_GLOBAL__N_135GammaBetaBackwardCUDAKernelTemplateIN3c104HalfEfLj64ELj16ELj128ELb0ELb0ELb1EEEvllPKT_S7_PKT0_SA_PS5_SB_,"axG",@progbits,_ZN2at6native12_GLOBAL__N_135GammaBetaBackwardCUDAKernelTemplateIN3c104HalfEfLj64ELj16ELj128ELb0ELb0ELb1EEEvllPKT_S7_PKT0_SA_PS5_SB_,comdat
.Lfunc_end172:
	.size	_ZN2at6native12_GLOBAL__N_135GammaBetaBackwardCUDAKernelTemplateIN3c104HalfEfLj64ELj16ELj128ELb0ELb0ELb1EEEvllPKT_S7_PKT0_SA_PS5_SB_, .Lfunc_end172-_ZN2at6native12_GLOBAL__N_135GammaBetaBackwardCUDAKernelTemplateIN3c104HalfEfLj64ELj16ELj128ELb0ELb0ELb1EEEvllPKT_S7_PKT0_SA_PS5_SB_
                                        ; -- End function
	.section	.AMDGPU.csdata,"",@progbits
; Kernel info:
; codeLenInByte = 7856
; NumSgprs: 39
; NumVgprs: 94
; ScratchSize: 0
; MemoryBound: 0
; FloatMode: 240
; IeeeMode: 1
; LDSByteSize: 0 bytes/workgroup (compile time only)
; SGPRBlocks: 4
; VGPRBlocks: 11
; NumSGPRsForWavesPerEU: 39
; NumVGPRsForWavesPerEU: 94
; Occupancy: 16
; WaveLimiterHint : 0
; COMPUTE_PGM_RSRC2:SCRATCH_EN: 0
; COMPUTE_PGM_RSRC2:USER_SGPR: 14
; COMPUTE_PGM_RSRC2:TRAP_HANDLER: 0
; COMPUTE_PGM_RSRC2:TGID_X_EN: 1
; COMPUTE_PGM_RSRC2:TGID_Y_EN: 1
; COMPUTE_PGM_RSRC2:TGID_Z_EN: 0
; COMPUTE_PGM_RSRC2:TIDIG_COMP_CNT: 1
	.section	.text._ZN2at6native12_GLOBAL__N_135GammaBetaBackwardCUDAKernelTemplateIN3c104HalfEfLj64ELj16ELj256ELb0ELb1ELb1EEEvllPKT_S7_PKT0_SA_PS5_SB_,"axG",@progbits,_ZN2at6native12_GLOBAL__N_135GammaBetaBackwardCUDAKernelTemplateIN3c104HalfEfLj64ELj16ELj256ELb0ELb1ELb1EEEvllPKT_S7_PKT0_SA_PS5_SB_,comdat
	.globl	_ZN2at6native12_GLOBAL__N_135GammaBetaBackwardCUDAKernelTemplateIN3c104HalfEfLj64ELj16ELj256ELb0ELb1ELb1EEEvllPKT_S7_PKT0_SA_PS5_SB_ ; -- Begin function _ZN2at6native12_GLOBAL__N_135GammaBetaBackwardCUDAKernelTemplateIN3c104HalfEfLj64ELj16ELj256ELb0ELb1ELb1EEEvllPKT_S7_PKT0_SA_PS5_SB_
	.p2align	8
	.type	_ZN2at6native12_GLOBAL__N_135GammaBetaBackwardCUDAKernelTemplateIN3c104HalfEfLj64ELj16ELj256ELb0ELb1ELb1EEEvllPKT_S7_PKT0_SA_PS5_SB_,@function
_ZN2at6native12_GLOBAL__N_135GammaBetaBackwardCUDAKernelTemplateIN3c104HalfEfLj64ELj16ELj256ELb0ELb1ELb1EEEvllPKT_S7_PKT0_SA_PS5_SB_: ; @_ZN2at6native12_GLOBAL__N_135GammaBetaBackwardCUDAKernelTemplateIN3c104HalfEfLj64ELj16ELj256ELb0ELb1ELb1EEEvllPKT_S7_PKT0_SA_PS5_SB_
; %bb.0:
	s_load_b128 s[4:7], s[0:1], 0x0
	s_mov_b32 s13, 0
	s_lshl_b32 s12, s15, 8
	v_bfe_u32 v7, v0, 10, 10
	s_waitcnt lgkmcnt(0)
	v_cmp_lt_i64_e64 s2, s[12:13], s[4:5]
	s_delay_alu instid0(VALU_DEP_1)
	s_and_b32 vcc_lo, exec_lo, s2
	s_cbranch_vccnz .LBB173_2
; %bb.1:
	v_bfe_u32 v1, v0, 10, 10
	s_mov_b32 s8, 0
	s_mov_b32 s9, s13
	s_branch .LBB173_3
.LBB173_2:
	s_mov_b32 s9, -1
                                        ; implicit-def: $sgpr8
                                        ; implicit-def: $vgpr1
.LBB173_3:
	s_load_b64 s[2:3], s[0:1], 0x30
	v_and_b32_e32 v6, 0x3ff, v0
	v_mov_b32_e32 v0, s8
	s_and_not1_b32 vcc_lo, exec_lo, s9
	s_cbranch_vccnz .LBB173_11
; %bb.4:
	s_clause 0x3
	s_load_b32 s15, s[0:1], 0x4c
	s_load_b32 s16, s[0:1], 0x44
	s_load_b128 s[8:11], s[0:1], 0x10
	s_load_b64 s[18:19], s[0:1], 0x28
	v_dual_mov_b32 v1, 0 :: v_dual_lshlrev_b32 v2, 4, v7
	v_lshl_add_u32 v0, s14, 6, v6
	v_dual_mov_b32 v8, 16 :: v_dual_mov_b32 v9, 4
	v_dual_mov_b32 v10, 8 :: v_dual_mov_b32 v11, 12
	s_delay_alu instid0(VALU_DEP_3)
	v_lshlrev_b64 v[27:28], 1, v[0:1]
	v_dual_mov_b32 v12, 20 :: v_dual_mov_b32 v13, 24
	v_dual_mov_b32 v14, 28 :: v_dual_mov_b32 v15, 32
	;; [unrolled: 1-line block ×3, first 2 shown]
	v_mov_b32_e32 v0, 0
	s_mov_b32 s17, 0
	s_waitcnt lgkmcnt(0)
	s_and_b32 s0, s15, 0xffff
	s_lshl_b32 s16, s16, 8
	v_mad_u32_u24 v3, v7, s0, v6
	v_add_co_u32 v2, s0, v2, s12
	s_delay_alu instid0(VALU_DEP_1) | instskip(NEXT) | instid1(VALU_DEP_3)
	v_add_co_ci_u32_e64 v19, null, 0, 0, s0
	v_dual_mov_b32 v18, 44 :: v_dual_and_b32 v3, 31, v3
	s_delay_alu instid0(VALU_DEP_3) | instskip(NEXT) | instid1(VALU_DEP_3)
	v_mul_lo_u32 v21, s7, v2
	v_mul_lo_u32 v22, s6, v19
	v_mad_u64_u32 v[4:5], null, s6, v2, 0
	s_delay_alu instid0(VALU_DEP_4) | instskip(SKIP_3) | instid1(VALU_DEP_4)
	v_add_co_u32 v2, vcc_lo, v2, v3
	v_cmp_gt_u32_e64 s0, 16, v3
	v_add_co_ci_u32_e32 v3, vcc_lo, 0, v19, vcc_lo
	s_mul_i32 s1, s7, s16
	v_add3_u32 v5, v5, v22, v21
	s_mul_hi_u32 s15, s6, s16
	s_delay_alu instid0(VALU_DEP_2) | instskip(SKIP_1) | instid1(VALU_DEP_3)
	v_lshlrev_b64 v[23:24], 2, v[2:3]
	v_dual_mov_b32 v19, 48 :: v_dual_mov_b32 v20, 52
	v_lshlrev_b64 v[25:26], 1, v[4:5]
	v_dual_mov_b32 v21, 56 :: v_dual_mov_b32 v22, 60
	s_delay_alu instid0(VALU_DEP_4) | instskip(SKIP_1) | instid1(VALU_DEP_4)
	v_add_co_u32 v4, vcc_lo, s18, v23
	v_add_co_ci_u32_e32 v5, vcc_lo, s19, v24, vcc_lo
	v_add_co_u32 v23, vcc_lo, v25, v27
	v_add_co_ci_u32_e32 v24, vcc_lo, v26, v28, vcc_lo
	s_add_i32 s21, s15, s1
	s_mul_i32 s20, s6, s16
	s_lshl_b64 s[18:19], s[16:17], 2
	s_lshl_b64 s[20:21], s[20:21], 1
	;; [unrolled: 1-line block ×3, first 2 shown]
	s_branch .LBB173_7
.LBB173_5:                              ;   in Loop: Header=BB173_7 Depth=1
	s_or_b32 exec_lo, exec_lo, s15
.LBB173_6:                              ;   in Loop: Header=BB173_7 Depth=1
	s_delay_alu instid0(SALU_CYCLE_1) | instskip(SKIP_4) | instid1(VALU_DEP_4)
	s_or_b32 exec_lo, exec_lo, s1
	v_add_co_u32 v26, vcc_lo, s8, v23
	v_add_co_ci_u32_e32 v27, vcc_lo, s9, v24, vcc_lo
	v_add_co_u32 v28, vcc_lo, s10, v23
	v_add_co_ci_u32_e32 v29, vcc_lo, s11, v24, vcc_lo
	v_add_co_u32 v30, vcc_lo, v26, s6
	s_delay_alu instid0(VALU_DEP_4) | instskip(NEXT) | instid1(VALU_DEP_4)
	v_add_co_ci_u32_e32 v31, vcc_lo, s7, v27, vcc_lo
	v_add_co_u32 v32, vcc_lo, v28, s6
	s_delay_alu instid0(VALU_DEP_4)
	v_add_co_ci_u32_e32 v33, vcc_lo, s7, v29, vcc_lo
	global_load_u16 v36, v[26:27], off
	global_load_u16 v37, v[28:29], off
	global_load_u16 v38, v[30:31], off
	global_load_u16 v39, v[32:33], off
	v_add_co_u32 v26, vcc_lo, v30, s6
	v_add_co_ci_u32_e32 v27, vcc_lo, s7, v31, vcc_lo
	v_add_co_u32 v28, vcc_lo, v32, s6
	v_add_co_ci_u32_e32 v29, vcc_lo, s7, v33, vcc_lo
	s_delay_alu instid0(VALU_DEP_4) | instskip(NEXT) | instid1(VALU_DEP_4)
	v_add_co_u32 v30, vcc_lo, v26, s6
	v_add_co_ci_u32_e32 v31, vcc_lo, s7, v27, vcc_lo
	s_delay_alu instid0(VALU_DEP_4) | instskip(NEXT) | instid1(VALU_DEP_4)
	v_add_co_u32 v32, vcc_lo, v28, s6
	v_add_co_ci_u32_e32 v33, vcc_lo, s7, v29, vcc_lo
	s_delay_alu instid0(VALU_DEP_4) | instskip(NEXT) | instid1(VALU_DEP_4)
	v_add_co_u32 v34, vcc_lo, v30, s6
	v_add_co_ci_u32_e32 v35, vcc_lo, s7, v31, vcc_lo
	global_load_u16 v40, v[26:27], off
	global_load_u16 v41, v[28:29], off
	global_load_u16 v42, v[30:31], off
	global_load_u16 v43, v[32:33], off
	global_load_u16 v44, v[34:35], off
	v_add_co_u32 v26, vcc_lo, v32, s6
	v_add_co_ci_u32_e32 v27, vcc_lo, s7, v33, vcc_lo
	v_add_co_u32 v28, vcc_lo, v34, s6
	v_add_co_ci_u32_e32 v29, vcc_lo, s7, v35, vcc_lo
	s_delay_alu instid0(VALU_DEP_4) | instskip(NEXT) | instid1(VALU_DEP_4)
	v_add_co_u32 v30, vcc_lo, v26, s6
	v_add_co_ci_u32_e32 v31, vcc_lo, s7, v27, vcc_lo
	s_delay_alu instid0(VALU_DEP_4) | instskip(NEXT) | instid1(VALU_DEP_4)
	v_add_co_u32 v32, vcc_lo, v28, s6
	v_add_co_ci_u32_e32 v33, vcc_lo, s7, v29, vcc_lo
	s_delay_alu instid0(VALU_DEP_4) | instskip(NEXT) | instid1(VALU_DEP_4)
	v_add_co_u32 v34, vcc_lo, v30, s6
	v_add_co_ci_u32_e32 v35, vcc_lo, s7, v31, vcc_lo
	global_load_u16 v45, v[26:27], off
	global_load_u16 v46, v[28:29], off
	global_load_u16 v47, v[30:31], off
	global_load_u16 v48, v[32:33], off
	global_load_u16 v49, v[34:35], off
	v_add_co_u32 v26, vcc_lo, v32, s6
	v_add_co_ci_u32_e32 v27, vcc_lo, s7, v33, vcc_lo
	v_add_co_u32 v28, vcc_lo, v34, s6
	v_add_co_ci_u32_e32 v29, vcc_lo, s7, v35, vcc_lo
	s_delay_alu instid0(VALU_DEP_4) | instskip(NEXT) | instid1(VALU_DEP_4)
	v_add_co_u32 v30, vcc_lo, v26, s6
	v_add_co_ci_u32_e32 v31, vcc_lo, s7, v27, vcc_lo
	s_delay_alu instid0(VALU_DEP_4) | instskip(NEXT) | instid1(VALU_DEP_4)
	v_add_co_u32 v32, vcc_lo, v28, s6
	v_add_co_ci_u32_e32 v33, vcc_lo, s7, v29, vcc_lo
	s_delay_alu instid0(VALU_DEP_4) | instskip(NEXT) | instid1(VALU_DEP_4)
	v_add_co_u32 v34, vcc_lo, v30, s6
	v_add_co_ci_u32_e32 v35, vcc_lo, s7, v31, vcc_lo
	global_load_u16 v50, v[26:27], off
	global_load_u16 v51, v[28:29], off
	global_load_u16 v52, v[30:31], off
	global_load_u16 v53, v[32:33], off
	global_load_u16 v54, v[34:35], off
	v_add_co_u32 v26, vcc_lo, v32, s6
	v_add_co_ci_u32_e32 v27, vcc_lo, s7, v33, vcc_lo
	v_add_co_u32 v28, vcc_lo, v34, s6
	v_add_co_ci_u32_e32 v29, vcc_lo, s7, v35, vcc_lo
	s_delay_alu instid0(VALU_DEP_4) | instskip(NEXT) | instid1(VALU_DEP_4)
	v_add_co_u32 v30, vcc_lo, v26, s6
	v_add_co_ci_u32_e32 v31, vcc_lo, s7, v27, vcc_lo
	s_delay_alu instid0(VALU_DEP_4) | instskip(NEXT) | instid1(VALU_DEP_4)
	v_add_co_u32 v32, vcc_lo, v28, s6
	v_add_co_ci_u32_e32 v33, vcc_lo, s7, v29, vcc_lo
	s_delay_alu instid0(VALU_DEP_4) | instskip(NEXT) | instid1(VALU_DEP_4)
	v_add_co_u32 v34, vcc_lo, v30, s6
	v_add_co_ci_u32_e32 v35, vcc_lo, s7, v31, vcc_lo
	global_load_u16 v55, v[26:27], off
	global_load_u16 v56, v[28:29], off
	global_load_u16 v57, v[30:31], off
	global_load_u16 v58, v[32:33], off
	global_load_u16 v59, v[34:35], off
	v_add_co_u32 v26, vcc_lo, v32, s6
	v_add_co_ci_u32_e32 v27, vcc_lo, s7, v33, vcc_lo
	v_add_co_u32 v28, vcc_lo, v34, s6
	v_add_co_ci_u32_e32 v29, vcc_lo, s7, v35, vcc_lo
	s_delay_alu instid0(VALU_DEP_4) | instskip(NEXT) | instid1(VALU_DEP_4)
	v_add_co_u32 v30, vcc_lo, v26, s6
	v_add_co_ci_u32_e32 v31, vcc_lo, s7, v27, vcc_lo
	s_delay_alu instid0(VALU_DEP_4) | instskip(NEXT) | instid1(VALU_DEP_4)
	v_add_co_u32 v32, vcc_lo, v28, s6
	v_add_co_ci_u32_e32 v33, vcc_lo, s7, v29, vcc_lo
	s_delay_alu instid0(VALU_DEP_4) | instskip(NEXT) | instid1(VALU_DEP_4)
	v_add_co_u32 v34, vcc_lo, v30, s6
	v_add_co_ci_u32_e32 v35, vcc_lo, s7, v31, vcc_lo
	global_load_u16 v60, v[26:27], off
	global_load_u16 v61, v[28:29], off
	global_load_u16 v62, v[30:31], off
	;; [unrolled: 1-line block ×4, first 2 shown]
	v_add_co_u32 v26, vcc_lo, v32, s6
	v_add_co_ci_u32_e32 v27, vcc_lo, s7, v33, vcc_lo
	v_add_co_u32 v28, vcc_lo, v34, s6
	v_add_co_ci_u32_e32 v29, vcc_lo, s7, v35, vcc_lo
	s_delay_alu instid0(VALU_DEP_4) | instskip(NEXT) | instid1(VALU_DEP_4)
	v_add_co_u32 v30, vcc_lo, v26, s6
	v_add_co_ci_u32_e32 v31, vcc_lo, s7, v27, vcc_lo
	global_load_u16 v26, v[26:27], off
	global_load_u16 v27, v[28:29], off
	;; [unrolled: 1-line block ×3, first 2 shown]
	s_waitcnt vmcnt(32)
	ds_bpermute_b32 v29, v1, v25
	ds_bpermute_b32 v30, v9, v25
	;; [unrolled: 1-line block ×4, first 2 shown]
	v_add_co_u32 v4, vcc_lo, v4, s18
	s_add_u32 s12, s12, s16
	v_add_co_ci_u32_e32 v5, vcc_lo, s19, v5, vcc_lo
	s_addc_u32 s13, s13, 0
	v_add_co_u32 v2, vcc_lo, v2, s16
	v_add_co_ci_u32_e32 v3, vcc_lo, 0, v3, vcc_lo
	v_cmp_lt_i64_e64 s1, s[12:13], s[4:5]
	v_add_co_u32 v23, vcc_lo, v23, s20
	v_add_co_ci_u32_e32 v24, vcc_lo, s21, v24, vcc_lo
	s_delay_alu instid0(VALU_DEP_3)
	s_and_b32 vcc_lo, exec_lo, s1
	s_waitcnt vmcnt(31)
	v_cvt_f32_f16_e32 v31, v36
	s_waitcnt vmcnt(30)
	v_cvt_f32_f16_e32 v32, v37
	;; [unrolled: 2-line block ×3, first 2 shown]
	s_delay_alu instid0(VALU_DEP_2) | instskip(SKIP_3) | instid1(VALU_DEP_1)
	v_mul_f32_e32 v31, v31, v32
	s_waitcnt vmcnt(28)
	v_cvt_f32_f16_e32 v32, v39
	s_waitcnt lgkmcnt(3)
	v_dual_fmac_f32 v0, v31, v29 :: v_dual_mul_f32 v29, v34, v32
	ds_bpermute_b32 v32, v8, v25
	s_waitcnt lgkmcnt(3)
	v_fmac_f32_e32 v0, v29, v30
	s_waitcnt vmcnt(27)
	v_cvt_f32_f16_e32 v36, v40
	s_waitcnt vmcnt(26)
	v_cvt_f32_f16_e32 v31, v41
	;; [unrolled: 2-line block ×6, first 2 shown]
	v_mul_f32_e32 v29, v36, v31
	ds_bpermute_b32 v31, v12, v25
	v_cvt_f32_f16_e32 v36, v44
	s_waitcnt vmcnt(1)
	v_cvt_f32_f16_e32 v27, v27
	s_waitcnt vmcnt(0)
	v_cvt_f32_f16_e32 v28, v28
	s_waitcnt lgkmcnt(3)
	v_dual_fmac_f32 v0, v29, v33 :: v_dual_mul_f32 v29, v34, v30
	v_cvt_f32_f16_e32 v30, v45
	ds_bpermute_b32 v33, v13, v25
	v_cvt_f32_f16_e32 v34, v46
	s_waitcnt lgkmcnt(3)
	v_dual_fmac_f32 v0, v29, v35 :: v_dual_mul_f32 v29, v36, v30
	v_cvt_f32_f16_e32 v30, v47
	ds_bpermute_b32 v35, v14, v25
	;; [unrolled: 5-line block ×7, first 2 shown]
	ds_bpermute_b32 v34, v20, v25
	s_waitcnt lgkmcnt(4)
	v_dual_fmac_f32 v0, v29, v31 :: v_dual_mul_f32 v29, v36, v30
	v_cvt_f32_f16_e32 v30, v59
	ds_bpermute_b32 v31, v21, v25
	v_cvt_f32_f16_e32 v36, v60
	ds_bpermute_b32 v25, v22, v25
	s_waitcnt lgkmcnt(5)
	v_fmac_f32_e32 v0, v29, v33
	v_mul_f32_e32 v29, v37, v30
	v_cvt_f32_f16_e32 v30, v61
	v_cvt_f32_f16_e32 v33, v62
	;; [unrolled: 1-line block ×3, first 2 shown]
	s_waitcnt lgkmcnt(4)
	s_delay_alu instid0(VALU_DEP_3) | instskip(SKIP_2) | instid1(VALU_DEP_2)
	v_dual_fmac_f32 v0, v29, v35 :: v_dual_mul_f32 v29, v36, v30
	v_cvt_f32_f16_e32 v30, v64
	s_waitcnt lgkmcnt(3)
	v_fmac_f32_e32 v0, v29, v32
	s_delay_alu instid0(VALU_DEP_2) | instskip(SKIP_1) | instid1(VALU_DEP_1)
	v_dual_mul_f32 v29, v33, v37 :: v_dual_mul_f32 v26, v30, v26
	s_waitcnt lgkmcnt(2)
	v_fmac_f32_e32 v0, v29, v34
	s_waitcnt lgkmcnt(1)
	s_delay_alu instid0(VALU_DEP_1) | instskip(SKIP_2) | instid1(VALU_DEP_1)
	v_fmac_f32_e32 v0, v26, v31
	v_mul_f32_e32 v26, v27, v28
	s_waitcnt lgkmcnt(0)
	v_fmac_f32_e32 v0, v26, v25
	s_cbranch_vccz .LBB173_10
.LBB173_7:                              ; =>This Inner Loop Header: Depth=1
	v_mov_b32_e32 v25, 0
	s_and_saveexec_b32 s1, s0
	s_cbranch_execz .LBB173_6
; %bb.8:                                ;   in Loop: Header=BB173_7 Depth=1
	v_mov_b32_e32 v25, 0
	s_mov_b32 s15, exec_lo
	v_cmpx_gt_i64_e64 s[4:5], v[2:3]
	s_cbranch_execz .LBB173_5
; %bb.9:                                ;   in Loop: Header=BB173_7 Depth=1
	global_load_b32 v25, v[4:5], off
	s_branch .LBB173_5
.LBB173_10:
	v_mov_b32_e32 v1, v7
.LBB173_11:
	s_delay_alu instid0(VALU_DEP_1) | instskip(SKIP_3) | instid1(VALU_DEP_2)
	v_mad_u32_u24 v2, 0x41, v1, v6
	v_mov_b32_e32 v3, 0
	s_mov_b32 s15, 0
	s_mov_b32 s0, exec_lo
	v_sub_nc_u32_e32 v1, v2, v1
	v_lshl_add_u32 v2, v2, 2, 0
	ds_store_b32 v2, v0
	ds_store_b32 v2, v3 offset:4160
	s_waitcnt lgkmcnt(0)
	s_barrier
	buffer_gl0_inv
	v_cmpx_gt_u32_e32 0x800, v1
	s_cbranch_execz .LBB173_18
; %bb.12:
	v_mbcnt_lo_u32_b32 v2, -1, 0
	v_cmp_eq_u32_e64 s0, 0, v6
	s_cmp_lg_u64 s[2:3], 0
	v_and_b32_e32 v0, 31, v6
	s_cselect_b32 s1, -1, 0
	v_xor_b32_e32 v3, 8, v2
	s_and_b32 s1, s0, s1
	v_xor_b32_e32 v4, 4, v2
	v_xor_b32_e32 v5, 2, v2
	;; [unrolled: 1-line block ×3, first 2 shown]
	v_cmp_gt_i32_e64 s0, 32, v3
	v_lshrrev_b32_e32 v1, 5, v1
	v_cmp_gt_u32_e32 vcc_lo, 16, v0
	v_mul_u32_u24_e32 v0, 0x104, v0
	s_lshl_b64 s[4:5], s[14:15], 7
	v_cndmask_b32_e64 v3, v2, v3, s0
	v_cmp_gt_i32_e64 s0, 32, v4
	v_lshlrev_b32_e32 v7, 2, v1
                                        ; implicit-def: $vgpr8
	s_delay_alu instid0(VALU_DEP_2) | instskip(SKIP_1) | instid1(VALU_DEP_1)
	v_cndmask_b32_e64 v4, v2, v4, s0
	v_cmp_gt_i32_e64 s0, 32, v5
	v_cndmask_b32_e64 v5, v2, v5, s0
	v_cmp_gt_i32_e64 s0, 32, v6
	s_delay_alu instid0(VALU_DEP_1)
	v_cndmask_b32_e64 v6, v2, v6, s0
	v_lshlrev_b32_e32 v2, 2, v3
	v_lshlrev_b32_e32 v3, 2, v4
	v_lshlrev_b32_e32 v4, 2, v5
	s_add_u32 s0, s2, s4
	v_lshlrev_b32_e32 v5, 2, v6
	v_add3_u32 v6, v0, v7, 0
	v_lshlrev_b32_e32 v0, 1, v1
	s_addc_u32 s2, s3, s5
	v_subrev_nc_u32_e32 v7, 32, v1
	s_delay_alu instid0(VALU_DEP_2) | instskip(NEXT) | instid1(VALU_DEP_1)
	v_add_co_u32 v0, s0, s0, v0
	v_add_co_ci_u32_e64 v1, null, s2, 0, s0
	s_set_inst_prefetch_distance 0x1
	s_branch .LBB173_14
	.p2align	6
.LBB173_13:                             ;   in Loop: Header=BB173_14 Depth=1
	s_or_b32 exec_lo, exec_lo, s0
	v_add_co_u32 v7, s0, v7, 32
	s_delay_alu instid0(VALU_DEP_1) | instskip(SKIP_4) | instid1(SALU_CYCLE_1)
	s_xor_b32 s2, s0, -1
	v_add_co_u32 v0, s0, v0, 64
	v_add_nc_u32_e32 v6, 0x80, v6
	v_add_co_ci_u32_e64 v1, s0, 0, v1, s0
	s_and_b32 s0, exec_lo, s2
	s_or_b32 s15, s0, s15
	s_delay_alu instid0(SALU_CYCLE_1)
	s_and_not1_b32 exec_lo, exec_lo, s15
	s_cbranch_execz .LBB173_18
.LBB173_14:                             ; =>This Inner Loop Header: Depth=1
	s_and_saveexec_b32 s0, vcc_lo
	s_cbranch_execz .LBB173_16
; %bb.15:                               ;   in Loop: Header=BB173_14 Depth=1
	ds_load_b32 v8, v6
.LBB173_16:                             ;   in Loop: Header=BB173_14 Depth=1
	s_or_b32 exec_lo, exec_lo, s0
	s_waitcnt lgkmcnt(0)
	ds_bpermute_b32 v9, v2, v8
	s_waitcnt lgkmcnt(0)
	v_add_f32_e32 v8, v8, v9
	ds_bpermute_b32 v9, v3, v8
	s_waitcnt lgkmcnt(0)
	v_add_f32_e32 v8, v8, v9
	;; [unrolled: 3-line block ×4, first 2 shown]
	s_and_saveexec_b32 s0, s1
	s_cbranch_execz .LBB173_13
; %bb.17:                               ;   in Loop: Header=BB173_14 Depth=1
	s_delay_alu instid0(VALU_DEP_1)
	v_cvt_f16_f32_e32 v9, v8
	global_store_b16 v[0:1], v9, off
	s_branch .LBB173_13
.LBB173_18:
	s_set_inst_prefetch_distance 0x2
	s_nop 0
	s_sendmsg sendmsg(MSG_DEALLOC_VGPRS)
	s_endpgm
	.section	.rodata,"a",@progbits
	.p2align	6, 0x0
	.amdhsa_kernel _ZN2at6native12_GLOBAL__N_135GammaBetaBackwardCUDAKernelTemplateIN3c104HalfEfLj64ELj16ELj256ELb0ELb1ELb1EEEvllPKT_S7_PKT0_SA_PS5_SB_
		.amdhsa_group_segment_fixed_size 0
		.amdhsa_private_segment_fixed_size 0
		.amdhsa_kernarg_size 320
		.amdhsa_user_sgpr_count 14
		.amdhsa_user_sgpr_dispatch_ptr 0
		.amdhsa_user_sgpr_queue_ptr 0
		.amdhsa_user_sgpr_kernarg_segment_ptr 1
		.amdhsa_user_sgpr_dispatch_id 0
		.amdhsa_user_sgpr_private_segment_size 0
		.amdhsa_wavefront_size32 1
		.amdhsa_uses_dynamic_stack 0
		.amdhsa_enable_private_segment 0
		.amdhsa_system_sgpr_workgroup_id_x 1
		.amdhsa_system_sgpr_workgroup_id_y 1
		.amdhsa_system_sgpr_workgroup_id_z 0
		.amdhsa_system_sgpr_workgroup_info 0
		.amdhsa_system_vgpr_workitem_id 1
		.amdhsa_next_free_vgpr 65
		.amdhsa_next_free_sgpr 22
		.amdhsa_reserve_vcc 1
		.amdhsa_float_round_mode_32 0
		.amdhsa_float_round_mode_16_64 0
		.amdhsa_float_denorm_mode_32 3
		.amdhsa_float_denorm_mode_16_64 3
		.amdhsa_dx10_clamp 1
		.amdhsa_ieee_mode 1
		.amdhsa_fp16_overflow 0
		.amdhsa_workgroup_processor_mode 1
		.amdhsa_memory_ordered 1
		.amdhsa_forward_progress 0
		.amdhsa_shared_vgpr_count 0
		.amdhsa_exception_fp_ieee_invalid_op 0
		.amdhsa_exception_fp_denorm_src 0
		.amdhsa_exception_fp_ieee_div_zero 0
		.amdhsa_exception_fp_ieee_overflow 0
		.amdhsa_exception_fp_ieee_underflow 0
		.amdhsa_exception_fp_ieee_inexact 0
		.amdhsa_exception_int_div_zero 0
	.end_amdhsa_kernel
	.section	.text._ZN2at6native12_GLOBAL__N_135GammaBetaBackwardCUDAKernelTemplateIN3c104HalfEfLj64ELj16ELj256ELb0ELb1ELb1EEEvllPKT_S7_PKT0_SA_PS5_SB_,"axG",@progbits,_ZN2at6native12_GLOBAL__N_135GammaBetaBackwardCUDAKernelTemplateIN3c104HalfEfLj64ELj16ELj256ELb0ELb1ELb1EEEvllPKT_S7_PKT0_SA_PS5_SB_,comdat
.Lfunc_end173:
	.size	_ZN2at6native12_GLOBAL__N_135GammaBetaBackwardCUDAKernelTemplateIN3c104HalfEfLj64ELj16ELj256ELb0ELb1ELb1EEEvllPKT_S7_PKT0_SA_PS5_SB_, .Lfunc_end173-_ZN2at6native12_GLOBAL__N_135GammaBetaBackwardCUDAKernelTemplateIN3c104HalfEfLj64ELj16ELj256ELb0ELb1ELb1EEEvllPKT_S7_PKT0_SA_PS5_SB_
                                        ; -- End function
	.section	.AMDGPU.csdata,"",@progbits
; Kernel info:
; codeLenInByte = 2264
; NumSgprs: 24
; NumVgprs: 65
; ScratchSize: 0
; MemoryBound: 0
; FloatMode: 240
; IeeeMode: 1
; LDSByteSize: 0 bytes/workgroup (compile time only)
; SGPRBlocks: 2
; VGPRBlocks: 8
; NumSGPRsForWavesPerEU: 24
; NumVGPRsForWavesPerEU: 65
; Occupancy: 16
; WaveLimiterHint : 0
; COMPUTE_PGM_RSRC2:SCRATCH_EN: 0
; COMPUTE_PGM_RSRC2:USER_SGPR: 14
; COMPUTE_PGM_RSRC2:TRAP_HANDLER: 0
; COMPUTE_PGM_RSRC2:TGID_X_EN: 1
; COMPUTE_PGM_RSRC2:TGID_Y_EN: 1
; COMPUTE_PGM_RSRC2:TGID_Z_EN: 0
; COMPUTE_PGM_RSRC2:TIDIG_COMP_CNT: 1
	.section	.text._ZN2at6native12_GLOBAL__N_135GammaBetaBackwardCUDAKernelTemplateIN3c104HalfEfLj64ELj16ELj256ELb0ELb0ELb1EEEvllPKT_S7_PKT0_SA_PS5_SB_,"axG",@progbits,_ZN2at6native12_GLOBAL__N_135GammaBetaBackwardCUDAKernelTemplateIN3c104HalfEfLj64ELj16ELj256ELb0ELb0ELb1EEEvllPKT_S7_PKT0_SA_PS5_SB_,comdat
	.globl	_ZN2at6native12_GLOBAL__N_135GammaBetaBackwardCUDAKernelTemplateIN3c104HalfEfLj64ELj16ELj256ELb0ELb0ELb1EEEvllPKT_S7_PKT0_SA_PS5_SB_ ; -- Begin function _ZN2at6native12_GLOBAL__N_135GammaBetaBackwardCUDAKernelTemplateIN3c104HalfEfLj64ELj16ELj256ELb0ELb0ELb1EEEvllPKT_S7_PKT0_SA_PS5_SB_
	.p2align	8
	.type	_ZN2at6native12_GLOBAL__N_135GammaBetaBackwardCUDAKernelTemplateIN3c104HalfEfLj64ELj16ELj256ELb0ELb0ELb1EEEvllPKT_S7_PKT0_SA_PS5_SB_,@function
_ZN2at6native12_GLOBAL__N_135GammaBetaBackwardCUDAKernelTemplateIN3c104HalfEfLj64ELj16ELj256ELb0ELb0ELb1EEEvllPKT_S7_PKT0_SA_PS5_SB_: ; @_ZN2at6native12_GLOBAL__N_135GammaBetaBackwardCUDAKernelTemplateIN3c104HalfEfLj64ELj16ELj256ELb0ELb0ELb1EEEvllPKT_S7_PKT0_SA_PS5_SB_
; %bb.0:
	s_clause 0x1
	s_load_b256 s[4:11], s[0:1], 0x0
	s_load_b64 s[12:13], s[0:1], 0x28
	s_lshl_b32 s33, s14, 6
	s_mov_b32 s35, 0
	s_or_b32 s34, s33, 63
	s_waitcnt lgkmcnt(0)
	v_cmp_ge_i64_e64 s2, s[34:35], s[6:7]
	s_lshl_b32 s34, s15, 8
	s_delay_alu instid0(SALU_CYCLE_1) | instskip(NEXT) | instid1(VALU_DEP_2)
	v_cmp_lt_i64_e64 s15, s[34:35], s[4:5]
	s_and_b32 vcc_lo, exec_lo, s2
	s_delay_alu instid0(VALU_DEP_1) | instskip(NEXT) | instid1(VALU_DEP_1)
	v_cndmask_b32_e64 v1, 0, 1, s15
	v_cmp_ne_u32_e64 s2, 1, v1
	s_cbranch_vccz .LBB174_81
; %bb.1:
	v_mov_b32_e32 v1, 0
	s_delay_alu instid0(VALU_DEP_2)
	s_and_b32 vcc_lo, exec_lo, s2
	s_cbranch_vccnz .LBB174_82
; %bb.2:
	v_bfe_u32 v51, v0, 10, 10
	v_and_b32_e32 v53, 0x3ff, v0
	s_load_b32 s3, s[0:1], 0x44
	s_add_u32 s36, s0, 64
	s_addc_u32 s37, s1, 0
	v_lshlrev_b32_e32 v52, 4, v51
	s_mov_b32 s16, 0
	s_mov_b64 s[42:43], s[34:35]
	v_mov_b32_e32 v118, 0
	s_delay_alu instid0(VALU_DEP_2) | instskip(NEXT) | instid1(VALU_DEP_1)
	v_add_co_u32 v9, s2, v52, s34
	v_add_co_ci_u32_e64 v10, null, 0, 0, s2
	s_delay_alu instid0(VALU_DEP_2) | instskip(NEXT) | instid1(VALU_DEP_2)
	v_add_co_u32 v1, vcc_lo, v9, 15
	v_add_co_ci_u32_e32 v2, vcc_lo, 0, v10, vcc_lo
	v_add_co_u32 v7, vcc_lo, v9, 14
	s_delay_alu instid0(VALU_DEP_3) | instskip(NEXT) | instid1(VALU_DEP_3)
	v_mul_lo_u32 v5, s7, v1
	v_mul_lo_u32 v6, s6, v2
	v_mov_b32_e32 v2, 0
	v_mad_u64_u32 v[3:4], null, s6, v1, 0
	v_add_nc_u32_e32 v1, s33, v53
	s_waitcnt lgkmcnt(0)
	s_lshl_b32 s44, s3, 8
	s_delay_alu instid0(SALU_CYCLE_1) | instskip(SKIP_2) | instid1(VALU_DEP_3)
	s_mul_i32 s3, s7, s44
	s_mul_hi_u32 s17, s6, s44
	v_cmp_gt_i64_e64 s2, s[6:7], v[1:2]
	v_add3_u32 v4, v4, v6, v5
	v_add_co_ci_u32_e32 v5, vcc_lo, 0, v10, vcc_lo
	v_lshlrev_b64 v[49:50], 1, v[1:2]
	v_mul_lo_u32 v1, s7, v7
	s_delay_alu instid0(VALU_DEP_4) | instskip(NEXT) | instid1(VALU_DEP_4)
	v_lshlrev_b64 v[3:4], 1, v[3:4]
	v_mul_lo_u32 v11, s6, v5
	v_mad_u64_u32 v[5:6], null, s6, v7, 0
	s_add_i32 s19, s17, s3
	s_mul_i32 s18, s6, s44
	s_delay_alu instid0(VALU_DEP_3) | instskip(SKIP_4) | instid1(VALU_DEP_3)
	v_add_co_u32 v54, vcc_lo, s8, v3
	v_add_co_ci_u32_e32 v55, vcc_lo, s9, v4, vcc_lo
	v_add_co_u32 v12, vcc_lo, v9, 13
	v_add_co_ci_u32_e32 v8, vcc_lo, 0, v10, vcc_lo
	v_add3_u32 v6, v6, v11, v1
	v_mul_lo_u32 v13, s7, v12
	v_add_co_u32 v56, vcc_lo, s10, v3
	s_delay_alu instid0(VALU_DEP_4)
	v_mul_lo_u32 v14, s6, v8
	v_mad_u64_u32 v[7:8], null, s6, v12, 0
	v_add_co_ci_u32_e32 v57, vcc_lo, s11, v4, vcc_lo
	v_lshlrev_b64 v[3:4], 1, v[5:6]
	v_add_co_u32 v1, vcc_lo, v9, 12
	v_add_co_ci_u32_e32 v11, vcc_lo, 0, v10, vcc_lo
	v_add3_u32 v8, v8, v14, v13
	s_delay_alu instid0(VALU_DEP_4) | instskip(SKIP_1) | instid1(VALU_DEP_3)
	v_add_co_u32 v58, vcc_lo, s8, v3
	v_add_co_ci_u32_e32 v59, vcc_lo, s9, v4, vcc_lo
	v_lshlrev_b64 v[5:6], 1, v[7:8]
	v_add_co_u32 v60, vcc_lo, s10, v3
	v_mul_lo_u32 v12, s7, v1
	v_mul_lo_u32 v11, s6, v11
	v_mad_u64_u32 v[7:8], null, s6, v1, 0
	v_add_co_ci_u32_e32 v61, vcc_lo, s11, v4, vcc_lo
	v_add_co_u32 v62, vcc_lo, s8, v5
	v_add_co_ci_u32_e32 v63, vcc_lo, s9, v6, vcc_lo
	v_add_co_u32 v1, vcc_lo, v9, 11
	v_add_co_u32 v64, s3, s10, v5
	v_add_co_ci_u32_e32 v5, vcc_lo, 0, v10, vcc_lo
	v_add3_u32 v8, v8, v11, v12
	v_add_co_u32 v12, vcc_lo, v9, 10
	v_add_co_ci_u32_e64 v65, s3, s11, v6, s3
	v_mul_lo_u32 v11, s7, v1
	v_mul_lo_u32 v13, s6, v5
	v_mad_u64_u32 v[5:6], null, s6, v1, 0
	v_lshlrev_b64 v[3:4], 1, v[7:8]
	v_add_co_ci_u32_e32 v7, vcc_lo, 0, v10, vcc_lo
	v_mul_lo_u32 v1, s7, v12
	s_lshl_b64 s[38:39], s[18:19], 1
	s_add_u32 s40, s34, 0xff
	s_delay_alu instid0(VALU_DEP_2)
	v_mul_lo_u32 v14, s6, v7
	v_mad_u64_u32 v[7:8], null, s6, v12, 0
	v_add_co_u32 v66, vcc_lo, s8, v3
	v_add3_u32 v6, v6, v13, v11
	v_add_co_ci_u32_e32 v67, vcc_lo, s9, v4, vcc_lo
	v_add_co_u32 v68, vcc_lo, s10, v3
	v_add_co_ci_u32_e32 v69, vcc_lo, s11, v4, vcc_lo
	s_delay_alu instid0(VALU_DEP_4) | instskip(SKIP_3) | instid1(VALU_DEP_4)
	v_lshlrev_b64 v[3:4], 1, v[5:6]
	v_add3_u32 v8, v8, v14, v1
	v_add_co_u32 v1, vcc_lo, v9, 9
	v_add_co_ci_u32_e32 v11, vcc_lo, 0, v10, vcc_lo
	v_add_co_u32 v70, vcc_lo, s8, v3
	s_delay_alu instid0(VALU_DEP_4)
	v_lshlrev_b64 v[5:6], 1, v[7:8]
	v_add_co_ci_u32_e32 v71, vcc_lo, s9, v4, vcc_lo
	v_add_co_u32 v72, vcc_lo, s10, v3
	v_mul_lo_u32 v12, s7, v1
	v_mul_lo_u32 v11, s6, v11
	v_mad_u64_u32 v[7:8], null, s6, v1, 0
	v_add_co_ci_u32_e32 v73, vcc_lo, s11, v4, vcc_lo
	v_add_co_u32 v74, vcc_lo, s8, v5
	v_add_co_ci_u32_e32 v75, vcc_lo, s9, v6, vcc_lo
	v_add_co_u32 v1, vcc_lo, v9, 8
	v_add_co_u32 v76, s3, s10, v5
	v_add_co_ci_u32_e32 v5, vcc_lo, 0, v10, vcc_lo
	v_add3_u32 v8, v8, v11, v12
	v_add_co_u32 v12, vcc_lo, v9, 7
	v_add_co_ci_u32_e64 v77, s3, s11, v6, s3
	v_mul_lo_u32 v11, s7, v1
	v_mul_lo_u32 v13, s6, v5
	v_mad_u64_u32 v[5:6], null, s6, v1, 0
	v_lshlrev_b64 v[3:4], 1, v[7:8]
	v_add_co_ci_u32_e32 v7, vcc_lo, 0, v10, vcc_lo
	v_mul_lo_u32 v1, s7, v12
	s_addc_u32 s41, 0, 0
	s_delay_alu instid0(VALU_DEP_2)
	v_mul_lo_u32 v14, s6, v7
	v_mad_u64_u32 v[7:8], null, s6, v12, 0
	v_add_co_u32 v78, vcc_lo, s8, v3
	v_add3_u32 v6, v6, v13, v11
	v_add_co_ci_u32_e32 v79, vcc_lo, s9, v4, vcc_lo
	v_add_co_u32 v80, vcc_lo, s10, v3
	v_add_co_ci_u32_e32 v81, vcc_lo, s11, v4, vcc_lo
	s_delay_alu instid0(VALU_DEP_4) | instskip(SKIP_3) | instid1(VALU_DEP_4)
	v_lshlrev_b64 v[3:4], 1, v[5:6]
	v_add3_u32 v8, v8, v14, v1
	v_add_co_u32 v1, vcc_lo, v9, 6
	v_add_co_ci_u32_e32 v11, vcc_lo, 0, v10, vcc_lo
	v_add_co_u32 v82, vcc_lo, s8, v3
	s_delay_alu instid0(VALU_DEP_4)
	v_lshlrev_b64 v[5:6], 1, v[7:8]
	v_add_co_ci_u32_e32 v83, vcc_lo, s9, v4, vcc_lo
	v_add_co_u32 v84, vcc_lo, s10, v3
	v_mul_lo_u32 v12, s7, v1
	v_mul_lo_u32 v11, s6, v11
	v_mad_u64_u32 v[7:8], null, s6, v1, 0
	v_add_co_ci_u32_e32 v85, vcc_lo, s11, v4, vcc_lo
	v_add_co_u32 v86, vcc_lo, s8, v5
	v_add_co_ci_u32_e32 v87, vcc_lo, s9, v6, vcc_lo
	v_add_co_u32 v1, vcc_lo, v9, 5
	v_add_co_u32 v88, s3, s10, v5
	v_add_co_ci_u32_e32 v5, vcc_lo, 0, v10, vcc_lo
	v_add3_u32 v8, v8, v11, v12
	v_add_co_u32 v12, vcc_lo, v9, 4
	v_add_co_ci_u32_e64 v89, s3, s11, v6, s3
	v_mul_lo_u32 v11, s7, v1
	v_mul_lo_u32 v13, s6, v5
	v_mad_u64_u32 v[5:6], null, s6, v1, 0
	v_lshlrev_b64 v[3:4], 1, v[7:8]
	v_add_co_ci_u32_e32 v7, vcc_lo, 0, v10, vcc_lo
	v_mul_lo_u32 v1, s7, v12
	s_delay_alu instid0(VALU_DEP_2)
	v_mul_lo_u32 v14, s6, v7
	v_mad_u64_u32 v[7:8], null, s6, v12, 0
	v_add_co_u32 v90, vcc_lo, s8, v3
	v_add3_u32 v6, v6, v13, v11
	v_add_co_ci_u32_e32 v91, vcc_lo, s9, v4, vcc_lo
	v_add_co_u32 v92, vcc_lo, s10, v3
	v_add_co_ci_u32_e32 v93, vcc_lo, s11, v4, vcc_lo
	s_delay_alu instid0(VALU_DEP_4) | instskip(SKIP_3) | instid1(VALU_DEP_4)
	v_lshlrev_b64 v[3:4], 1, v[5:6]
	v_add3_u32 v8, v8, v14, v1
	v_add_co_u32 v1, vcc_lo, v9, 3
	v_add_co_ci_u32_e32 v11, vcc_lo, 0, v10, vcc_lo
	v_add_co_u32 v94, vcc_lo, s8, v3
	s_delay_alu instid0(VALU_DEP_4)
	v_lshlrev_b64 v[5:6], 1, v[7:8]
	v_add_co_ci_u32_e32 v95, vcc_lo, s9, v4, vcc_lo
	v_mul_lo_u32 v12, s7, v1
	v_mul_lo_u32 v11, s6, v11
	v_mad_u64_u32 v[7:8], null, s6, v1, 0
	v_add_co_u32 v96, vcc_lo, s10, v3
	v_add_co_ci_u32_e32 v97, vcc_lo, s11, v4, vcc_lo
	v_add_co_u32 v98, vcc_lo, s8, v5
	v_add_co_ci_u32_e32 v99, vcc_lo, s9, v6, vcc_lo
	v_add_co_u32 v1, vcc_lo, v9, 2
	v_add3_u32 v8, v8, v11, v12
	v_add_co_ci_u32_e32 v11, vcc_lo, 0, v10, vcc_lo
	v_add_co_u32 v100, vcc_lo, s10, v5
	v_add_co_ci_u32_e32 v101, vcc_lo, s11, v6, vcc_lo
	v_mul_lo_u32 v12, s7, v1
	s_delay_alu instid0(VALU_DEP_4)
	v_mul_lo_u32 v11, s6, v11
	v_mad_u64_u32 v[5:6], null, s6, v1, 0
	v_lshlrev_b64 v[3:4], 1, v[7:8]
	v_mul_lo_u32 v1, s7, v9
	v_mul_lo_u32 v10, s6, v10
	v_mad_u64_u32 v[7:8], null, s6, v9, 0
	s_delay_alu instid0(VALU_DEP_4)
	v_add_co_u32 v102, vcc_lo, s8, v3
	v_add3_u32 v6, v6, v11, v12
	v_add_co_ci_u32_e32 v103, vcc_lo, s9, v4, vcc_lo
	v_add_co_u32 v104, vcc_lo, s10, v3
	v_add3_u32 v8, v8, v10, v1
	v_add_co_ci_u32_e32 v105, vcc_lo, s11, v4, vcc_lo
	v_lshlrev_b64 v[3:4], 1, v[5:6]
	v_add_co_u32 v5, vcc_lo, v7, s6
	s_delay_alu instid0(VALU_DEP_4) | instskip(NEXT) | instid1(VALU_DEP_3)
	v_add_co_ci_u32_e32 v6, vcc_lo, s7, v8, vcc_lo
	v_add_co_u32 v106, vcc_lo, s8, v3
	s_delay_alu instid0(VALU_DEP_2) | instskip(SKIP_3) | instid1(VALU_DEP_4)
	v_lshlrev_b64 v[5:6], 1, v[5:6]
	v_add_co_ci_u32_e32 v107, vcc_lo, s9, v4, vcc_lo
	v_add_co_u32 v108, vcc_lo, s10, v3
	v_add_co_ci_u32_e32 v109, vcc_lo, s11, v4, vcc_lo
	v_add_co_u32 v110, vcc_lo, s8, v5
	v_lshlrev_b64 v[3:4], 1, v[7:8]
	v_add_co_ci_u32_e32 v111, vcc_lo, s9, v6, vcc_lo
	v_add_co_u32 v112, vcc_lo, s10, v5
	v_add_co_ci_u32_e32 v113, vcc_lo, s11, v6, vcc_lo
	s_delay_alu instid0(VALU_DEP_4)
	v_add_co_u32 v114, vcc_lo, s8, v3
	v_add_co_ci_u32_e32 v115, vcc_lo, s9, v4, vcc_lo
	v_add_co_u32 v116, vcc_lo, s10, v3
	v_add_co_ci_u32_e32 v117, vcc_lo, s11, v4, vcc_lo
.LBB174_3:                              ; =>This Inner Loop Header: Depth=1
	v_cmp_ge_i64_e64 s3, s[40:41], s[4:5]
	v_add_co_u32 v119, s17, v52, s40
	s_delay_alu instid0(VALU_DEP_1) | instskip(NEXT) | instid1(VALU_DEP_3)
	v_add_co_ci_u32_e64 v120, null, 0, s41, s17
	s_and_b32 vcc_lo, exec_lo, s3
	s_cbranch_vccz .LBB174_41
; %bb.4:                                ;   in Loop: Header=BB174_3 Depth=1
	s_load_b32 s3, s[36:37], 0xc
	v_mov_b32_e32 v121, 0
	s_waitcnt lgkmcnt(0)
	s_and_b32 s3, s3, 0xffff
	s_delay_alu instid0(SALU_CYCLE_1) | instskip(SKIP_1) | instid1(VALU_DEP_1)
	v_mad_u32_u24 v1, v51, s3, v53
	s_mov_b32 s3, exec_lo
	v_and_b32_e32 v1, 31, v1
	s_delay_alu instid0(VALU_DEP_1)
	v_cmpx_gt_u32_e32 16, v1
	s_cbranch_execz .LBB174_8
; %bb.5:                                ;   in Loop: Header=BB174_3 Depth=1
	v_add_co_u32 v1, vcc_lo, v119, v1
	v_add_co_ci_u32_e32 v4, vcc_lo, 0, v120, vcc_lo
	v_mov_b32_e32 v121, 0
	s_delay_alu instid0(VALU_DEP_3) | instskip(NEXT) | instid1(VALU_DEP_3)
	v_add_co_u32 v3, vcc_lo, 0xffffff01, v1
	v_add_co_ci_u32_e32 v4, vcc_lo, -1, v4, vcc_lo
	s_mov_b32 s17, exec_lo
	s_delay_alu instid0(VALU_DEP_1)
	v_cmpx_gt_i64_e64 s[4:5], v[3:4]
	s_cbranch_execz .LBB174_7
; %bb.6:                                ;   in Loop: Header=BB174_3 Depth=1
	v_lshlrev_b64 v[3:4], 2, v[3:4]
	s_delay_alu instid0(VALU_DEP_1) | instskip(NEXT) | instid1(VALU_DEP_2)
	v_add_co_u32 v3, vcc_lo, s12, v3
	v_add_co_ci_u32_e32 v4, vcc_lo, s13, v4, vcc_lo
	global_load_b32 v121, v[3:4], off
.LBB174_7:                              ;   in Loop: Header=BB174_3 Depth=1
	s_or_b32 exec_lo, exec_lo, s17
.LBB174_8:                              ;   in Loop: Header=BB174_3 Depth=1
	s_delay_alu instid0(SALU_CYCLE_1)
	s_or_b32 exec_lo, exec_lo, s3
	v_add_co_u32 v3, vcc_lo, 0xffffff01, v119
	s_mov_b32 s31, s16
	v_add_co_ci_u32_e32 v4, vcc_lo, -1, v120, vcc_lo
	s_mov_b32 s17, s16
	s_mov_b32 s18, s16
	;; [unrolled: 1-line block ×14, first 2 shown]
	s_delay_alu instid0(SALU_CYCLE_1)
	v_dual_mov_b32 v32, s31 :: v_dual_mov_b32 v31, s30
	v_dual_mov_b32 v30, s29 :: v_dual_mov_b32 v29, s28
	;; [unrolled: 1-line block ×8, first 2 shown]
	v_cmp_gt_i64_e32 vcc_lo, s[4:5], v[3:4]
	v_dual_mov_b32 v48, v32 :: v_dual_mov_b32 v47, v31
	v_dual_mov_b32 v46, v30 :: v_dual_mov_b32 v45, v29
	;; [unrolled: 1-line block ×8, first 2 shown]
	s_and_b32 s17, s2, vcc_lo
	s_delay_alu instid0(SALU_CYCLE_1)
	s_and_saveexec_b32 s3, s17
	s_cbranch_execz .LBB174_10
; %bb.9:                                ;   in Loop: Header=BB174_3 Depth=1
	v_add_co_u32 v3, vcc_lo, v114, v49
	v_add_co_ci_u32_e32 v4, vcc_lo, v115, v50, vcc_lo
	v_add_co_u32 v5, vcc_lo, v116, v49
	v_add_co_ci_u32_e32 v6, vcc_lo, v117, v50, vcc_lo
	v_mov_b32_e32 v16, v2
	global_load_u16 v1, v[3:4], off
	global_load_u16 v17, v[5:6], off
	v_mov_b32_e32 v3, v2
	v_mov_b32_e32 v4, v2
	;; [unrolled: 1-line block ×17, first 2 shown]
	s_waitcnt vmcnt(1)
	v_cvt_f32_f16_e32 v1, v1
	v_dual_mov_b32 v19, v2 :: v_dual_mov_b32 v48, v16
	v_dual_mov_b32 v18, v2 :: v_dual_mov_b32 v47, v15
	;; [unrolled: 1-line block ×9, first 2 shown]
	s_waitcnt vmcnt(0)
	v_cvt_f32_f16_e32 v17, v17
	v_dual_mov_b32 v28, v2 :: v_dual_mov_b32 v37, v5
	v_dual_mov_b32 v30, v2 :: v_dual_mov_b32 v35, v3
	;; [unrolled: 1-line block ×3, first 2 shown]
	v_mov_b32_e32 v42, v10
	v_mov_b32_e32 v38, v6
	;; [unrolled: 1-line block ×3, first 2 shown]
.LBB174_10:                             ;   in Loop: Header=BB174_3 Depth=1
	s_or_b32 exec_lo, exec_lo, s3
	v_add_co_u32 v3, vcc_lo, 0xffffff02, v119
	v_add_co_ci_u32_e32 v4, vcc_lo, -1, v120, vcc_lo
	s_delay_alu instid0(VALU_DEP_1) | instskip(SKIP_1) | instid1(SALU_CYCLE_1)
	v_cmp_gt_i64_e32 vcc_lo, s[4:5], v[3:4]
	s_and_b32 s17, s2, vcc_lo
	s_and_saveexec_b32 s3, s17
	s_cbranch_execz .LBB174_12
; %bb.11:                               ;   in Loop: Header=BB174_3 Depth=1
	v_add_co_u32 v3, vcc_lo, v110, v49
	v_add_co_ci_u32_e32 v4, vcc_lo, v111, v50, vcc_lo
	v_add_co_u32 v5, vcc_lo, v112, v49
	v_add_co_ci_u32_e32 v6, vcc_lo, v113, v50, vcc_lo
	global_load_u16 v1, v[3:4], off
	global_load_u16 v3, v[5:6], off
	s_waitcnt vmcnt(1)
	v_cvt_f32_f16_e32 v34, v1
	s_waitcnt vmcnt(0)
	v_cvt_f32_f16_e32 v18, v3
.LBB174_12:                             ;   in Loop: Header=BB174_3 Depth=1
	s_or_b32 exec_lo, exec_lo, s3
	v_add_co_u32 v3, vcc_lo, 0xffffff03, v119
	v_add_co_ci_u32_e32 v4, vcc_lo, -1, v120, vcc_lo
	s_delay_alu instid0(VALU_DEP_1) | instskip(SKIP_1) | instid1(SALU_CYCLE_1)
	v_cmp_gt_i64_e32 vcc_lo, s[4:5], v[3:4]
	s_and_b32 s17, s2, vcc_lo
	s_and_saveexec_b32 s3, s17
	s_cbranch_execz .LBB174_14
; %bb.13:                               ;   in Loop: Header=BB174_3 Depth=1
	v_add_co_u32 v3, vcc_lo, v106, v49
	v_add_co_ci_u32_e32 v4, vcc_lo, v107, v50, vcc_lo
	v_add_co_u32 v5, vcc_lo, v108, v49
	v_add_co_ci_u32_e32 v6, vcc_lo, v109, v50, vcc_lo
	global_load_u16 v1, v[3:4], off
	global_load_u16 v3, v[5:6], off
	s_waitcnt vmcnt(1)
	v_cvt_f32_f16_e32 v35, v1
	s_waitcnt vmcnt(0)
	v_cvt_f32_f16_e32 v19, v3
.LBB174_14:                             ;   in Loop: Header=BB174_3 Depth=1
	;; [unrolled: 20-line block ×15, first 2 shown]
	s_or_b32 exec_lo, exec_lo, s3
	s_waitcnt vmcnt(0)
	ds_bpermute_b32 v1, v2, v121
	ds_bpermute_b32 v3, v2, v121 offset:4
	ds_bpermute_b32 v4, v2, v121 offset:8
	v_mul_f32_e32 v5, v17, v33
	ds_bpermute_b32 v6, v2, v121 offset:12
	v_mul_f32_e32 v7, v18, v34
	ds_bpermute_b32 v8, v2, v121 offset:16
	ds_bpermute_b32 v9, v2, v121 offset:20
	s_waitcnt lgkmcnt(5)
	v_fma_f32 v1, v5, v1, v118
	v_mul_f32_e32 v5, v19, v35
	s_waitcnt lgkmcnt(4)
	s_delay_alu instid0(VALU_DEP_2)
	v_fmac_f32_e32 v1, v7, v3
	v_mul_f32_e32 v3, v20, v36
	ds_bpermute_b32 v7, v2, v121 offset:24
	s_waitcnt lgkmcnt(4)
	v_fmac_f32_e32 v1, v5, v4
	v_mul_f32_e32 v4, v21, v37
	ds_bpermute_b32 v5, v2, v121 offset:28
	s_waitcnt lgkmcnt(4)
	;; [unrolled: 4-line block ×3, first 2 shown]
	v_dual_fmac_f32 v1, v4, v8 :: v_dual_mul_f32 v4, v23, v39
	ds_bpermute_b32 v8, v2, v121 offset:36
	s_waitcnt lgkmcnt(4)
	v_fmac_f32_e32 v1, v3, v9
	v_mul_f32_e32 v3, v24, v40
	ds_bpermute_b32 v9, v2, v121 offset:40
	s_waitcnt lgkmcnt(4)
	v_dual_fmac_f32 v1, v4, v7 :: v_dual_mul_f32 v4, v25, v41
	ds_bpermute_b32 v7, v2, v121 offset:44
	s_waitcnt lgkmcnt(4)
	v_fmac_f32_e32 v1, v3, v5
	v_mul_f32_e32 v3, v26, v42
	ds_bpermute_b32 v5, v2, v121 offset:48
	s_waitcnt lgkmcnt(4)
	v_dual_fmac_f32 v1, v4, v6 :: v_dual_mul_f32 v4, v27, v43
	ds_bpermute_b32 v6, v2, v121 offset:52
	s_waitcnt lgkmcnt(4)
	v_fmac_f32_e32 v1, v3, v8
	v_dual_mul_f32 v3, v28, v44 :: v_dual_mul_f32 v8, v29, v45
	s_waitcnt lgkmcnt(3)
	s_delay_alu instid0(VALU_DEP_2)
	v_fmac_f32_e32 v1, v4, v9
	ds_bpermute_b32 v4, v2, v121 offset:56
	s_waitcnt lgkmcnt(3)
	v_fmac_f32_e32 v1, v3, v7
	ds_bpermute_b32 v3, v2, v121 offset:60
	v_mul_f32_e32 v7, v30, v46
	s_waitcnt lgkmcnt(3)
	v_fmac_f32_e32 v1, v8, v5
	v_mul_f32_e32 v5, v31, v47
	s_waitcnt lgkmcnt(2)
	s_delay_alu instid0(VALU_DEP_2) | instskip(SKIP_1) | instid1(VALU_DEP_1)
	v_fmac_f32_e32 v1, v7, v6
	s_waitcnt lgkmcnt(1)
	v_fmac_f32_e32 v1, v5, v4
	s_branch .LBB174_64
.LBB174_41:                             ;   in Loop: Header=BB174_3 Depth=1
                                        ; implicit-def: $vgpr1
                                        ; implicit-def: $vgpr17_vgpr18_vgpr19_vgpr20_vgpr21_vgpr22_vgpr23_vgpr24_vgpr25_vgpr26_vgpr27_vgpr28_vgpr29_vgpr30_vgpr31_vgpr32
                                        ; implicit-def: $vgpr33_vgpr34_vgpr35_vgpr36_vgpr37_vgpr38_vgpr39_vgpr40_vgpr41_vgpr42_vgpr43_vgpr44_vgpr45_vgpr46_vgpr47_vgpr48
                                        ; implicit-def: $vgpr3
	s_cbranch_execz .LBB174_64
; %bb.42:                               ;   in Loop: Header=BB174_3 Depth=1
	s_load_b32 s3, s[36:37], 0x0
	v_mov_b32_e32 v121, 0
	s_waitcnt lgkmcnt(0)
	s_cmp_lt_u32 s14, s3
	s_cselect_b32 s3, 12, 18
	s_delay_alu instid0(SALU_CYCLE_1)
	s_add_u32 s18, s36, s3
	s_addc_u32 s19, s37, 0
	s_mov_b32 s3, exec_lo
	global_load_u16 v1, v2, s[18:19]
	s_waitcnt vmcnt(0)
	v_mad_u32_u24 v1, v51, v1, v53
	s_delay_alu instid0(VALU_DEP_1) | instskip(NEXT) | instid1(VALU_DEP_1)
	v_and_b32_e32 v1, 31, v1
	v_cmpx_gt_u32_e32 16, v1
	s_cbranch_execz .LBB174_46
; %bb.43:                               ;   in Loop: Header=BB174_3 Depth=1
	v_add_co_u32 v1, vcc_lo, v119, v1
	v_add_co_ci_u32_e32 v4, vcc_lo, 0, v120, vcc_lo
	v_mov_b32_e32 v121, 0
	s_delay_alu instid0(VALU_DEP_3) | instskip(NEXT) | instid1(VALU_DEP_3)
	v_add_co_u32 v3, vcc_lo, 0xffffff01, v1
	v_add_co_ci_u32_e32 v4, vcc_lo, -1, v4, vcc_lo
	s_mov_b32 s17, exec_lo
	s_delay_alu instid0(VALU_DEP_1)
	v_cmpx_gt_i64_e64 s[4:5], v[3:4]
	s_cbranch_execz .LBB174_45
; %bb.44:                               ;   in Loop: Header=BB174_3 Depth=1
	v_lshlrev_b64 v[3:4], 2, v[3:4]
	s_delay_alu instid0(VALU_DEP_1) | instskip(NEXT) | instid1(VALU_DEP_2)
	v_add_co_u32 v3, vcc_lo, s12, v3
	v_add_co_ci_u32_e32 v4, vcc_lo, s13, v4, vcc_lo
	global_load_b32 v121, v[3:4], off
.LBB174_45:                             ;   in Loop: Header=BB174_3 Depth=1
	s_or_b32 exec_lo, exec_lo, s17
.LBB174_46:                             ;   in Loop: Header=BB174_3 Depth=1
	s_delay_alu instid0(SALU_CYCLE_1)
	s_or_b32 exec_lo, exec_lo, s3
	s_mov_b32 s31, s16
	s_mov_b32 s17, s16
	;; [unrolled: 1-line block ×15, first 2 shown]
	s_delay_alu instid0(SALU_CYCLE_1)
	v_dual_mov_b32 v32, s31 :: v_dual_mov_b32 v31, s30
	v_dual_mov_b32 v30, s29 :: v_dual_mov_b32 v29, s28
	;; [unrolled: 1-line block ×16, first 2 shown]
	s_and_saveexec_b32 s3, s2
	s_cbranch_execnz .LBB174_66
; %bb.47:                               ;   in Loop: Header=BB174_3 Depth=1
	s_or_b32 exec_lo, exec_lo, s3
	s_and_saveexec_b32 s3, s2
	s_cbranch_execnz .LBB174_67
.LBB174_48:                             ;   in Loop: Header=BB174_3 Depth=1
	s_or_b32 exec_lo, exec_lo, s3
	s_and_saveexec_b32 s3, s2
	s_cbranch_execnz .LBB174_68
.LBB174_49:                             ;   in Loop: Header=BB174_3 Depth=1
	s_or_b32 exec_lo, exec_lo, s3
	s_and_saveexec_b32 s3, s2
	s_cbranch_execnz .LBB174_69
.LBB174_50:                             ;   in Loop: Header=BB174_3 Depth=1
	s_or_b32 exec_lo, exec_lo, s3
	s_and_saveexec_b32 s3, s2
	s_cbranch_execnz .LBB174_70
.LBB174_51:                             ;   in Loop: Header=BB174_3 Depth=1
	s_or_b32 exec_lo, exec_lo, s3
	s_and_saveexec_b32 s3, s2
	s_cbranch_execnz .LBB174_71
.LBB174_52:                             ;   in Loop: Header=BB174_3 Depth=1
	s_or_b32 exec_lo, exec_lo, s3
	s_and_saveexec_b32 s3, s2
	s_cbranch_execnz .LBB174_72
.LBB174_53:                             ;   in Loop: Header=BB174_3 Depth=1
	s_or_b32 exec_lo, exec_lo, s3
	s_and_saveexec_b32 s3, s2
	s_cbranch_execnz .LBB174_73
.LBB174_54:                             ;   in Loop: Header=BB174_3 Depth=1
	s_or_b32 exec_lo, exec_lo, s3
	s_and_saveexec_b32 s3, s2
	s_cbranch_execnz .LBB174_74
.LBB174_55:                             ;   in Loop: Header=BB174_3 Depth=1
	s_or_b32 exec_lo, exec_lo, s3
	s_and_saveexec_b32 s3, s2
	s_cbranch_execnz .LBB174_75
.LBB174_56:                             ;   in Loop: Header=BB174_3 Depth=1
	s_or_b32 exec_lo, exec_lo, s3
	s_and_saveexec_b32 s3, s2
	s_cbranch_execnz .LBB174_76
.LBB174_57:                             ;   in Loop: Header=BB174_3 Depth=1
	s_or_b32 exec_lo, exec_lo, s3
	s_and_saveexec_b32 s3, s2
	s_cbranch_execnz .LBB174_77
.LBB174_58:                             ;   in Loop: Header=BB174_3 Depth=1
	s_or_b32 exec_lo, exec_lo, s3
	s_and_saveexec_b32 s3, s2
	s_cbranch_execnz .LBB174_78
.LBB174_59:                             ;   in Loop: Header=BB174_3 Depth=1
	s_or_b32 exec_lo, exec_lo, s3
	s_and_saveexec_b32 s3, s2
	s_cbranch_execnz .LBB174_79
.LBB174_60:                             ;   in Loop: Header=BB174_3 Depth=1
	s_or_b32 exec_lo, exec_lo, s3
	s_and_saveexec_b32 s3, s2
	s_cbranch_execnz .LBB174_80
.LBB174_61:                             ;   in Loop: Header=BB174_3 Depth=1
	s_or_b32 exec_lo, exec_lo, s3
	s_and_saveexec_b32 s3, s2
	s_cbranch_execz .LBB174_63
.LBB174_62:                             ;   in Loop: Header=BB174_3 Depth=1
	v_add_co_u32 v3, vcc_lo, v54, v49
	v_add_co_ci_u32_e32 v4, vcc_lo, v55, v50, vcc_lo
	v_add_co_u32 v5, vcc_lo, v56, v49
	v_add_co_ci_u32_e32 v6, vcc_lo, v57, v50, vcc_lo
	global_load_u16 v1, v[3:4], off
	global_load_u16 v3, v[5:6], off
	s_waitcnt vmcnt(1)
	v_cvt_f32_f16_e32 v48, v1
	s_waitcnt vmcnt(0)
	v_cvt_f32_f16_e32 v32, v3
.LBB174_63:                             ;   in Loop: Header=BB174_3 Depth=1
	s_or_b32 exec_lo, exec_lo, s3
	s_waitcnt vmcnt(0)
	ds_bpermute_b32 v1, v2, v121
	ds_bpermute_b32 v3, v2, v121 offset:4
	ds_bpermute_b32 v4, v2, v121 offset:8
	;; [unrolled: 1-line block ×3, first 2 shown]
	v_mul_f32_e32 v7, v18, v34
	v_mul_f32_e32 v5, v17, v33
	ds_bpermute_b32 v8, v2, v121 offset:16
	s_waitcnt lgkmcnt(4)
	v_dual_fmac_f32 v118, v5, v1 :: v_dual_mul_f32 v1, v19, v35
	ds_bpermute_b32 v5, v2, v121 offset:20
	s_waitcnt lgkmcnt(4)
	v_fmac_f32_e32 v118, v7, v3
	ds_bpermute_b32 v7, v2, v121 offset:24
	v_mul_f32_e32 v3, v20, v36
	s_waitcnt lgkmcnt(4)
	v_fmac_f32_e32 v118, v1, v4
	v_mul_f32_e32 v1, v21, v37
	ds_bpermute_b32 v4, v2, v121 offset:28
	s_waitcnt lgkmcnt(4)
	v_fmac_f32_e32 v118, v3, v6
	v_mul_f32_e32 v3, v22, v38
	ds_bpermute_b32 v6, v2, v121 offset:32
	s_waitcnt lgkmcnt(4)
	v_dual_fmac_f32 v118, v1, v8 :: v_dual_mul_f32 v1, v23, v39
	ds_bpermute_b32 v8, v2, v121 offset:36
	s_waitcnt lgkmcnt(4)
	v_dual_fmac_f32 v118, v3, v5 :: v_dual_mul_f32 v3, v24, v40
	ds_bpermute_b32 v5, v2, v121 offset:40
	s_waitcnt lgkmcnt(4)
	v_fmac_f32_e32 v118, v1, v7
	v_mul_f32_e32 v1, v25, v41
	ds_bpermute_b32 v7, v2, v121 offset:44
	s_waitcnt lgkmcnt(4)
	v_fmac_f32_e32 v118, v3, v4
	ds_bpermute_b32 v4, v2, v121 offset:48
	s_waitcnt lgkmcnt(4)
	v_dual_fmac_f32 v118, v1, v6 :: v_dual_mul_f32 v1, v27, v43
	v_mul_f32_e32 v3, v26, v42
	ds_bpermute_b32 v6, v2, v121 offset:52
	s_waitcnt lgkmcnt(4)
	v_fmac_f32_e32 v118, v3, v8
	s_waitcnt lgkmcnt(3)
	s_delay_alu instid0(VALU_DEP_1)
	v_dual_mul_f32 v3, v28, v44 :: v_dual_fmac_f32 v118, v1, v5
	ds_bpermute_b32 v1, v2, v121 offset:56
	s_waitcnt lgkmcnt(3)
	v_dual_mul_f32 v5, v29, v45 :: v_dual_fmac_f32 v118, v3, v7
	v_mul_f32_e32 v7, v30, v46
	ds_bpermute_b32 v3, v2, v121 offset:60
	s_waitcnt lgkmcnt(3)
	v_fmac_f32_e32 v118, v5, v4
	v_mul_f32_e32 v4, v31, v47
	s_waitcnt lgkmcnt(2)
	s_delay_alu instid0(VALU_DEP_2) | instskip(SKIP_1) | instid1(VALU_DEP_1)
	v_fmac_f32_e32 v118, v7, v6
	s_waitcnt lgkmcnt(1)
	v_fmac_f32_e32 v118, v4, v1
	s_delay_alu instid0(VALU_DEP_1)
	v_mov_b32_e32 v1, v118
.LBB174_64:                             ;   in Loop: Header=BB174_3 Depth=1
	v_add_co_u32 v54, vcc_lo, v54, s38
	v_add_co_ci_u32_e32 v55, vcc_lo, s39, v55, vcc_lo
	v_add_co_u32 v56, vcc_lo, v56, s38
	v_add_co_ci_u32_e32 v57, vcc_lo, s39, v57, vcc_lo
	;; [unrolled: 2-line block ×29, first 2 shown]
	v_add_co_u32 v112, vcc_lo, v112, s38
	s_add_u32 s42, s42, s44
	v_add_co_ci_u32_e32 v113, vcc_lo, s39, v113, vcc_lo
	v_mul_f32_e32 v4, v48, v32
	s_addc_u32 s43, s43, 0
	v_add_co_u32 v114, vcc_lo, v114, s38
	v_cmp_lt_i64_e64 s3, s[42:43], s[4:5]
	v_add_co_ci_u32_e32 v115, vcc_lo, s39, v115, vcc_lo
	v_add_co_u32 v116, vcc_lo, v116, s38
	s_waitcnt lgkmcnt(0)
	v_fmac_f32_e32 v1, v4, v3
	v_add_co_ci_u32_e32 v117, vcc_lo, s39, v117, vcc_lo
	s_add_u32 s40, s40, s44
	s_addc_u32 s41, s41, 0
	s_and_b32 vcc_lo, exec_lo, s3
	s_cbranch_vccz .LBB174_82
; %bb.65:                               ;   in Loop: Header=BB174_3 Depth=1
	v_mov_b32_e32 v118, v1
	s_branch .LBB174_3
.LBB174_66:                             ;   in Loop: Header=BB174_3 Depth=1
	v_add_co_u32 v3, vcc_lo, v114, v49
	v_add_co_ci_u32_e32 v4, vcc_lo, v115, v50, vcc_lo
	v_add_co_u32 v5, vcc_lo, v116, v49
	v_add_co_ci_u32_e32 v6, vcc_lo, v117, v50, vcc_lo
	v_mov_b32_e32 v16, v2
	global_load_u16 v1, v[3:4], off
	global_load_u16 v17, v[5:6], off
	v_mov_b32_e32 v3, v2
	v_mov_b32_e32 v4, v2
	;; [unrolled: 1-line block ×17, first 2 shown]
	s_waitcnt vmcnt(1)
	v_cvt_f32_f16_e32 v1, v1
	v_dual_mov_b32 v19, v2 :: v_dual_mov_b32 v48, v16
	v_dual_mov_b32 v18, v2 :: v_dual_mov_b32 v47, v15
	;; [unrolled: 1-line block ×9, first 2 shown]
	s_waitcnt vmcnt(0)
	v_cvt_f32_f16_e32 v17, v17
	v_dual_mov_b32 v28, v2 :: v_dual_mov_b32 v37, v5
	v_dual_mov_b32 v30, v2 :: v_dual_mov_b32 v35, v3
	;; [unrolled: 1-line block ×3, first 2 shown]
	v_mov_b32_e32 v42, v10
	v_mov_b32_e32 v38, v6
	;; [unrolled: 1-line block ×3, first 2 shown]
	s_or_b32 exec_lo, exec_lo, s3
	s_and_saveexec_b32 s3, s2
	s_cbranch_execz .LBB174_48
.LBB174_67:                             ;   in Loop: Header=BB174_3 Depth=1
	v_add_co_u32 v3, vcc_lo, v110, v49
	v_add_co_ci_u32_e32 v4, vcc_lo, v111, v50, vcc_lo
	v_add_co_u32 v5, vcc_lo, v112, v49
	v_add_co_ci_u32_e32 v6, vcc_lo, v113, v50, vcc_lo
	global_load_u16 v1, v[3:4], off
	global_load_u16 v3, v[5:6], off
	s_waitcnt vmcnt(1)
	v_cvt_f32_f16_e32 v34, v1
	s_waitcnt vmcnt(0)
	v_cvt_f32_f16_e32 v18, v3
	s_or_b32 exec_lo, exec_lo, s3
	s_and_saveexec_b32 s3, s2
	s_cbranch_execz .LBB174_49
.LBB174_68:                             ;   in Loop: Header=BB174_3 Depth=1
	v_add_co_u32 v3, vcc_lo, v106, v49
	v_add_co_ci_u32_e32 v4, vcc_lo, v107, v50, vcc_lo
	v_add_co_u32 v5, vcc_lo, v108, v49
	v_add_co_ci_u32_e32 v6, vcc_lo, v109, v50, vcc_lo
	global_load_u16 v1, v[3:4], off
	global_load_u16 v3, v[5:6], off
	s_waitcnt vmcnt(1)
	v_cvt_f32_f16_e32 v35, v1
	s_waitcnt vmcnt(0)
	v_cvt_f32_f16_e32 v19, v3
	s_or_b32 exec_lo, exec_lo, s3
	s_and_saveexec_b32 s3, s2
	s_cbranch_execz .LBB174_50
.LBB174_69:                             ;   in Loop: Header=BB174_3 Depth=1
	v_add_co_u32 v3, vcc_lo, v102, v49
	v_add_co_ci_u32_e32 v4, vcc_lo, v103, v50, vcc_lo
	v_add_co_u32 v5, vcc_lo, v104, v49
	v_add_co_ci_u32_e32 v6, vcc_lo, v105, v50, vcc_lo
	global_load_u16 v1, v[3:4], off
	global_load_u16 v3, v[5:6], off
	s_waitcnt vmcnt(1)
	v_cvt_f32_f16_e32 v36, v1
	s_waitcnt vmcnt(0)
	v_cvt_f32_f16_e32 v20, v3
	s_or_b32 exec_lo, exec_lo, s3
	s_and_saveexec_b32 s3, s2
	s_cbranch_execz .LBB174_51
.LBB174_70:                             ;   in Loop: Header=BB174_3 Depth=1
	v_add_co_u32 v3, vcc_lo, v98, v49
	v_add_co_ci_u32_e32 v4, vcc_lo, v99, v50, vcc_lo
	v_add_co_u32 v5, vcc_lo, v100, v49
	v_add_co_ci_u32_e32 v6, vcc_lo, v101, v50, vcc_lo
	global_load_u16 v1, v[3:4], off
	global_load_u16 v3, v[5:6], off
	s_waitcnt vmcnt(1)
	v_cvt_f32_f16_e32 v37, v1
	s_waitcnt vmcnt(0)
	v_cvt_f32_f16_e32 v21, v3
	s_or_b32 exec_lo, exec_lo, s3
	s_and_saveexec_b32 s3, s2
	s_cbranch_execz .LBB174_52
.LBB174_71:                             ;   in Loop: Header=BB174_3 Depth=1
	v_add_co_u32 v3, vcc_lo, v94, v49
	v_add_co_ci_u32_e32 v4, vcc_lo, v95, v50, vcc_lo
	v_add_co_u32 v5, vcc_lo, v96, v49
	v_add_co_ci_u32_e32 v6, vcc_lo, v97, v50, vcc_lo
	global_load_u16 v1, v[3:4], off
	global_load_u16 v3, v[5:6], off
	s_waitcnt vmcnt(1)
	v_cvt_f32_f16_e32 v38, v1
	s_waitcnt vmcnt(0)
	v_cvt_f32_f16_e32 v22, v3
	s_or_b32 exec_lo, exec_lo, s3
	s_and_saveexec_b32 s3, s2
	s_cbranch_execz .LBB174_53
.LBB174_72:                             ;   in Loop: Header=BB174_3 Depth=1
	v_add_co_u32 v3, vcc_lo, v90, v49
	v_add_co_ci_u32_e32 v4, vcc_lo, v91, v50, vcc_lo
	v_add_co_u32 v5, vcc_lo, v92, v49
	v_add_co_ci_u32_e32 v6, vcc_lo, v93, v50, vcc_lo
	global_load_u16 v1, v[3:4], off
	global_load_u16 v3, v[5:6], off
	s_waitcnt vmcnt(1)
	v_cvt_f32_f16_e32 v39, v1
	s_waitcnt vmcnt(0)
	v_cvt_f32_f16_e32 v23, v3
	s_or_b32 exec_lo, exec_lo, s3
	s_and_saveexec_b32 s3, s2
	s_cbranch_execz .LBB174_54
.LBB174_73:                             ;   in Loop: Header=BB174_3 Depth=1
	v_add_co_u32 v3, vcc_lo, v86, v49
	v_add_co_ci_u32_e32 v4, vcc_lo, v87, v50, vcc_lo
	v_add_co_u32 v5, vcc_lo, v88, v49
	v_add_co_ci_u32_e32 v6, vcc_lo, v89, v50, vcc_lo
	global_load_u16 v1, v[3:4], off
	global_load_u16 v3, v[5:6], off
	s_waitcnt vmcnt(1)
	v_cvt_f32_f16_e32 v40, v1
	s_waitcnt vmcnt(0)
	v_cvt_f32_f16_e32 v24, v3
	s_or_b32 exec_lo, exec_lo, s3
	s_and_saveexec_b32 s3, s2
	s_cbranch_execz .LBB174_55
.LBB174_74:                             ;   in Loop: Header=BB174_3 Depth=1
	v_add_co_u32 v3, vcc_lo, v82, v49
	v_add_co_ci_u32_e32 v4, vcc_lo, v83, v50, vcc_lo
	v_add_co_u32 v5, vcc_lo, v84, v49
	v_add_co_ci_u32_e32 v6, vcc_lo, v85, v50, vcc_lo
	global_load_u16 v1, v[3:4], off
	global_load_u16 v3, v[5:6], off
	s_waitcnt vmcnt(1)
	v_cvt_f32_f16_e32 v41, v1
	s_waitcnt vmcnt(0)
	v_cvt_f32_f16_e32 v25, v3
	s_or_b32 exec_lo, exec_lo, s3
	s_and_saveexec_b32 s3, s2
	s_cbranch_execz .LBB174_56
.LBB174_75:                             ;   in Loop: Header=BB174_3 Depth=1
	v_add_co_u32 v3, vcc_lo, v78, v49
	v_add_co_ci_u32_e32 v4, vcc_lo, v79, v50, vcc_lo
	v_add_co_u32 v5, vcc_lo, v80, v49
	v_add_co_ci_u32_e32 v6, vcc_lo, v81, v50, vcc_lo
	global_load_u16 v1, v[3:4], off
	global_load_u16 v3, v[5:6], off
	s_waitcnt vmcnt(1)
	v_cvt_f32_f16_e32 v42, v1
	s_waitcnt vmcnt(0)
	v_cvt_f32_f16_e32 v26, v3
	s_or_b32 exec_lo, exec_lo, s3
	s_and_saveexec_b32 s3, s2
	s_cbranch_execz .LBB174_57
.LBB174_76:                             ;   in Loop: Header=BB174_3 Depth=1
	v_add_co_u32 v3, vcc_lo, v74, v49
	v_add_co_ci_u32_e32 v4, vcc_lo, v75, v50, vcc_lo
	v_add_co_u32 v5, vcc_lo, v76, v49
	v_add_co_ci_u32_e32 v6, vcc_lo, v77, v50, vcc_lo
	global_load_u16 v1, v[3:4], off
	global_load_u16 v3, v[5:6], off
	s_waitcnt vmcnt(1)
	v_cvt_f32_f16_e32 v43, v1
	s_waitcnt vmcnt(0)
	v_cvt_f32_f16_e32 v27, v3
	s_or_b32 exec_lo, exec_lo, s3
	s_and_saveexec_b32 s3, s2
	s_cbranch_execz .LBB174_58
.LBB174_77:                             ;   in Loop: Header=BB174_3 Depth=1
	v_add_co_u32 v3, vcc_lo, v70, v49
	v_add_co_ci_u32_e32 v4, vcc_lo, v71, v50, vcc_lo
	v_add_co_u32 v5, vcc_lo, v72, v49
	v_add_co_ci_u32_e32 v6, vcc_lo, v73, v50, vcc_lo
	global_load_u16 v1, v[3:4], off
	global_load_u16 v3, v[5:6], off
	s_waitcnt vmcnt(1)
	v_cvt_f32_f16_e32 v44, v1
	s_waitcnt vmcnt(0)
	v_cvt_f32_f16_e32 v28, v3
	s_or_b32 exec_lo, exec_lo, s3
	s_and_saveexec_b32 s3, s2
	s_cbranch_execz .LBB174_59
.LBB174_78:                             ;   in Loop: Header=BB174_3 Depth=1
	v_add_co_u32 v3, vcc_lo, v66, v49
	v_add_co_ci_u32_e32 v4, vcc_lo, v67, v50, vcc_lo
	v_add_co_u32 v5, vcc_lo, v68, v49
	v_add_co_ci_u32_e32 v6, vcc_lo, v69, v50, vcc_lo
	global_load_u16 v1, v[3:4], off
	global_load_u16 v3, v[5:6], off
	s_waitcnt vmcnt(1)
	v_cvt_f32_f16_e32 v45, v1
	s_waitcnt vmcnt(0)
	v_cvt_f32_f16_e32 v29, v3
	s_or_b32 exec_lo, exec_lo, s3
	s_and_saveexec_b32 s3, s2
	s_cbranch_execz .LBB174_60
.LBB174_79:                             ;   in Loop: Header=BB174_3 Depth=1
	v_add_co_u32 v3, vcc_lo, v62, v49
	v_add_co_ci_u32_e32 v4, vcc_lo, v63, v50, vcc_lo
	v_add_co_u32 v5, vcc_lo, v64, v49
	v_add_co_ci_u32_e32 v6, vcc_lo, v65, v50, vcc_lo
	global_load_u16 v1, v[3:4], off
	global_load_u16 v3, v[5:6], off
	s_waitcnt vmcnt(1)
	v_cvt_f32_f16_e32 v46, v1
	s_waitcnt vmcnt(0)
	v_cvt_f32_f16_e32 v30, v3
	s_or_b32 exec_lo, exec_lo, s3
	s_and_saveexec_b32 s3, s2
	s_cbranch_execz .LBB174_61
.LBB174_80:                             ;   in Loop: Header=BB174_3 Depth=1
	v_add_co_u32 v3, vcc_lo, v58, v49
	v_add_co_ci_u32_e32 v4, vcc_lo, v59, v50, vcc_lo
	v_add_co_u32 v5, vcc_lo, v60, v49
	v_add_co_ci_u32_e32 v6, vcc_lo, v61, v50, vcc_lo
	global_load_u16 v1, v[3:4], off
	global_load_u16 v3, v[5:6], off
	s_waitcnt vmcnt(1)
	v_cvt_f32_f16_e32 v47, v1
	s_waitcnt vmcnt(0)
	v_cvt_f32_f16_e32 v31, v3
	s_or_b32 exec_lo, exec_lo, s3
	s_and_saveexec_b32 s3, s2
	s_cbranch_execnz .LBB174_62
	s_branch .LBB174_63
.LBB174_81:
                                        ; implicit-def: $vgpr1
	s_branch .LBB174_83
.LBB174_82:
	s_cbranch_execnz .LBB174_131
.LBB174_83:
	v_mov_b32_e32 v1, 0
	s_and_not1_b32 vcc_lo, exec_lo, s15
	s_cbranch_vccnz .LBB174_131
; %bb.84:
	s_load_b32 s15, s[0:1], 0x44
	v_bfe_u32 v111, v0, 10, 10
	s_add_u32 s2, s0, 64
	s_addc_u32 s3, s1, 0
	v_dual_mov_b32 v178, 0 :: v_dual_and_b32 v173, 0x3ff, v0
	s_delay_alu instid0(VALU_DEP_2)
	v_lshlrev_b32_e32 v1, 5, v111
	v_lshlrev_b32_e32 v112, 4, v111
	s_waitcnt lgkmcnt(0)
	s_lshl_b32 s15, s15, 8
	s_add_u32 s36, s34, 0xff
	s_addc_u32 s37, 0, 0
	s_lshl_b64 s[16:17], s[34:35], 1
	s_delay_alu instid0(SALU_CYCLE_1) | instskip(NEXT) | instid1(VALU_DEP_1)
	v_add_co_u32 v1, s16, v1, s16
	v_add_co_ci_u32_e64 v2, null, 0, s17, s16
	v_add_co_u32 v46, s16, v112, s34
	s_delay_alu instid0(VALU_DEP_3) | instskip(NEXT) | instid1(VALU_DEP_3)
	v_add_co_u32 v3, vcc_lo, v1, 2
	v_add_co_ci_u32_e32 v4, vcc_lo, 0, v2, vcc_lo
	v_add_co_u32 v5, vcc_lo, v1, 4
	v_add_co_ci_u32_e32 v6, vcc_lo, 0, v2, vcc_lo
	;; [unrolled: 2-line block ×13, first 2 shown]
	v_add_co_u32 v42, vcc_lo, v1, 28
	v_mad_u64_u32 v[53:54], null, s6, v7, s[8:9]
	v_mul_lo_u32 v8, s6, v8
	v_mul_lo_u32 v11, s7, v7
	v_mad_u64_u32 v[83:84], null, s6, v7, s[10:11]
	v_add_co_ci_u32_e32 v43, vcc_lo, 0, v2, vcc_lo
	v_mad_u64_u32 v[51:52], null, s6, v5, s[8:9]
	v_mul_lo_u32 v6, s6, v6
	v_mul_lo_u32 v10, s7, v5
	v_add_co_u32 v45, vcc_lo, v1, 30
	v_add_co_ci_u32_e64 v47, null, 0, 0, s16
	v_mad_u64_u32 v[81:82], null, s6, v5, s[10:11]
	v_add_co_ci_u32_e32 v1, vcc_lo, 0, v2, vcc_lo
	v_add_co_u32 v5, vcc_lo, v46, 15
	v_mad_u64_u32 v[49:50], null, s6, v3, s[8:9]
	v_mul_lo_u32 v4, s6, v4
	v_mul_lo_u32 v9, s7, v3
	v_mad_u64_u32 v[79:80], null, s6, v3, s[10:11]
	v_add_co_ci_u32_e32 v3, vcc_lo, 0, v47, vcc_lo
	v_add3_u32 v54, v11, v54, v8
	v_add3_u32 v84, v11, v84, v8
	v_add_co_u32 v8, vcc_lo, v46, 14
	v_add3_u32 v52, v10, v52, v6
	v_add3_u32 v82, v10, v82, v6
	v_add_co_ci_u32_e32 v6, vcc_lo, 0, v47, vcc_lo
	v_add3_u32 v50, v9, v50, v4
	v_add3_u32 v80, v9, v80, v4
	v_mul_lo_u32 v7, s7, v5
	v_mul_lo_u32 v9, s6, v3
	v_mad_u64_u32 v[3:4], null, s6, v5, 0
	v_mul_lo_u32 v10, s7, v8
	v_mul_lo_u32 v11, s6, v6
	v_mad_u64_u32 v[5:6], null, s6, v8, 0
	v_mul_lo_u32 v48, s6, v1
	v_mul_lo_u32 v89, s7, v46
	;; [unrolled: 1-line block ×3, first 2 shown]
	v_mad_u64_u32 v[1:2], null, s6, v46, 0
	v_mad_u64_u32 v[55:56], null, s6, v12, s[8:9]
	v_mul_lo_u32 v13, s6, v13
	v_mul_lo_u32 v16, s7, v12
	v_mad_u64_u32 v[85:86], null, s6, v12, s[10:11]
	v_mad_u64_u32 v[57:58], null, s6, v14, s[8:9]
	v_mul_lo_u32 v15, s6, v15
	v_mul_lo_u32 v18, s7, v14
	v_mad_u64_u32 v[87:88], null, s6, v14, s[10:11]
	v_add_co_u32 v12, vcc_lo, v46, 13
	v_add_co_ci_u32_e32 v8, vcc_lo, 0, v47, vcc_lo
	v_add3_u32 v6, v6, v11, v10
	v_add_co_u32 v11, vcc_lo, v46, 12
	v_mad_u64_u32 v[59:60], null, s6, v17, s[8:9]
	v_mul_lo_u32 v19, s6, v19
	v_mul_lo_u32 v22, s7, v17
	v_add3_u32 v2, v2, v90, v89
	v_mad_u64_u32 v[89:90], null, s6, v17, s[10:11]
	v_mad_u64_u32 v[61:62], null, s6, v20, s[8:9]
	v_mul_lo_u32 v21, s6, v21
	v_mul_lo_u32 v24, s7, v20
	v_mad_u64_u32 v[91:92], null, s6, v20, s[10:11]
	v_add3_u32 v4, v4, v9, v7
	v_add_co_ci_u32_e32 v9, vcc_lo, 0, v47, vcc_lo
	v_add3_u32 v56, v16, v56, v13
	v_add3_u32 v86, v16, v86, v13
	v_add_co_u32 v13, vcc_lo, v46, 11
	v_add3_u32 v58, v18, v58, v15
	v_add3_u32 v88, v18, v88, v15
	v_mul_lo_u32 v17, s7, v12
	v_mul_lo_u32 v18, s6, v8
	v_mad_u64_u32 v[7:8], null, s6, v12, 0
	v_add_co_ci_u32_e32 v12, vcc_lo, 0, v47, vcc_lo
	v_mad_u64_u32 v[63:64], null, s6, v23, s[8:9]
	v_mul_lo_u32 v25, s6, v25
	v_mul_lo_u32 v28, s7, v23
	v_mad_u64_u32 v[93:94], null, s6, v23, s[10:11]
	v_add_co_u32 v15, vcc_lo, v46, 10
	v_add3_u32 v60, v22, v60, v19
	v_add3_u32 v90, v22, v90, v19
	v_mul_lo_u32 v19, s7, v11
	v_mul_lo_u32 v20, s6, v9
	v_mad_u64_u32 v[9:10], null, s6, v11, 0
	v_add3_u32 v62, v24, v62, v21
	v_add3_u32 v92, v24, v92, v21
	v_mul_lo_u32 v21, s7, v13
	v_mul_lo_u32 v22, s6, v12
	v_mad_u64_u32 v[11:12], null, s6, v13, 0
	v_add_co_ci_u32_e32 v13, vcc_lo, 0, v47, vcc_lo
	v_add_co_u32 v24, vcc_lo, v46, 9
	v_add3_u32 v64, v28, v64, v25
	v_add3_u32 v94, v28, v94, v25
	v_mul_lo_u32 v23, s7, v15
	v_mul_lo_u32 v25, s6, v13
	v_mad_u64_u32 v[13:14], null, s6, v15, 0
	v_add_co_ci_u32_e32 v16, vcc_lo, 0, v47, vcc_lo
	v_add3_u32 v10, v10, v20, v19
	v_add_co_u32 v19, vcc_lo, v46, 8
	v_add3_u32 v8, v8, v18, v17
	v_add_co_ci_u32_e32 v17, vcc_lo, 0, v47, vcc_lo
	v_add3_u32 v12, v12, v22, v21
	v_add_co_u32 v21, vcc_lo, v46, 7
	v_mad_u64_u32 v[67:68], null, s6, v30, s[8:9]
	v_mul_lo_u32 v31, s6, v31
	v_mul_lo_u32 v34, s7, v30
	v_mad_u64_u32 v[69:70], null, s6, v32, s[8:9]
	v_mul_lo_u32 v33, s6, v33
	v_mul_lo_u32 v36, s7, v32
	v_mad_u64_u32 v[71:72], null, s6, v35, s[8:9]
	v_mul_lo_u32 v37, s6, v37
	v_mul_lo_u32 v40, s7, v35
	v_mad_u64_u32 v[97:98], null, s6, v30, s[10:11]
	v_mad_u64_u32 v[99:100], null, s6, v32, s[10:11]
	;; [unrolled: 1-line block ×3, first 2 shown]
	v_add_co_ci_u32_e32 v20, vcc_lo, 0, v47, vcc_lo
	v_mad_u64_u32 v[65:66], null, s6, v26, s[8:9]
	v_mul_lo_u32 v27, s6, v27
	v_mul_lo_u32 v29, s7, v26
	v_mad_u64_u32 v[95:96], null, s6, v26, s[10:11]
	v_add3_u32 v14, v14, v25, v23
	v_add_co_u32 v23, vcc_lo, v46, 6
	v_add_co_ci_u32_e32 v22, vcc_lo, 0, v47, vcc_lo
	v_add_co_u32 v25, vcc_lo, v46, 5
	v_mad_u64_u32 v[73:74], null, s6, v38, s[8:9]
	v_mul_lo_u32 v39, s6, v39
	v_mul_lo_u32 v41, s7, v38
	v_add3_u32 v68, v34, v68, v31
	v_add3_u32 v70, v36, v70, v33
	;; [unrolled: 1-line block ×3, first 2 shown]
	v_mad_u64_u32 v[103:104], null, s6, v38, s[10:11]
	v_add3_u32 v98, v34, v98, v31
	v_add3_u32 v100, v36, v100, v33
	;; [unrolled: 1-line block ×3, first 2 shown]
	v_mul_lo_u32 v33, s7, v19
	v_mul_lo_u32 v34, s6, v17
	v_mad_u64_u32 v[17:18], null, s6, v19, 0
	v_mul_lo_u32 v35, s7, v21
	v_mul_lo_u32 v36, s6, v20
	v_mad_u64_u32 v[19:20], null, s6, v21, 0
	;; [unrolled: 3-line block ×3, first 2 shown]
	v_add_co_ci_u32_e32 v23, vcc_lo, 0, v47, vcc_lo
	v_add3_u32 v66, v29, v66, v27
	v_mad_u64_u32 v[75:76], null, s6, v42, s[8:9]
	v_mul_lo_u32 v43, s6, v43
	v_mul_lo_u32 v44, s7, v42
	v_add3_u32 v96, v29, v96, v27
	v_mad_u64_u32 v[105:106], null, s6, v42, s[10:11]
	v_mul_lo_u32 v31, s7, v24
	v_mul_lo_u32 v32, s6, v16
	v_mad_u64_u32 v[15:16], null, s6, v24, 0
	v_add_co_u32 v27, vcc_lo, v46, 4
	v_add_co_ci_u32_e32 v26, vcc_lo, 0, v47, vcc_lo
	v_add_co_u32 v29, vcc_lo, v46, 3
	v_add3_u32 v74, v41, v74, v39
	v_add3_u32 v104, v41, v104, v39
	v_mul_lo_u32 v39, s7, v25
	v_mul_lo_u32 v40, s6, v23
	v_mad_u64_u32 v[23:24], null, s6, v25, 0
	v_mul_lo_u32 v41, s7, v27
	v_mul_lo_u32 v42, s6, v26
	v_mad_u64_u32 v[25:26], null, s6, v27, 0
	v_add_co_ci_u32_e32 v27, vcc_lo, 0, v47, vcc_lo
	v_add3_u32 v76, v44, v76, v43
	v_add3_u32 v106, v44, v106, v43
	v_add_co_u32 v43, vcc_lo, v46, 2
	v_add3_u32 v16, v16, v32, v31
	v_lshlrev_b64 v[31:32], 1, v[1:2]
	v_add_co_ci_u32_e32 v30, vcc_lo, 0, v47, vcc_lo
	v_add_co_u32 v1, vcc_lo, v1, s6
	v_add_co_ci_u32_e32 v2, vcc_lo, s7, v2, vcc_lo
	s_delay_alu instid0(VALU_DEP_4) | instskip(SKIP_4) | instid1(VALU_DEP_4)
	v_add_co_u32 v113, vcc_lo, s8, v31
	v_lshlrev_b64 v[3:4], 1, v[3:4]
	v_add_co_ci_u32_e32 v114, vcc_lo, s9, v32, vcc_lo
	v_add_co_u32 v115, vcc_lo, s10, v31
	v_add_co_ci_u32_e32 v116, vcc_lo, s11, v32, vcc_lo
	v_add_co_u32 v117, vcc_lo, s8, v3
	v_lshlrev_b64 v[5:6], 1, v[5:6]
	v_add_co_ci_u32_e32 v118, vcc_lo, s9, v4, vcc_lo
	v_add_co_u32 v119, vcc_lo, s10, v3
	v_add_co_ci_u32_e32 v120, vcc_lo, s11, v4, vcc_lo
	s_delay_alu instid0(VALU_DEP_4) | instskip(SKIP_4) | instid1(VALU_DEP_4)
	v_add_co_u32 v121, vcc_lo, s8, v5
	v_lshlrev_b64 v[3:4], 1, v[7:8]
	v_add_co_ci_u32_e32 v122, vcc_lo, s9, v6, vcc_lo
	v_add_co_u32 v123, vcc_lo, s10, v5
	v_add_co_ci_u32_e32 v124, vcc_lo, s11, v6, vcc_lo
	v_add_co_u32 v125, vcc_lo, s8, v3
	;; [unrolled: 11-line block ×3, first 2 shown]
	v_lshlrev_b64 v[5:6], 1, v[13:14]
	v_add_co_ci_u32_e32 v134, vcc_lo, s9, v4, vcc_lo
	v_add_co_u32 v135, vcc_lo, s10, v3
	v_add_co_ci_u32_e32 v136, vcc_lo, s11, v4, vcc_lo
	s_delay_alu instid0(VALU_DEP_4)
	v_add_co_u32 v137, vcc_lo, s8, v5
	v_lshlrev_b64 v[3:4], 1, v[15:16]
	v_add3_u32 v18, v18, v34, v33
	v_add_co_ci_u32_e32 v138, vcc_lo, s9, v6, vcc_lo
	v_add_co_u32 v139, vcc_lo, s10, v5
	v_add_co_ci_u32_e32 v140, vcc_lo, s11, v6, vcc_lo
	v_add_co_u32 v141, vcc_lo, s8, v3
	v_lshlrev_b64 v[5:6], 1, v[17:18]
	v_add3_u32 v20, v20, v36, v35
	v_add_co_ci_u32_e32 v142, vcc_lo, s9, v4, vcc_lo
	v_add_co_u32 v143, vcc_lo, s10, v3
	v_add_co_ci_u32_e32 v144, vcc_lo, s11, v4, vcc_lo
	;; [unrolled: 6-line block ×3, first 2 shown]
	v_add_co_u32 v149, vcc_lo, s8, v3
	v_lshlrev_b64 v[5:6], 1, v[21:22]
	v_add3_u32 v24, v24, v40, v39
	v_add_co_ci_u32_e32 v150, vcc_lo, s9, v4, vcc_lo
	v_add_co_u32 v151, vcc_lo, s10, v3
	v_mad_u64_u32 v[77:78], null, s6, v45, s[8:9]
	v_mul_lo_u32 v109, s7, v45
	v_mad_u64_u32 v[107:108], null, s6, v45, s[10:11]
	v_mul_lo_u32 v44, s6, v27
	v_mul_lo_u32 v45, s7, v29
	v_mad_u64_u32 v[27:28], null, s6, v29, 0
	v_add_co_ci_u32_e32 v152, vcc_lo, s11, v4, vcc_lo
	v_add_co_u32 v153, vcc_lo, s8, v5
	v_lshlrev_b64 v[3:4], 1, v[23:24]
	v_add3_u32 v26, v26, v42, v41
	v_add_co_ci_u32_e32 v154, vcc_lo, s9, v6, vcc_lo
	v_add_co_u32 v155, vcc_lo, s10, v5
	v_mul_lo_u32 v46, s6, v30
	v_mul_lo_u32 v47, s7, v43
	v_mad_u64_u32 v[29:30], null, s6, v43, 0
	v_add_co_ci_u32_e32 v156, vcc_lo, s11, v6, vcc_lo
	v_add_co_u32 v157, vcc_lo, s8, v3
	v_lshlrev_b64 v[5:6], 1, v[25:26]
	v_add3_u32 v28, v28, v44, v45
	v_add_co_ci_u32_e32 v158, vcc_lo, s9, v4, vcc_lo
	v_add_co_u32 v159, vcc_lo, s10, v3
	v_add_co_ci_u32_e32 v160, vcc_lo, s11, v4, vcc_lo
	v_add_co_u32 v161, vcc_lo, s8, v5
	v_lshlrev_b64 v[3:4], 1, v[27:28]
	v_add3_u32 v30, v30, v46, v47
	v_add_co_ci_u32_e32 v162, vcc_lo, s9, v6, vcc_lo
	v_add_co_u32 v163, vcc_lo, s10, v5
	v_add_co_ci_u32_e32 v164, vcc_lo, s11, v6, vcc_lo
	v_add_co_u32 v165, vcc_lo, s8, v3
	v_lshlrev_b64 v[5:6], 1, v[29:30]
	v_add_co_ci_u32_e32 v166, vcc_lo, s9, v4, vcc_lo
	v_add_co_u32 v167, vcc_lo, s10, v3
	v_add_co_ci_u32_e32 v168, vcc_lo, s11, v4, vcc_lo
	s_delay_alu instid0(VALU_DEP_4)
	v_add_co_u32 v169, vcc_lo, s8, v5
	v_lshlrev_b64 v[3:4], 1, v[1:2]
	v_mov_b32_e32 v2, 0
	v_add_co_ci_u32_e32 v170, vcc_lo, s9, v6, vcc_lo
	v_add_co_u32 v171, vcc_lo, s10, v5
	v_add_co_ci_u32_e32 v172, vcc_lo, s11, v6, vcc_lo
	v_add_nc_u32_e32 v1, s33, v173
	v_add_co_u32 v174, vcc_lo, s8, v3
	v_add_co_ci_u32_e32 v175, vcc_lo, s9, v4, vcc_lo
	v_add_co_u32 v176, vcc_lo, s10, v3
	v_add3_u32 v78, v109, v78, v48
	v_add3_u32 v108, v109, v108, v48
	s_mul_i32 s8, s7, s15
	s_mul_hi_u32 s9, s6, s15
	v_lshlrev_b64 v[109:110], 1, v[1:2]
	v_add_co_ci_u32_e32 v177, vcc_lo, s11, v4, vcc_lo
	s_add_i32 s9, s9, s8
	s_mul_i32 s8, s6, s15
	s_mov_b32 s16, 0
	s_lshl_b64 s[8:9], s[8:9], 1
.LBB174_85:                             ; =>This Inner Loop Header: Depth=1
	v_cmp_ge_i64_e64 s10, s[36:37], s[4:5]
	v_add_co_u32 v179, s11, v112, s36
	s_delay_alu instid0(VALU_DEP_1) | instskip(NEXT) | instid1(VALU_DEP_3)
	v_add_co_ci_u32_e64 v180, null, 0, s37, s11
	s_and_b32 vcc_lo, exec_lo, s10
	s_cbranch_vccz .LBB174_123
; %bb.86:                               ;   in Loop: Header=BB174_85 Depth=1
	s_load_b32 s10, s[2:3], 0xc
	v_mov_b32_e32 v181, 0
	s_waitcnt lgkmcnt(0)
	s_and_b32 s10, s10, 0xffff
	s_delay_alu instid0(SALU_CYCLE_1) | instskip(SKIP_1) | instid1(VALU_DEP_1)
	v_mad_u32_u24 v1, v111, s10, v173
	s_mov_b32 s10, exec_lo
	v_and_b32_e32 v1, 31, v1
	s_delay_alu instid0(VALU_DEP_1)
	v_cmpx_gt_u32_e32 16, v1
	s_cbranch_execz .LBB174_90
; %bb.87:                               ;   in Loop: Header=BB174_85 Depth=1
	v_add_co_u32 v1, vcc_lo, v179, v1
	v_add_co_ci_u32_e32 v4, vcc_lo, 0, v180, vcc_lo
	v_mov_b32_e32 v181, 0
	s_delay_alu instid0(VALU_DEP_3) | instskip(NEXT) | instid1(VALU_DEP_3)
	v_add_co_u32 v3, vcc_lo, 0xffffff01, v1
	v_add_co_ci_u32_e32 v4, vcc_lo, -1, v4, vcc_lo
	s_mov_b32 s11, exec_lo
	s_delay_alu instid0(VALU_DEP_1)
	v_cmpx_gt_i64_e64 s[4:5], v[3:4]
	s_cbranch_execz .LBB174_89
; %bb.88:                               ;   in Loop: Header=BB174_85 Depth=1
	v_lshlrev_b64 v[3:4], 2, v[3:4]
	s_delay_alu instid0(VALU_DEP_1) | instskip(NEXT) | instid1(VALU_DEP_2)
	v_add_co_u32 v3, vcc_lo, s12, v3
	v_add_co_ci_u32_e32 v4, vcc_lo, s13, v4, vcc_lo
	global_load_b32 v181, v[3:4], off
.LBB174_89:                             ;   in Loop: Header=BB174_85 Depth=1
	s_or_b32 exec_lo, exec_lo, s11
.LBB174_90:                             ;   in Loop: Header=BB174_85 Depth=1
	s_delay_alu instid0(SALU_CYCLE_1)
	s_or_b32 exec_lo, exec_lo, s10
	s_mov_b32 s31, s16
	s_mov_b32 s17, s16
	;; [unrolled: 1-line block ×15, first 2 shown]
	s_delay_alu instid0(SALU_CYCLE_1)
	v_dual_mov_b32 v32, s31 :: v_dual_mov_b32 v31, s30
	v_dual_mov_b32 v30, s29 :: v_dual_mov_b32 v29, s28
	;; [unrolled: 1-line block ×8, first 2 shown]
	v_add_co_u32 v3, vcc_lo, 0xffffff01, v179
	v_dual_mov_b32 v48, v32 :: v_dual_mov_b32 v47, v31
	v_add_co_ci_u32_e32 v4, vcc_lo, -1, v180, vcc_lo
	v_dual_mov_b32 v46, v30 :: v_dual_mov_b32 v45, v29
	v_dual_mov_b32 v44, v28 :: v_dual_mov_b32 v43, v27
	v_dual_mov_b32 v42, v26 :: v_dual_mov_b32 v41, v25
	v_dual_mov_b32 v40, v24 :: v_dual_mov_b32 v39, v23
	v_dual_mov_b32 v38, v22 :: v_dual_mov_b32 v37, v21
	v_dual_mov_b32 v36, v20 :: v_dual_mov_b32 v35, v19
	v_dual_mov_b32 v34, v18 :: v_dual_mov_b32 v33, v17
	s_mov_b32 s10, exec_lo
	v_cmpx_gt_i64_e64 s[4:5], v[3:4]
	s_cbranch_execz .LBB174_92
; %bb.91:                               ;   in Loop: Header=BB174_85 Depth=1
	v_add_co_u32 v3, vcc_lo, v113, v109
	v_add_co_ci_u32_e32 v4, vcc_lo, v114, v110, vcc_lo
	v_add_co_u32 v5, vcc_lo, v115, v109
	v_add_co_ci_u32_e32 v6, vcc_lo, v116, v110, vcc_lo
	v_mov_b32_e32 v16, v2
	global_load_u16 v1, v[3:4], off
	global_load_u16 v17, v[5:6], off
	v_mov_b32_e32 v3, v2
	v_mov_b32_e32 v4, v2
	;; [unrolled: 1-line block ×17, first 2 shown]
	s_waitcnt vmcnt(1)
	v_cvt_f32_f16_e32 v1, v1
	v_dual_mov_b32 v19, v2 :: v_dual_mov_b32 v48, v16
	v_dual_mov_b32 v18, v2 :: v_dual_mov_b32 v47, v15
	;; [unrolled: 1-line block ×9, first 2 shown]
	s_waitcnt vmcnt(0)
	v_cvt_f32_f16_e32 v17, v17
	v_dual_mov_b32 v28, v2 :: v_dual_mov_b32 v37, v5
	v_dual_mov_b32 v30, v2 :: v_dual_mov_b32 v35, v3
	;; [unrolled: 1-line block ×3, first 2 shown]
	v_mov_b32_e32 v42, v10
	v_mov_b32_e32 v38, v6
	;; [unrolled: 1-line block ×3, first 2 shown]
.LBB174_92:                             ;   in Loop: Header=BB174_85 Depth=1
	s_or_b32 exec_lo, exec_lo, s10
	v_add_co_u32 v3, vcc_lo, 0xffffff02, v179
	v_add_co_ci_u32_e32 v4, vcc_lo, -1, v180, vcc_lo
	s_mov_b32 s10, exec_lo
	s_delay_alu instid0(VALU_DEP_1)
	v_cmpx_gt_i64_e64 s[4:5], v[3:4]
	s_cbranch_execz .LBB174_94
; %bb.93:                               ;   in Loop: Header=BB174_85 Depth=1
	v_add_co_u32 v3, vcc_lo, v174, v109
	v_add_co_ci_u32_e32 v4, vcc_lo, v175, v110, vcc_lo
	v_add_co_u32 v5, vcc_lo, v176, v109
	v_add_co_ci_u32_e32 v6, vcc_lo, v177, v110, vcc_lo
	global_load_u16 v1, v[3:4], off
	global_load_u16 v3, v[5:6], off
	s_waitcnt vmcnt(1)
	v_cvt_f32_f16_e32 v34, v1
	s_waitcnt vmcnt(0)
	v_cvt_f32_f16_e32 v18, v3
.LBB174_94:                             ;   in Loop: Header=BB174_85 Depth=1
	s_or_b32 exec_lo, exec_lo, s10
	v_add_co_u32 v3, vcc_lo, 0xffffff03, v179
	v_add_co_ci_u32_e32 v4, vcc_lo, -1, v180, vcc_lo
	s_mov_b32 s10, exec_lo
	s_delay_alu instid0(VALU_DEP_1)
	v_cmpx_gt_i64_e64 s[4:5], v[3:4]
	s_cbranch_execz .LBB174_96
; %bb.95:                               ;   in Loop: Header=BB174_85 Depth=1
	v_add_co_u32 v3, vcc_lo, v169, v109
	v_add_co_ci_u32_e32 v4, vcc_lo, v170, v110, vcc_lo
	v_add_co_u32 v5, vcc_lo, v171, v109
	v_add_co_ci_u32_e32 v6, vcc_lo, v172, v110, vcc_lo
	global_load_u16 v1, v[3:4], off
	global_load_u16 v3, v[5:6], off
	s_waitcnt vmcnt(1)
	v_cvt_f32_f16_e32 v35, v1
	s_waitcnt vmcnt(0)
	v_cvt_f32_f16_e32 v19, v3
.LBB174_96:                             ;   in Loop: Header=BB174_85 Depth=1
	;; [unrolled: 19-line block ×3, first 2 shown]
	s_or_b32 exec_lo, exec_lo, s10
	v_add_co_u32 v3, vcc_lo, 0xffffff05, v179
	v_add_co_ci_u32_e32 v4, vcc_lo, -1, v180, vcc_lo
	s_mov_b32 s10, exec_lo
	s_delay_alu instid0(VALU_DEP_1)
	v_cmpx_gt_i64_e64 s[4:5], v[3:4]
	s_cbranch_execz .LBB174_100
; %bb.99:                               ;   in Loop: Header=BB174_85 Depth=1
	v_add_co_u32 v3, vcc_lo, v161, v109
	v_add_co_ci_u32_e32 v4, vcc_lo, v162, v110, vcc_lo
	v_add_co_u32 v5, vcc_lo, v163, v109
	v_add_co_ci_u32_e32 v6, vcc_lo, v164, v110, vcc_lo
	global_load_u16 v1, v[3:4], off
	global_load_u16 v3, v[5:6], off
	s_waitcnt vmcnt(1)
	v_cvt_f32_f16_e32 v37, v1
	s_waitcnt vmcnt(0)
	v_cvt_f32_f16_e32 v21, v3
.LBB174_100:                            ;   in Loop: Header=BB174_85 Depth=1
	s_or_b32 exec_lo, exec_lo, s10
	v_add_co_u32 v3, vcc_lo, 0xffffff06, v179
	v_add_co_ci_u32_e32 v4, vcc_lo, -1, v180, vcc_lo
	s_mov_b32 s10, exec_lo
	s_delay_alu instid0(VALU_DEP_1)
	v_cmpx_gt_i64_e64 s[4:5], v[3:4]
	s_cbranch_execz .LBB174_102
; %bb.101:                              ;   in Loop: Header=BB174_85 Depth=1
	v_add_co_u32 v3, vcc_lo, v157, v109
	v_add_co_ci_u32_e32 v4, vcc_lo, v158, v110, vcc_lo
	v_add_co_u32 v5, vcc_lo, v159, v109
	v_add_co_ci_u32_e32 v6, vcc_lo, v160, v110, vcc_lo
	global_load_u16 v1, v[3:4], off
	global_load_u16 v3, v[5:6], off
	s_waitcnt vmcnt(1)
	v_cvt_f32_f16_e32 v38, v1
	s_waitcnt vmcnt(0)
	v_cvt_f32_f16_e32 v22, v3
.LBB174_102:                            ;   in Loop: Header=BB174_85 Depth=1
	s_or_b32 exec_lo, exec_lo, s10
	v_add_co_u32 v3, vcc_lo, 0xffffff07, v179
	v_add_co_ci_u32_e32 v4, vcc_lo, -1, v180, vcc_lo
	s_mov_b32 s10, exec_lo
	s_delay_alu instid0(VALU_DEP_1)
	v_cmpx_gt_i64_e64 s[4:5], v[3:4]
	s_cbranch_execz .LBB174_104
; %bb.103:                              ;   in Loop: Header=BB174_85 Depth=1
	v_add_co_u32 v3, vcc_lo, v153, v109
	v_add_co_ci_u32_e32 v4, vcc_lo, v154, v110, vcc_lo
	v_add_co_u32 v5, vcc_lo, v155, v109
	v_add_co_ci_u32_e32 v6, vcc_lo, v156, v110, vcc_lo
	global_load_u16 v1, v[3:4], off
	global_load_u16 v3, v[5:6], off
	s_waitcnt vmcnt(1)
	v_cvt_f32_f16_e32 v39, v1
	s_waitcnt vmcnt(0)
	v_cvt_f32_f16_e32 v23, v3
.LBB174_104:                            ;   in Loop: Header=BB174_85 Depth=1
	;; [unrolled: 19-line block ×11, first 2 shown]
	s_or_b32 exec_lo, exec_lo, s10
	s_waitcnt vmcnt(0)
	ds_bpermute_b32 v1, v2, v181
	ds_bpermute_b32 v3, v2, v181 offset:4
	ds_bpermute_b32 v4, v2, v181 offset:8
	v_mul_f32_e32 v5, v17, v33
	ds_bpermute_b32 v6, v2, v181 offset:12
	v_mul_f32_e32 v7, v18, v34
	ds_bpermute_b32 v8, v2, v181 offset:16
	ds_bpermute_b32 v9, v2, v181 offset:20
	s_waitcnt lgkmcnt(5)
	v_fma_f32 v1, v5, v1, v178
	v_mul_f32_e32 v5, v19, v35
	s_waitcnt lgkmcnt(4)
	s_delay_alu instid0(VALU_DEP_2)
	v_fmac_f32_e32 v1, v7, v3
	v_mul_f32_e32 v3, v20, v36
	ds_bpermute_b32 v7, v2, v181 offset:24
	s_waitcnt lgkmcnt(4)
	v_fmac_f32_e32 v1, v5, v4
	v_mul_f32_e32 v4, v21, v37
	ds_bpermute_b32 v5, v2, v181 offset:28
	s_waitcnt lgkmcnt(4)
	;; [unrolled: 4-line block ×3, first 2 shown]
	v_dual_fmac_f32 v1, v4, v8 :: v_dual_mul_f32 v4, v23, v39
	ds_bpermute_b32 v8, v2, v181 offset:36
	s_waitcnt lgkmcnt(4)
	v_fmac_f32_e32 v1, v3, v9
	v_mul_f32_e32 v3, v24, v40
	ds_bpermute_b32 v9, v2, v181 offset:40
	s_waitcnt lgkmcnt(4)
	v_dual_fmac_f32 v1, v4, v7 :: v_dual_mul_f32 v4, v25, v41
	ds_bpermute_b32 v7, v2, v181 offset:44
	s_waitcnt lgkmcnt(4)
	v_fmac_f32_e32 v1, v3, v5
	v_mul_f32_e32 v3, v26, v42
	ds_bpermute_b32 v5, v2, v181 offset:48
	s_waitcnt lgkmcnt(4)
	;; [unrolled: 7-line block ×3, first 2 shown]
	v_fmac_f32_e32 v1, v4, v9
	s_waitcnt lgkmcnt(3)
	s_delay_alu instid0(VALU_DEP_1)
	v_dual_mul_f32 v4, v29, v45 :: v_dual_fmac_f32 v1, v3, v7
	ds_bpermute_b32 v3, v2, v181 offset:60
	v_mul_f32_e32 v7, v30, v46
	s_waitcnt lgkmcnt(3)
	v_dual_fmac_f32 v1, v4, v5 :: v_dual_mul_f32 v4, v31, v47
	s_waitcnt lgkmcnt(2)
	s_delay_alu instid0(VALU_DEP_1) | instskip(SKIP_1) | instid1(VALU_DEP_1)
	v_fmac_f32_e32 v1, v7, v6
	s_waitcnt lgkmcnt(1)
	v_fmac_f32_e32 v1, v4, v8
	v_mul_f32_e32 v4, v32, v48
	s_waitcnt lgkmcnt(0)
	s_delay_alu instid0(VALU_DEP_1)
	v_fmac_f32_e32 v1, v4, v3
	s_branch .LBB174_129
.LBB174_123:                            ;   in Loop: Header=BB174_85 Depth=1
                                        ; implicit-def: $vgpr1
	s_cbranch_execz .LBB174_129
; %bb.124:                              ;   in Loop: Header=BB174_85 Depth=1
	s_load_b32 s10, s[2:3], 0x0
	s_waitcnt lgkmcnt(0)
	s_cmp_lt_u32 s14, s10
	s_cselect_b32 s10, 12, 18
	s_delay_alu instid0(SALU_CYCLE_1)
	s_add_u32 s10, s2, s10
	s_addc_u32 s11, s3, 0
	global_load_u16 v1, v2, s[10:11]
	s_mov_b32 s10, exec_lo
	s_waitcnt vmcnt(0)
	v_mad_u32_u24 v1, v111, v1, v173
	s_delay_alu instid0(VALU_DEP_1) | instskip(SKIP_1) | instid1(VALU_DEP_2)
	v_and_b32_e32 v3, 31, v1
	v_mov_b32_e32 v1, 0
	v_cmpx_gt_u32_e32 16, v3
	s_cbranch_execz .LBB174_128
; %bb.125:                              ;   in Loop: Header=BB174_85 Depth=1
	v_add_co_u32 v1, vcc_lo, v179, v3
	v_add_co_ci_u32_e32 v4, vcc_lo, 0, v180, vcc_lo
	s_mov_b32 s11, exec_lo
	s_delay_alu instid0(VALU_DEP_2) | instskip(NEXT) | instid1(VALU_DEP_2)
	v_add_co_u32 v3, vcc_lo, 0xffffff01, v1
	v_add_co_ci_u32_e32 v4, vcc_lo, -1, v4, vcc_lo
	v_mov_b32_e32 v1, 0
	s_delay_alu instid0(VALU_DEP_2)
	v_cmpx_gt_i64_e64 s[4:5], v[3:4]
	s_cbranch_execz .LBB174_127
; %bb.126:                              ;   in Loop: Header=BB174_85 Depth=1
	v_lshlrev_b64 v[3:4], 2, v[3:4]
	s_delay_alu instid0(VALU_DEP_1) | instskip(NEXT) | instid1(VALU_DEP_2)
	v_add_co_u32 v3, vcc_lo, s12, v3
	v_add_co_ci_u32_e32 v4, vcc_lo, s13, v4, vcc_lo
	global_load_b32 v1, v[3:4], off
.LBB174_127:                            ;   in Loop: Header=BB174_85 Depth=1
	s_or_b32 exec_lo, exec_lo, s11
.LBB174_128:                            ;   in Loop: Header=BB174_85 Depth=1
	s_delay_alu instid0(SALU_CYCLE_1)
	s_or_b32 exec_lo, exec_lo, s10
	v_add_co_u32 v3, vcc_lo, v113, v109
	v_add_co_ci_u32_e32 v4, vcc_lo, v114, v110, vcc_lo
	global_load_u16 v3, v[3:4], off
	s_waitcnt vmcnt(0)
	v_cvt_f32_f16_e32 v5, v3
	v_add_co_u32 v3, vcc_lo, v115, v109
	v_add_co_ci_u32_e32 v4, vcc_lo, v116, v110, vcc_lo
	global_load_u16 v3, v[3:4], off
	s_waitcnt vmcnt(0)
	v_cvt_f32_f16_e32 v6, v3
	;; [unrolled: 5-line block ×31, first 2 shown]
	v_add_co_u32 v3, vcc_lo, v107, v109
	v_add_co_ci_u32_e32 v4, vcc_lo, v108, v110, vcc_lo
	global_load_u16 v3, v[3:4], off
	ds_bpermute_b32 v4, v2, v1
	s_waitcnt vmcnt(0)
	v_cvt_f32_f16_e32 v3, v3
	s_delay_alu instid0(VALU_DEP_1) | instskip(SKIP_2) | instid1(VALU_DEP_1)
	v_mul_f32_e32 v3, v35, v3
	v_mul_f32_e32 v5, v5, v6
	s_waitcnt lgkmcnt(0)
	v_fmac_f32_e32 v178, v5, v4
	ds_bpermute_b32 v4, v2, v1 offset:4
	v_mul_f32_e32 v5, v7, v8
	s_waitcnt lgkmcnt(0)
	s_delay_alu instid0(VALU_DEP_1) | instskip(SKIP_3) | instid1(VALU_DEP_1)
	v_fmac_f32_e32 v178, v5, v4
	ds_bpermute_b32 v4, v2, v1 offset:8
	v_mul_f32_e32 v5, v9, v10
	s_waitcnt lgkmcnt(0)
	v_fmac_f32_e32 v178, v5, v4
	ds_bpermute_b32 v4, v2, v1 offset:12
	v_mul_f32_e32 v5, v11, v12
	s_waitcnt lgkmcnt(0)
	s_delay_alu instid0(VALU_DEP_1) | instskip(SKIP_3) | instid1(VALU_DEP_1)
	v_fmac_f32_e32 v178, v5, v4
	ds_bpermute_b32 v4, v2, v1 offset:16
	;; [unrolled: 9-line block ×6, first 2 shown]
	v_mul_f32_e32 v5, v29, v30
	s_waitcnt lgkmcnt(0)
	v_fmac_f32_e32 v178, v5, v4
	ds_bpermute_b32 v4, v2, v1 offset:52
	v_mul_f32_e32 v5, v31, v32
	s_waitcnt lgkmcnt(0)
	s_delay_alu instid0(VALU_DEP_1) | instskip(SKIP_4) | instid1(VALU_DEP_1)
	v_fmac_f32_e32 v178, v5, v4
	ds_bpermute_b32 v4, v2, v1 offset:56
	ds_bpermute_b32 v1, v2, v1 offset:60
	v_mul_f32_e32 v5, v33, v34
	s_waitcnt lgkmcnt(1)
	v_fmac_f32_e32 v178, v5, v4
	s_waitcnt lgkmcnt(0)
	s_delay_alu instid0(VALU_DEP_1) | instskip(NEXT) | instid1(VALU_DEP_1)
	v_fmac_f32_e32 v178, v3, v1
	v_mov_b32_e32 v1, v178
.LBB174_129:                            ;   in Loop: Header=BB174_85 Depth=1
	v_add_co_u32 v49, vcc_lo, v49, s8
	v_add_co_ci_u32_e32 v50, vcc_lo, s9, v50, vcc_lo
	v_add_co_u32 v51, vcc_lo, v51, s8
	v_add_co_ci_u32_e32 v52, vcc_lo, s9, v52, vcc_lo
	;; [unrolled: 2-line block ×59, first 2 shown]
	v_add_co_u32 v171, vcc_lo, v171, s8
	s_add_u32 s34, s34, s15
	v_add_co_ci_u32_e32 v172, vcc_lo, s9, v172, vcc_lo
	s_addc_u32 s35, s35, 0
	v_add_co_u32 v174, vcc_lo, v174, s8
	v_cmp_ge_i64_e64 s10, s[34:35], s[4:5]
	v_add_co_ci_u32_e32 v175, vcc_lo, s9, v175, vcc_lo
	v_add_co_u32 v176, vcc_lo, v176, s8
	v_add_co_ci_u32_e32 v177, vcc_lo, s9, v177, vcc_lo
	s_add_u32 s36, s36, s15
	s_addc_u32 s37, s37, 0
	s_and_b32 vcc_lo, exec_lo, s10
	s_cbranch_vccnz .LBB174_131
; %bb.130:                              ;   in Loop: Header=BB174_85 Depth=1
	v_mov_b32_e32 v178, v1
	s_branch .LBB174_85
.LBB174_131:
	v_and_b32_e32 v4, 0x3ff, v0
	v_bfe_u32 v0, v0, 10, 10
	s_mov_b32 s15, 0
	s_mov_b32 s2, exec_lo
	s_delay_alu instid0(VALU_DEP_1) | instskip(NEXT) | instid1(VALU_DEP_1)
	v_mad_u32_u24 v2, 0x41, v0, v4
	v_sub_nc_u32_e32 v0, v2, v0
	v_lshl_add_u32 v3, v2, 2, 0
	v_mov_b32_e32 v2, 0
	ds_store_b32 v3, v1
	ds_store_b32 v3, v2 offset:4160
	s_waitcnt lgkmcnt(0)
	s_barrier
	buffer_gl0_inv
	v_cmpx_gt_u32_e32 0x800, v0
	s_cbranch_execz .LBB174_138
; %bb.132:
	v_mbcnt_lo_u32_b32 v5, -1, 0
	v_lshrrev_b32_e32 v3, 5, v0
	s_load_b64 s[8:9], s[0:1], 0x30
	v_and_b32_e32 v1, 31, v4
	v_cmp_ne_u32_e32 vcc_lo, 0, v4
	v_xor_b32_e32 v0, 8, v5
	v_xor_b32_e32 v4, 4, v5
	;; [unrolled: 1-line block ×4, first 2 shown]
	s_lshl_b64 s[4:5], s[14:15], 6
	v_cmp_gt_i32_e64 s1, 32, v0
	v_cmp_gt_u32_e64 s0, 16, v1
	v_mul_u32_u24_e32 v1, 0x104, v1
	v_lshlrev_b32_e32 v9, 1, v3
	s_delay_alu instid0(VALU_DEP_4) | instskip(SKIP_1) | instid1(VALU_DEP_1)
	v_cndmask_b32_e64 v0, v5, v0, s1
	v_cmp_gt_i32_e64 s1, 32, v4
	v_cndmask_b32_e64 v8, v5, v4, s1
	v_cmp_gt_i32_e64 s1, 32, v6
	s_waitcnt lgkmcnt(0)
	s_cmp_eq_u64 s[8:9], 0
	v_lshlrev_b32_e32 v4, 2, v0
	v_lshlrev_b32_e32 v0, 2, v3
	s_cselect_b32 s3, -1, 0
	v_cndmask_b32_e64 v6, v5, v6, s1
	v_cmp_gt_i32_e64 s1, 32, v7
	s_lshl_b64 s[10:11], s[14:15], 7
	s_delay_alu instid0(VALU_DEP_2) | instskip(NEXT) | instid1(VALU_DEP_2)
	v_lshlrev_b32_e32 v6, 2, v6
	v_cndmask_b32_e64 v7, v5, v7, s1
	s_add_u32 s1, s8, s10
	v_lshlrev_b32_e32 v5, 2, v8
	v_add3_u32 v8, v1, v0, 0
	s_addc_u32 s2, s9, s11
	v_add_co_u32 v0, s1, s1, v9
	v_lshlrev_b32_e32 v7, 2, v7
	v_add_co_ci_u32_e64 v1, null, s2, 0, s1
                                        ; implicit-def: $vgpr9
	s_branch .LBB174_134
.LBB174_133:                            ;   in Loop: Header=BB174_134 Depth=1
	s_or_b32 exec_lo, exec_lo, s1
	v_add_co_u32 v3, s1, v3, 32
	s_delay_alu instid0(VALU_DEP_1) | instskip(SKIP_1) | instid1(VALU_DEP_3)
	v_add_co_ci_u32_e64 v2, s1, 0, v2, s1
	v_add_co_u32 v0, s2, v0, 64
	v_subrev_nc_u32_e32 v10, 32, v3
	v_add_nc_u32_e32 v8, 0x80, v8
	v_add_co_ci_u32_e64 v1, s2, 0, v1, s2
	s_delay_alu instid0(VALU_DEP_3) | instskip(NEXT) | instid1(VALU_DEP_1)
	v_cmp_lt_u32_e64 s1, 31, v10
	s_or_b32 s15, s1, s15
	s_delay_alu instid0(SALU_CYCLE_1)
	s_and_not1_b32 exec_lo, exec_lo, s15
	s_cbranch_execz .LBB174_138
.LBB174_134:                            ; =>This Inner Loop Header: Depth=1
	s_and_saveexec_b32 s1, s0
	s_cbranch_execz .LBB174_136
; %bb.135:                              ;   in Loop: Header=BB174_134 Depth=1
	ds_load_b32 v9, v8
.LBB174_136:                            ;   in Loop: Header=BB174_134 Depth=1
	s_or_b32 exec_lo, exec_lo, s1
	s_waitcnt lgkmcnt(0)
	ds_bpermute_b32 v10, v4, v9
	s_waitcnt lgkmcnt(0)
	v_add_f32_e32 v9, v9, v10
	ds_bpermute_b32 v10, v5, v9
	s_waitcnt lgkmcnt(0)
	v_add_f32_e32 v9, v9, v10
	;; [unrolled: 3-line block ×3, first 2 shown]
	v_add_co_u32 v9, s1, s4, v3
	s_delay_alu instid0(VALU_DEP_1) | instskip(SKIP_2) | instid1(VALU_DEP_1)
	v_add_co_ci_u32_e64 v10, s1, s5, v2, s1
	ds_bpermute_b32 v12, v7, v11
	v_cmp_le_i64_e64 s1, s[6:7], v[9:10]
	s_or_b32 s1, vcc_lo, s1
	s_delay_alu instid0(SALU_CYCLE_1) | instskip(NEXT) | instid1(SALU_CYCLE_1)
	s_or_b32 s1, s3, s1
	s_xor_b32 s2, s1, -1
	s_waitcnt lgkmcnt(0)
	v_add_f32_e32 v9, v11, v12
	s_and_saveexec_b32 s1, s2
	s_cbranch_execz .LBB174_133
; %bb.137:                              ;   in Loop: Header=BB174_134 Depth=1
	s_delay_alu instid0(VALU_DEP_1)
	v_cvt_f16_f32_e32 v10, v9
	global_store_b16 v[0:1], v10, off
	s_branch .LBB174_133
.LBB174_138:
	s_nop 0
	s_sendmsg sendmsg(MSG_DEALLOC_VGPRS)
	s_endpgm
	.section	.rodata,"a",@progbits
	.p2align	6, 0x0
	.amdhsa_kernel _ZN2at6native12_GLOBAL__N_135GammaBetaBackwardCUDAKernelTemplateIN3c104HalfEfLj64ELj16ELj256ELb0ELb0ELb1EEEvllPKT_S7_PKT0_SA_PS5_SB_
		.amdhsa_group_segment_fixed_size 0
		.amdhsa_private_segment_fixed_size 0
		.amdhsa_kernarg_size 320
		.amdhsa_user_sgpr_count 14
		.amdhsa_user_sgpr_dispatch_ptr 0
		.amdhsa_user_sgpr_queue_ptr 0
		.amdhsa_user_sgpr_kernarg_segment_ptr 1
		.amdhsa_user_sgpr_dispatch_id 0
		.amdhsa_user_sgpr_private_segment_size 0
		.amdhsa_wavefront_size32 1
		.amdhsa_uses_dynamic_stack 0
		.amdhsa_enable_private_segment 0
		.amdhsa_system_sgpr_workgroup_id_x 1
		.amdhsa_system_sgpr_workgroup_id_y 1
		.amdhsa_system_sgpr_workgroup_id_z 0
		.amdhsa_system_sgpr_workgroup_info 0
		.amdhsa_system_vgpr_workitem_id 1
		.amdhsa_next_free_vgpr 182
		.amdhsa_next_free_sgpr 45
		.amdhsa_reserve_vcc 1
		.amdhsa_float_round_mode_32 0
		.amdhsa_float_round_mode_16_64 0
		.amdhsa_float_denorm_mode_32 3
		.amdhsa_float_denorm_mode_16_64 3
		.amdhsa_dx10_clamp 1
		.amdhsa_ieee_mode 1
		.amdhsa_fp16_overflow 0
		.amdhsa_workgroup_processor_mode 1
		.amdhsa_memory_ordered 1
		.amdhsa_forward_progress 0
		.amdhsa_shared_vgpr_count 0
		.amdhsa_exception_fp_ieee_invalid_op 0
		.amdhsa_exception_fp_denorm_src 0
		.amdhsa_exception_fp_ieee_div_zero 0
		.amdhsa_exception_fp_ieee_overflow 0
		.amdhsa_exception_fp_ieee_underflow 0
		.amdhsa_exception_fp_ieee_inexact 0
		.amdhsa_exception_int_div_zero 0
	.end_amdhsa_kernel
	.section	.text._ZN2at6native12_GLOBAL__N_135GammaBetaBackwardCUDAKernelTemplateIN3c104HalfEfLj64ELj16ELj256ELb0ELb0ELb1EEEvllPKT_S7_PKT0_SA_PS5_SB_,"axG",@progbits,_ZN2at6native12_GLOBAL__N_135GammaBetaBackwardCUDAKernelTemplateIN3c104HalfEfLj64ELj16ELj256ELb0ELb0ELb1EEEvllPKT_S7_PKT0_SA_PS5_SB_,comdat
.Lfunc_end174:
	.size	_ZN2at6native12_GLOBAL__N_135GammaBetaBackwardCUDAKernelTemplateIN3c104HalfEfLj64ELj16ELj256ELb0ELb0ELb1EEEvllPKT_S7_PKT0_SA_PS5_SB_, .Lfunc_end174-_ZN2at6native12_GLOBAL__N_135GammaBetaBackwardCUDAKernelTemplateIN3c104HalfEfLj64ELj16ELj256ELb0ELb0ELb1EEEvllPKT_S7_PKT0_SA_PS5_SB_
                                        ; -- End function
	.section	.AMDGPU.csdata,"",@progbits
; Kernel info:
; codeLenInByte = 14016
; NumSgprs: 47
; NumVgprs: 182
; ScratchSize: 0
; MemoryBound: 0
; FloatMode: 240
; IeeeMode: 1
; LDSByteSize: 0 bytes/workgroup (compile time only)
; SGPRBlocks: 5
; VGPRBlocks: 22
; NumSGPRsForWavesPerEU: 47
; NumVGPRsForWavesPerEU: 182
; Occupancy: 8
; WaveLimiterHint : 0
; COMPUTE_PGM_RSRC2:SCRATCH_EN: 0
; COMPUTE_PGM_RSRC2:USER_SGPR: 14
; COMPUTE_PGM_RSRC2:TRAP_HANDLER: 0
; COMPUTE_PGM_RSRC2:TGID_X_EN: 1
; COMPUTE_PGM_RSRC2:TGID_Y_EN: 1
; COMPUTE_PGM_RSRC2:TGID_Z_EN: 0
; COMPUTE_PGM_RSRC2:TIDIG_COMP_CNT: 1
	.section	.text._ZN2at6native12_GLOBAL__N_135GammaBetaBackwardCUDAKernelTemplateIN3c104HalfEfLj32ELj1ELj32ELb1ELb1ELb1EEEvllPKT_S7_PKT0_SA_PS5_SB_,"axG",@progbits,_ZN2at6native12_GLOBAL__N_135GammaBetaBackwardCUDAKernelTemplateIN3c104HalfEfLj32ELj1ELj32ELb1ELb1ELb1EEEvllPKT_S7_PKT0_SA_PS5_SB_,comdat
	.globl	_ZN2at6native12_GLOBAL__N_135GammaBetaBackwardCUDAKernelTemplateIN3c104HalfEfLj32ELj1ELj32ELb1ELb1ELb1EEEvllPKT_S7_PKT0_SA_PS5_SB_ ; -- Begin function _ZN2at6native12_GLOBAL__N_135GammaBetaBackwardCUDAKernelTemplateIN3c104HalfEfLj32ELj1ELj32ELb1ELb1ELb1EEEvllPKT_S7_PKT0_SA_PS5_SB_
	.p2align	8
	.type	_ZN2at6native12_GLOBAL__N_135GammaBetaBackwardCUDAKernelTemplateIN3c104HalfEfLj32ELj1ELj32ELb1ELb1ELb1EEEvllPKT_S7_PKT0_SA_PS5_SB_,@function
_ZN2at6native12_GLOBAL__N_135GammaBetaBackwardCUDAKernelTemplateIN3c104HalfEfLj32ELj1ELj32ELb1ELb1ELb1EEEvllPKT_S7_PKT0_SA_PS5_SB_: ; @_ZN2at6native12_GLOBAL__N_135GammaBetaBackwardCUDAKernelTemplateIN3c104HalfEfLj32ELj1ELj32ELb1ELb1ELb1EEEvllPKT_S7_PKT0_SA_PS5_SB_
; %bb.0:
	s_clause 0x1
	s_load_b128 s[4:7], s[0:1], 0x0
	s_load_b64 s[2:3], s[0:1], 0x30
	s_mov_b32 s13, 0
	s_lshl_b32 s12, s15, 5
	v_mov_b32_e32 v3, 0
	v_bfe_u32 v1, v0, 10, 10
	v_and_b32_e32 v0, 0x3ff, v0
	s_waitcnt lgkmcnt(0)
	v_cmp_ge_i64_e64 s8, s[12:13], s[4:5]
	s_delay_alu instid0(VALU_DEP_1)
	s_and_b32 vcc_lo, exec_lo, s8
	s_cbranch_vccnz .LBB175_6
; %bb.1:
	s_clause 0x3
	s_load_b32 s16, s[0:1], 0x4c
	s_load_b32 s17, s[0:1], 0x44
	s_load_b128 s[8:11], s[0:1], 0x10
	s_load_b64 s[18:19], s[0:1], 0x28
	v_dual_mov_b32 v3, 0 :: v_dual_lshlrev_b32 v4, 5, v1
	v_lshl_or_b32 v2, s14, 5, v0
	v_dual_mov_b32 v8, 4 :: v_dual_mov_b32 v9, 8
	v_dual_mov_b32 v10, 12 :: v_dual_mov_b32 v11, 16
	;; [unrolled: 1-line block ×7, first 2 shown]
	s_waitcnt lgkmcnt(0)
	s_and_b32 s16, s16, 0xffff
	v_dual_mov_b32 v22, 60 :: v_dual_mov_b32 v23, 64
	v_mad_u32_u24 v5, v1, s16, v0
	v_add_co_u32 v40, s16, v4, s12
	s_delay_alu instid0(VALU_DEP_1) | instskip(NEXT) | instid1(VALU_DEP_3)
	v_add_co_ci_u32_e64 v41, null, 0, 0, s16
	v_dual_mov_b32 v24, 0x44 :: v_dual_and_b32 v39, 31, v5
	s_delay_alu instid0(VALU_DEP_3) | instskip(NEXT) | instid1(VALU_DEP_3)
	v_mul_lo_u32 v6, s7, v40
	v_mul_lo_u32 v7, s6, v41
	v_mad_u64_u32 v[4:5], null, s6, v40, 0
	s_lshl_b32 s16, s17, 5
	v_mov_b32_e32 v25, 0x48
	s_mul_i32 s20, s7, s16
	s_mul_hi_u32 s21, s6, s16
	v_mov_b32_e32 v26, 0x4c
	v_mov_b32_e32 v27, 0x50
	s_delay_alu instid0(VALU_DEP_4)
	v_add3_u32 v5, v5, v7, v6
	v_mov_b32_e32 v28, 0x54
	v_mov_b32_e32 v29, 0x58
	;; [unrolled: 1-line block ×4, first 2 shown]
	v_lshlrev_b64 v[6:7], 1, v[4:5]
	v_add_co_u32 v4, vcc_lo, v40, v39
	v_add_co_ci_u32_e32 v5, vcc_lo, 0, v41, vcc_lo
	v_lshlrev_b64 v[39:40], 1, v[2:3]
	v_mov_b32_e32 v32, 0x64
	v_mov_b32_e32 v33, 0x68
	s_delay_alu instid0(VALU_DEP_4)
	v_lshlrev_b64 v[41:42], 2, v[4:5]
	v_mov_b32_e32 v34, 0x6c
	v_mov_b32_e32 v35, 0x70
	v_add_co_u32 v2, vcc_lo, v6, v39
	v_add_co_ci_u32_e32 v39, vcc_lo, v7, v40, vcc_lo
	v_mov_b32_e32 v40, 0
	v_add_co_u32 v6, vcc_lo, s18, v41
	v_mov_b32_e32 v36, 0x74
	v_mov_b32_e32 v37, 0x78
	;; [unrolled: 1-line block ×3, first 2 shown]
	v_add_co_ci_u32_e32 v7, vcc_lo, s19, v42, vcc_lo
	s_mov_b32 s17, s13
	s_add_i32 s21, s21, s20
	s_mul_i32 s20, s6, s16
	s_lshl_b64 s[22:23], s[6:7], 1
	s_lshl_b64 s[18:19], s[20:21], 1
	s_lshl_b64 s[20:21], s[16:17], 2
	s_branch .LBB175_3
.LBB175_2:                              ;   in Loop: Header=BB175_3 Depth=1
	s_or_b32 exec_lo, exec_lo, s17
	v_add_co_u32 v42, vcc_lo, s8, v2
	v_add_co_ci_u32_e32 v43, vcc_lo, s9, v39, vcc_lo
	v_add_co_u32 v44, vcc_lo, s10, v2
	v_add_co_ci_u32_e32 v45, vcc_lo, s11, v39, vcc_lo
	s_add_u32 s12, s12, s16
	global_load_u16 v52, v[42:43], off
	global_load_u16 v53, v[44:45], off
	v_add_co_u32 v42, vcc_lo, v42, s22
	v_add_co_ci_u32_e32 v43, vcc_lo, s23, v43, vcc_lo
	v_add_co_u32 v44, vcc_lo, v44, s22
	v_add_co_ci_u32_e32 v45, vcc_lo, s23, v45, vcc_lo
	global_load_u16 v54, v[42:43], off
	global_load_u16 v55, v[44:45], off
	v_add_co_u32 v42, vcc_lo, v42, s22
	v_add_co_ci_u32_e32 v43, vcc_lo, s23, v43, vcc_lo
	v_add_co_u32 v44, vcc_lo, v44, s22
	v_add_co_ci_u32_e32 v45, vcc_lo, s23, v45, vcc_lo
	;; [unrolled: 6-line block ×4, first 2 shown]
	global_load_u16 v60, v[42:43], off
	v_add_co_u32 v42, vcc_lo, v42, s22
	v_add_co_ci_u32_e32 v43, vcc_lo, s23, v43, vcc_lo
	v_add_co_u32 v46, vcc_lo, v44, s22
	v_add_co_ci_u32_e32 v47, vcc_lo, s23, v45, vcc_lo
	s_delay_alu instid0(VALU_DEP_4) | instskip(NEXT) | instid1(VALU_DEP_4)
	v_add_co_u32 v48, vcc_lo, v42, s22
	v_add_co_ci_u32_e32 v49, vcc_lo, s23, v43, vcc_lo
	s_delay_alu instid0(VALU_DEP_4) | instskip(NEXT) | instid1(VALU_DEP_4)
	v_add_co_u32 v50, vcc_lo, v46, s22
	v_add_co_ci_u32_e32 v51, vcc_lo, s23, v47, vcc_lo
	global_load_u16 v61, v[44:45], off
	global_load_u16 v62, v[42:43], off
	global_load_u16 v63, v[46:47], off
	global_load_u16 v64, v[48:49], off
	global_load_u16 v65, v[50:51], off
	v_add_co_u32 v42, vcc_lo, v48, s22
	v_add_co_ci_u32_e32 v43, vcc_lo, s23, v49, vcc_lo
	v_add_co_u32 v44, vcc_lo, v50, s22
	v_add_co_ci_u32_e32 v45, vcc_lo, s23, v51, vcc_lo
	global_load_u16 v66, v[42:43], off
	v_add_co_u32 v42, vcc_lo, v42, s22
	v_add_co_ci_u32_e32 v43, vcc_lo, s23, v43, vcc_lo
	v_add_co_u32 v46, vcc_lo, v44, s22
	v_add_co_ci_u32_e32 v47, vcc_lo, s23, v45, vcc_lo
	s_delay_alu instid0(VALU_DEP_4) | instskip(NEXT) | instid1(VALU_DEP_4)
	v_add_co_u32 v48, vcc_lo, v42, s22
	v_add_co_ci_u32_e32 v49, vcc_lo, s23, v43, vcc_lo
	s_delay_alu instid0(VALU_DEP_4) | instskip(NEXT) | instid1(VALU_DEP_4)
	v_add_co_u32 v50, vcc_lo, v46, s22
	v_add_co_ci_u32_e32 v51, vcc_lo, s23, v47, vcc_lo
	global_load_u16 v67, v[44:45], off
	global_load_u16 v68, v[42:43], off
	global_load_u16 v69, v[46:47], off
	global_load_u16 v70, v[48:49], off
	global_load_u16 v71, v[50:51], off
	v_add_co_u32 v42, vcc_lo, v48, s22
	v_add_co_ci_u32_e32 v43, vcc_lo, s23, v49, vcc_lo
	v_add_co_u32 v44, vcc_lo, v50, s22
	v_add_co_ci_u32_e32 v45, vcc_lo, s23, v51, vcc_lo
	;; [unrolled: 20-line block ×6, first 2 shown]
	global_load_u16 v48, v[42:43], off
	v_add_co_u32 v42, vcc_lo, v42, s22
	v_add_co_ci_u32_e32 v43, vcc_lo, s23, v43, vcc_lo
	v_add_co_u32 v46, vcc_lo, v44, s22
	v_add_co_ci_u32_e32 v47, vcc_lo, s23, v45, vcc_lo
	global_load_u16 v49, v[44:45], off
	v_add_co_u32 v44, vcc_lo, v42, s22
	v_add_co_ci_u32_e32 v45, vcc_lo, s23, v43, vcc_lo
	global_load_u16 v50, v[42:43], off
	global_load_u16 v51, v[46:47], off
	s_addc_u32 s13, s13, 0
	s_delay_alu instid0(SALU_CYCLE_1)
	v_cmp_lt_i64_e64 s17, s[12:13], s[4:5]
	s_waitcnt vmcnt(47)
	v_cvt_f32_f16_e32 v42, v52
	s_waitcnt vmcnt(46)
	v_cvt_f32_f16_e32 v43, v53
	global_load_u16 v52, v[44:45], off
	v_mul_f32_e32 v42, v42, v43
	ds_bpermute_b32 v43, v3, v41
	s_waitcnt lgkmcnt(0)
	v_fmac_f32_e32 v40, v42, v43
	v_add_co_u32 v42, vcc_lo, v46, s22
	v_add_co_ci_u32_e32 v43, vcc_lo, s23, v47, vcc_lo
	v_add_co_u32 v46, vcc_lo, v44, s22
	v_add_co_ci_u32_e32 v47, vcc_lo, s23, v45, vcc_lo
	s_waitcnt vmcnt(46)
	v_cvt_f32_f16_e32 v44, v54
	s_waitcnt vmcnt(45)
	v_cvt_f32_f16_e32 v45, v55
	global_load_u16 v53, v[42:43], off
	global_load_u16 v54, v[46:47], off
	v_mul_f32_e32 v44, v44, v45
	ds_bpermute_b32 v45, v8, v41
	s_waitcnt lgkmcnt(0)
	v_fmac_f32_e32 v40, v44, v45
	v_add_co_u32 v44, vcc_lo, v42, s22
	v_add_co_ci_u32_e32 v45, vcc_lo, s23, v43, vcc_lo
	v_add_co_u32 v42, vcc_lo, v46, s22
	v_add_co_ci_u32_e32 v43, vcc_lo, s23, v47, vcc_lo
	s_waitcnt vmcnt(46)
	v_cvt_f32_f16_e32 v46, v56
	s_waitcnt vmcnt(45)
	v_cvt_f32_f16_e32 v47, v57
	global_load_u16 v55, v[44:45], off
	;; [unrolled: 14-line block ×5, first 2 shown]
	global_load_u16 v62, v[42:43], off
	v_mul_f32_e32 v46, v46, v47
	ds_bpermute_b32 v47, v12, v41
	s_waitcnt vmcnt(14)
	v_cvt_f32_f16_e32 v48, v48
	s_waitcnt lgkmcnt(0)
	v_fmac_f32_e32 v40, v46, v47
	v_add_co_u32 v46, vcc_lo, v44, s22
	v_add_co_ci_u32_e32 v47, vcc_lo, s23, v45, vcc_lo
	v_add_co_u32 v44, vcc_lo, v42, s22
	v_add_co_ci_u32_e32 v45, vcc_lo, s23, v43, vcc_lo
	v_cvt_f32_f16_e32 v42, v64
	v_cvt_f32_f16_e32 v43, v65
	global_load_u16 v63, v[46:47], off
	global_load_u16 v64, v[44:45], off
	v_cvt_f32_f16_e32 v65, v69
	v_cvt_f32_f16_e32 v69, v72
	v_mul_f32_e32 v42, v42, v43
	ds_bpermute_b32 v43, v13, v41
	s_waitcnt vmcnt(14)
	v_cvt_f32_f16_e32 v50, v50
	s_waitcnt lgkmcnt(0)
	v_fmac_f32_e32 v40, v42, v43
	v_add_co_u32 v42, vcc_lo, v46, s22
	v_add_co_ci_u32_e32 v43, vcc_lo, s23, v47, vcc_lo
	v_add_co_u32 v46, vcc_lo, v44, s22
	v_add_co_ci_u32_e32 v47, vcc_lo, s23, v45, vcc_lo
	s_delay_alu instid0(VALU_DEP_4) | instskip(NEXT) | instid1(VALU_DEP_4)
	v_add_co_u32 v44, vcc_lo, v42, s22
	v_add_co_ci_u32_e32 v45, vcc_lo, s23, v43, vcc_lo
	global_load_u16 v42, v[42:43], off
	global_load_u16 v43, v[46:47], off
	;; [unrolled: 1-line block ×3, first 2 shown]
	ds_bpermute_b32 v45, v14, v41
	v_cvt_f32_f16_e32 v46, v66
	v_cvt_f32_f16_e32 v47, v67
	ds_bpermute_b32 v66, v17, v41
	v_cvt_f32_f16_e32 v67, v70
	v_add_co_u32 v2, vcc_lo, v2, s18
	v_mul_f32_e32 v46, v46, v47
	ds_bpermute_b32 v47, v15, v41
	v_add_co_ci_u32_e32 v39, vcc_lo, s19, v39, vcc_lo
	v_add_co_u32 v6, vcc_lo, v6, s20
	v_add_co_ci_u32_e32 v7, vcc_lo, s21, v7, vcc_lo
	v_add_co_u32 v4, vcc_lo, v4, s16
	v_add_co_ci_u32_e32 v5, vcc_lo, 0, v5, vcc_lo
	s_and_b32 vcc_lo, exec_lo, s17
	s_waitcnt lgkmcnt(2)
	v_fmac_f32_e32 v40, v46, v45
	ds_bpermute_b32 v45, v16, v41
	v_cvt_f32_f16_e32 v46, v68
	ds_bpermute_b32 v68, v18, v41
	v_mul_f32_e32 v46, v46, v65
	v_cvt_f32_f16_e32 v65, v71
	s_waitcnt lgkmcnt(2)
	s_delay_alu instid0(VALU_DEP_2) | instskip(NEXT) | instid1(VALU_DEP_2)
	v_fmac_f32_e32 v40, v46, v47
	v_mul_f32_e32 v46, v67, v65
	v_cvt_f32_f16_e32 v47, v73
	ds_bpermute_b32 v65, v19, v41
	v_cvt_f32_f16_e32 v67, v74
	s_waitcnt lgkmcnt(2)
	v_dual_fmac_f32 v40, v46, v45 :: v_dual_mul_f32 v45, v69, v47
	v_cvt_f32_f16_e32 v46, v75
	ds_bpermute_b32 v47, v20, v41
	v_cvt_f32_f16_e32 v69, v76
	v_fmac_f32_e32 v40, v45, v66
	v_mul_f32_e32 v45, v67, v46
	v_cvt_f32_f16_e32 v46, v77
	ds_bpermute_b32 v66, v21, v41
	v_cvt_f32_f16_e32 v67, v78
	s_waitcnt lgkmcnt(3)
	v_fmac_f32_e32 v40, v45, v68
	v_mul_f32_e32 v45, v69, v46
	v_cvt_f32_f16_e32 v46, v79
	ds_bpermute_b32 v68, v22, v41
	v_cvt_f32_f16_e32 v69, v80
	s_waitcnt lgkmcnt(3)
	v_dual_fmac_f32 v40, v45, v65 :: v_dual_mul_f32 v45, v67, v46
	v_cvt_f32_f16_e32 v46, v81
	ds_bpermute_b32 v65, v23, v41
	v_cvt_f32_f16_e32 v67, v82
	s_waitcnt lgkmcnt(3)
	v_fmac_f32_e32 v40, v45, v47
	v_mul_f32_e32 v45, v69, v46
	v_cvt_f32_f16_e32 v46, v83
	ds_bpermute_b32 v47, v24, v41
	v_cvt_f32_f16_e32 v69, v84
	s_waitcnt lgkmcnt(3)
	v_fmac_f32_e32 v40, v45, v66
	v_mul_f32_e32 v45, v67, v46
	;; [unrolled: 6-line block ×3, first 2 shown]
	v_cvt_f32_f16_e32 v46, v87
	ds_bpermute_b32 v68, v26, v41
	v_cvt_f32_f16_e32 v69, v88
	s_waitcnt lgkmcnt(3)
	v_dual_fmac_f32 v40, v45, v65 :: v_dual_mul_f32 v45, v67, v46
	v_cvt_f32_f16_e32 v46, v89
	ds_bpermute_b32 v65, v27, v41
	v_cvt_f32_f16_e32 v67, v90
	s_waitcnt lgkmcnt(3)
	v_fmac_f32_e32 v40, v45, v47
	v_mul_f32_e32 v45, v69, v46
	v_cvt_f32_f16_e32 v46, v91
	ds_bpermute_b32 v47, v28, v41
	v_cvt_f32_f16_e32 v69, v92
	s_waitcnt lgkmcnt(3)
	v_fmac_f32_e32 v40, v45, v66
	v_mul_f32_e32 v45, v67, v46
	;; [unrolled: 6-line block ×3, first 2 shown]
	v_cvt_f32_f16_e32 v46, v95
	ds_bpermute_b32 v68, v30, v41
	s_waitcnt lgkmcnt(3)
	v_dual_fmac_f32 v40, v45, v65 :: v_dual_mul_f32 v45, v67, v46
	v_cvt_f32_f16_e32 v46, v49
	ds_bpermute_b32 v49, v31, v41
	s_waitcnt lgkmcnt(3)
	v_dual_fmac_f32 v40, v45, v47 :: v_dual_mul_f32 v45, v48, v46
	s_waitcnt vmcnt(16)
	v_cvt_f32_f16_e32 v46, v51
	ds_bpermute_b32 v47, v32, v41
	s_waitcnt vmcnt(15)
	v_cvt_f32_f16_e32 v48, v52
	s_waitcnt vmcnt(13)
	v_cvt_f32_f16_e32 v51, v54
	s_waitcnt lgkmcnt(3)
	v_fmac_f32_e32 v40, v45, v66
	v_mul_f32_e32 v45, v50, v46
	v_cvt_f32_f16_e32 v46, v53
	ds_bpermute_b32 v50, v33, v41
	s_waitcnt lgkmcnt(3)
	v_dual_fmac_f32 v40, v45, v68 :: v_dual_mul_f32 v45, v48, v46
	ds_bpermute_b32 v48, v34, v41
	s_waitcnt lgkmcnt(3)
	v_fmac_f32_e32 v40, v45, v49
	ds_bpermute_b32 v49, v35, v41
	s_waitcnt vmcnt(12)
	v_cvt_f32_f16_e32 v46, v55
	s_waitcnt vmcnt(11)
	v_cvt_f32_f16_e32 v52, v56
	s_delay_alu instid0(VALU_DEP_2) | instskip(SKIP_1) | instid1(VALU_DEP_1)
	v_mul_f32_e32 v45, v51, v46
	s_waitcnt lgkmcnt(3)
	v_fmac_f32_e32 v40, v45, v47
	ds_bpermute_b32 v47, v36, v41
	s_waitcnt vmcnt(10)
	v_cvt_f32_f16_e32 v46, v57
	s_waitcnt vmcnt(9)
	v_cvt_f32_f16_e32 v51, v58
	s_delay_alu instid0(VALU_DEP_2) | instskip(SKIP_1) | instid1(VALU_DEP_1)
	v_mul_f32_e32 v45, v52, v46
	s_waitcnt lgkmcnt(3)
	v_fmac_f32_e32 v40, v45, v50
	ds_bpermute_b32 v50, v37, v41
	ds_bpermute_b32 v41, v38, v41
	s_waitcnt vmcnt(8)
	v_cvt_f32_f16_e32 v46, v59
	s_waitcnt vmcnt(7)
	v_cvt_f32_f16_e32 v52, v60
	s_delay_alu instid0(VALU_DEP_2) | instskip(SKIP_1) | instid1(VALU_DEP_1)
	v_mul_f32_e32 v45, v51, v46
	s_waitcnt lgkmcnt(4)
	v_fmac_f32_e32 v40, v45, v48
	s_waitcnt vmcnt(6)
	v_cvt_f32_f16_e32 v46, v61
	s_waitcnt vmcnt(5)
	v_cvt_f32_f16_e32 v51, v62
	s_delay_alu instid0(VALU_DEP_2) | instskip(SKIP_1) | instid1(VALU_DEP_1)
	v_mul_f32_e32 v45, v52, v46
	s_waitcnt lgkmcnt(3)
	v_fmac_f32_e32 v40, v45, v49
	;; [unrolled: 8-line block ×3, first 2 shown]
	s_waitcnt vmcnt(2)
	v_cvt_f32_f16_e32 v42, v42
	s_waitcnt vmcnt(1)
	v_cvt_f32_f16_e32 v43, v43
	;; [unrolled: 2-line block ×3, first 2 shown]
	v_mul_f32_e32 v42, v48, v42
	s_waitcnt lgkmcnt(1)
	s_delay_alu instid0(VALU_DEP_1) | instskip(NEXT) | instid1(VALU_DEP_3)
	v_fmac_f32_e32 v40, v42, v50
	v_mul_f32_e32 v42, v43, v44
	s_waitcnt lgkmcnt(0)
	s_delay_alu instid0(VALU_DEP_1)
	v_fmac_f32_e32 v40, v42, v41
	s_cbranch_vccz .LBB175_5
.LBB175_3:                              ; =>This Inner Loop Header: Depth=1
	v_mov_b32_e32 v41, 0
	s_mov_b32 s17, exec_lo
	v_cmpx_gt_i64_e64 s[4:5], v[4:5]
	s_cbranch_execz .LBB175_2
; %bb.4:                                ;   in Loop: Header=BB175_3 Depth=1
	global_load_b32 v41, v[6:7], off
	s_branch .LBB175_2
.LBB175_5:
	s_delay_alu instid0(VALU_DEP_1)
	v_cvt_f16_f32_e32 v3, v40
.LBB175_6:
	s_cmp_eq_u64 s[2:3], 0
	s_cbranch_scc1 .LBB175_8
; %bb.7:
	s_load_b32 s0, s[0:1], 0x4c
	v_mov_b32_e32 v2, 0
	v_lshlrev_b32_e32 v0, 1, v0
	s_waitcnt lgkmcnt(0)
	s_lshr_b32 s0, s0, 16
	s_delay_alu instid0(VALU_DEP_2) | instid1(SALU_CYCLE_1)
	v_mad_u64_u32 v[4:5], null, s0, s15, v[1:2]
	s_mov_b32 s15, 0
	s_delay_alu instid0(SALU_CYCLE_1) | instskip(NEXT) | instid1(SALU_CYCLE_1)
	s_lshl_b64 s[0:1], s[14:15], 6
	s_add_u32 s0, s0, s2
	s_addc_u32 s1, s1, s3
	s_delay_alu instid0(VALU_DEP_1) | instskip(NEXT) | instid1(VALU_DEP_2)
	v_mul_lo_u32 v5, v5, s6
	v_mul_lo_u32 v6, v4, s7
	v_mad_u64_u32 v[1:2], null, v4, s6, 0
	s_delay_alu instid0(VALU_DEP_1) | instskip(NEXT) | instid1(VALU_DEP_1)
	v_add3_u32 v2, v2, v6, v5
	v_lshlrev_b64 v[1:2], 1, v[1:2]
	s_delay_alu instid0(VALU_DEP_1) | instskip(NEXT) | instid1(VALU_DEP_2)
	v_add_co_u32 v1, vcc_lo, s0, v1
	v_add_co_ci_u32_e32 v2, vcc_lo, s1, v2, vcc_lo
	s_delay_alu instid0(VALU_DEP_2) | instskip(NEXT) | instid1(VALU_DEP_2)
	v_add_co_u32 v0, vcc_lo, v1, v0
	v_add_co_ci_u32_e32 v1, vcc_lo, 0, v2, vcc_lo
	global_store_b16 v[0:1], v3, off
.LBB175_8:
	s_nop 0
	s_sendmsg sendmsg(MSG_DEALLOC_VGPRS)
	s_endpgm
	.section	.rodata,"a",@progbits
	.p2align	6, 0x0
	.amdhsa_kernel _ZN2at6native12_GLOBAL__N_135GammaBetaBackwardCUDAKernelTemplateIN3c104HalfEfLj32ELj1ELj32ELb1ELb1ELb1EEEvllPKT_S7_PKT0_SA_PS5_SB_
		.amdhsa_group_segment_fixed_size 0
		.amdhsa_private_segment_fixed_size 0
		.amdhsa_kernarg_size 320
		.amdhsa_user_sgpr_count 14
		.amdhsa_user_sgpr_dispatch_ptr 0
		.amdhsa_user_sgpr_queue_ptr 0
		.amdhsa_user_sgpr_kernarg_segment_ptr 1
		.amdhsa_user_sgpr_dispatch_id 0
		.amdhsa_user_sgpr_private_segment_size 0
		.amdhsa_wavefront_size32 1
		.amdhsa_uses_dynamic_stack 0
		.amdhsa_enable_private_segment 0
		.amdhsa_system_sgpr_workgroup_id_x 1
		.amdhsa_system_sgpr_workgroup_id_y 1
		.amdhsa_system_sgpr_workgroup_id_z 0
		.amdhsa_system_sgpr_workgroup_info 0
		.amdhsa_system_vgpr_workitem_id 1
		.amdhsa_next_free_vgpr 96
		.amdhsa_next_free_sgpr 24
		.amdhsa_reserve_vcc 1
		.amdhsa_float_round_mode_32 0
		.amdhsa_float_round_mode_16_64 0
		.amdhsa_float_denorm_mode_32 3
		.amdhsa_float_denorm_mode_16_64 3
		.amdhsa_dx10_clamp 1
		.amdhsa_ieee_mode 1
		.amdhsa_fp16_overflow 0
		.amdhsa_workgroup_processor_mode 1
		.amdhsa_memory_ordered 1
		.amdhsa_forward_progress 0
		.amdhsa_shared_vgpr_count 0
		.amdhsa_exception_fp_ieee_invalid_op 0
		.amdhsa_exception_fp_denorm_src 0
		.amdhsa_exception_fp_ieee_div_zero 0
		.amdhsa_exception_fp_ieee_overflow 0
		.amdhsa_exception_fp_ieee_underflow 0
		.amdhsa_exception_fp_ieee_inexact 0
		.amdhsa_exception_int_div_zero 0
	.end_amdhsa_kernel
	.section	.text._ZN2at6native12_GLOBAL__N_135GammaBetaBackwardCUDAKernelTemplateIN3c104HalfEfLj32ELj1ELj32ELb1ELb1ELb1EEEvllPKT_S7_PKT0_SA_PS5_SB_,"axG",@progbits,_ZN2at6native12_GLOBAL__N_135GammaBetaBackwardCUDAKernelTemplateIN3c104HalfEfLj32ELj1ELj32ELb1ELb1ELb1EEEvllPKT_S7_PKT0_SA_PS5_SB_,comdat
.Lfunc_end175:
	.size	_ZN2at6native12_GLOBAL__N_135GammaBetaBackwardCUDAKernelTemplateIN3c104HalfEfLj32ELj1ELj32ELb1ELb1ELb1EEEvllPKT_S7_PKT0_SA_PS5_SB_, .Lfunc_end175-_ZN2at6native12_GLOBAL__N_135GammaBetaBackwardCUDAKernelTemplateIN3c104HalfEfLj32ELj1ELj32ELb1ELb1ELb1EEEvllPKT_S7_PKT0_SA_PS5_SB_
                                        ; -- End function
	.section	.AMDGPU.csdata,"",@progbits
; Kernel info:
; codeLenInByte = 3148
; NumSgprs: 26
; NumVgprs: 96
; ScratchSize: 0
; MemoryBound: 0
; FloatMode: 240
; IeeeMode: 1
; LDSByteSize: 0 bytes/workgroup (compile time only)
; SGPRBlocks: 3
; VGPRBlocks: 11
; NumSGPRsForWavesPerEU: 26
; NumVGPRsForWavesPerEU: 96
; Occupancy: 16
; WaveLimiterHint : 0
; COMPUTE_PGM_RSRC2:SCRATCH_EN: 0
; COMPUTE_PGM_RSRC2:USER_SGPR: 14
; COMPUTE_PGM_RSRC2:TRAP_HANDLER: 0
; COMPUTE_PGM_RSRC2:TGID_X_EN: 1
; COMPUTE_PGM_RSRC2:TGID_Y_EN: 1
; COMPUTE_PGM_RSRC2:TGID_Z_EN: 0
; COMPUTE_PGM_RSRC2:TIDIG_COMP_CNT: 1
	.section	.text._ZN2at6native12_GLOBAL__N_135GammaBetaBackwardCUDAKernelTemplateIN3c104HalfEfLj32ELj1ELj32ELb1ELb0ELb1EEEvllPKT_S7_PKT0_SA_PS5_SB_,"axG",@progbits,_ZN2at6native12_GLOBAL__N_135GammaBetaBackwardCUDAKernelTemplateIN3c104HalfEfLj32ELj1ELj32ELb1ELb0ELb1EEEvllPKT_S7_PKT0_SA_PS5_SB_,comdat
	.globl	_ZN2at6native12_GLOBAL__N_135GammaBetaBackwardCUDAKernelTemplateIN3c104HalfEfLj32ELj1ELj32ELb1ELb0ELb1EEEvllPKT_S7_PKT0_SA_PS5_SB_ ; -- Begin function _ZN2at6native12_GLOBAL__N_135GammaBetaBackwardCUDAKernelTemplateIN3c104HalfEfLj32ELj1ELj32ELb1ELb0ELb1EEEvllPKT_S7_PKT0_SA_PS5_SB_
	.p2align	8
	.type	_ZN2at6native12_GLOBAL__N_135GammaBetaBackwardCUDAKernelTemplateIN3c104HalfEfLj32ELj1ELj32ELb1ELb0ELb1EEEvllPKT_S7_PKT0_SA_PS5_SB_,@function
_ZN2at6native12_GLOBAL__N_135GammaBetaBackwardCUDAKernelTemplateIN3c104HalfEfLj32ELj1ELj32ELb1ELb0ELb1EEEvllPKT_S7_PKT0_SA_PS5_SB_: ; @_ZN2at6native12_GLOBAL__N_135GammaBetaBackwardCUDAKernelTemplateIN3c104HalfEfLj32ELj1ELj32ELb1ELb0ELb1EEEvllPKT_S7_PKT0_SA_PS5_SB_
; %bb.0:
	s_clause 0x1
	s_load_b256 s[16:23], s[0:1], 0x0
	s_load_b64 s[6:7], s[0:1], 0x28
	s_mov_b32 s2, s15
	s_lshl_b32 s15, s14, 5
	s_mov_b32 s9, 0
	s_or_b32 s8, s15, 31
	v_mov_b32_e32 v207, v0
	s_waitcnt lgkmcnt(0)
	v_cmp_ge_i64_e64 s3, s[8:9], s[18:19]
	s_lshl_b32 s8, s2, 5
	s_delay_alu instid0(SALU_CYCLE_1) | instskip(NEXT) | instid1(VALU_DEP_2)
	v_cmp_lt_i64_e64 s26, s[8:9], s[16:17]
	s_and_b32 vcc_lo, exec_lo, s3
	s_delay_alu instid0(VALU_DEP_1) | instskip(NEXT) | instid1(VALU_DEP_1)
	v_cndmask_b32_e64 v0, 0, 1, s26
	v_cmp_ne_u32_e64 s3, 1, v0
	s_cbranch_vccz .LBB176_141
; %bb.1:
	v_mov_b32_e32 v144, 0
	s_delay_alu instid0(VALU_DEP_2)
	s_and_b32 vcc_lo, exec_lo, s3
	s_cbranch_vccnz .LBB176_142
; %bb.2:
	v_bfe_u32 v9, v207, 10, 10
	s_load_b32 s4, s[0:1], 0x44
	v_dual_mov_b32 v2, 0 :: v_dual_and_b32 v11, 0x3ff, v207
	s_add_u32 s10, s0, 64
	s_delay_alu instid0(VALU_DEP_2) | instskip(NEXT) | instid1(VALU_DEP_2)
	v_dual_mov_b32 v139, 0 :: v_dual_lshlrev_b32 v10, 5, v9
	v_dual_mov_b32 v12, v2 :: v_dual_add_nc_u32 v1, s15, v11
	s_addc_u32 s11, s1, 0
	s_delay_alu instid0(VALU_DEP_2) | instskip(NEXT) | instid1(VALU_DEP_1)
	v_add_co_u32 v5, s3, v10, s8
	v_add_co_ci_u32_e64 v6, null, 0, 0, s3
	s_delay_alu instid0(VALU_DEP_3) | instskip(NEXT) | instid1(VALU_DEP_3)
	v_cmp_gt_i64_e64 s3, s[18:19], v[1:2]
	v_add_co_u32 v0, vcc_lo, v5, 31
	s_delay_alu instid0(VALU_DEP_3) | instskip(SKIP_1) | instid1(VALU_DEP_3)
	v_add_co_ci_u32_e32 v3, vcc_lo, 0, v6, vcc_lo
	v_mul_lo_u32 v130, s19, v5
	v_mul_lo_u32 v4, s19, v0
	v_mad_u64_u32 v[7:8], null, s18, v0, 0
	s_delay_alu instid0(VALU_DEP_4) | instskip(SKIP_4) | instid1(VALU_DEP_2)
	v_mul_lo_u32 v3, s18, v3
	v_add_co_u32 v0, vcc_lo, v5, 30
	v_add_co_ci_u32_e32 v13, vcc_lo, 0, v6, vcc_lo
	s_waitcnt lgkmcnt(0)
	s_lshl_b32 s27, s4, 5
	v_mul_lo_u32 v14, s19, v0
	v_mad_u64_u32 v[16:17], null, s18, v0, 0
	v_add3_u32 v8, v8, v3, v4
	v_mul_lo_u32 v15, s18, v13
	v_lshlrev_b64 v[3:4], 1, v[1:2]
	s_mul_i32 s4, s19, s27
	s_mul_hi_u32 s5, s18, s27
	v_lshlrev_b64 v[7:8], 1, v[7:8]
	s_add_i32 s13, s5, s4
	v_mad_u64_u32 v[133:134], null, s18, v5, 0
	s_delay_alu instid0(VALU_DEP_4) | instskip(SKIP_1) | instid1(VALU_DEP_3)
	v_add3_u32 v17, v17, v15, v14
	s_mul_i32 s12, s18, s27
	v_add_co_u32 v1, vcc_lo, s20, v7
	v_add_co_ci_u32_e32 v13, vcc_lo, s21, v8, vcc_lo
	v_add_co_u32 v0, vcc_lo, v5, 29
	v_add_co_u32 v14, s4, s22, v7
	s_delay_alu instid0(VALU_DEP_1)
	v_add_co_ci_u32_e64 v15, s4, s23, v8, s4
	v_lshlrev_b64 v[7:8], 1, v[16:17]
	v_add_co_ci_u32_e32 v16, vcc_lo, 0, v6, vcc_lo
	v_add_co_u32 v17, vcc_lo, v5, 28
	v_add_co_ci_u32_e32 v19, vcc_lo, 0, v6, vcc_lo
	v_mul_lo_u32 v18, s19, v0
	s_delay_alu instid0(VALU_DEP_4)
	v_mul_lo_u32 v24, s18, v16
	v_mad_u64_u32 v[20:21], null, s18, v0, 0
	v_mul_lo_u32 v0, s19, v17
	v_mul_lo_u32 v25, s18, v19
	v_mad_u64_u32 v[22:23], null, s18, v17, 0
	v_add_co_u32 v16, vcc_lo, s20, v7
	v_add_co_ci_u32_e32 v17, vcc_lo, s21, v8, vcc_lo
	v_add3_u32 v21, v21, v24, v18
	v_add_co_u32 v18, vcc_lo, s22, v7
	v_add_co_ci_u32_e32 v19, vcc_lo, s23, v8, vcc_lo
	v_add3_u32 v23, v23, v25, v0
	v_add_co_u32 v0, vcc_lo, v5, 27
	v_add_co_ci_u32_e32 v24, vcc_lo, 0, v6, vcc_lo
	v_lshlrev_b64 v[7:8], 1, v[20:21]
	s_delay_alu instid0(VALU_DEP_3) | instskip(SKIP_1) | instid1(VALU_DEP_4)
	v_mul_lo_u32 v30, s19, v0
	v_mad_u64_u32 v[28:29], null, s18, v0, 0
	v_mul_lo_u32 v31, s18, v24
	v_lshlrev_b64 v[26:27], 1, v[22:23]
	v_add_co_u32 v20, vcc_lo, s20, v7
	v_add_co_ci_u32_e32 v21, vcc_lo, s21, v8, vcc_lo
	v_add_co_u32 v22, vcc_lo, s22, v7
	v_add_co_ci_u32_e32 v23, vcc_lo, s23, v8, vcc_lo
	v_add_co_u32 v24, vcc_lo, s20, v26
	v_add3_u32 v29, v29, v31, v30
	v_add_co_ci_u32_e32 v25, vcc_lo, s21, v27, vcc_lo
	v_add_co_u32 v0, vcc_lo, v5, 26
	s_delay_alu instid0(VALU_DEP_3) | instskip(SKIP_4) | instid1(VALU_DEP_4)
	v_lshlrev_b64 v[7:8], 1, v[28:29]
	v_add_co_ci_u32_e32 v28, vcc_lo, 0, v6, vcc_lo
	v_add_co_u32 v29, vcc_lo, v5, 25
	v_add_co_ci_u32_e32 v31, vcc_lo, 0, v6, vcc_lo
	v_mul_lo_u32 v30, s19, v0
	v_mul_lo_u32 v36, s18, v28
	v_mad_u64_u32 v[32:33], null, s18, v0, 0
	v_mul_lo_u32 v0, s19, v29
	v_mul_lo_u32 v37, s18, v31
	v_mad_u64_u32 v[34:35], null, s18, v29, 0
	v_add_co_u32 v28, vcc_lo, s20, v7
	v_add_co_ci_u32_e32 v29, vcc_lo, s21, v8, vcc_lo
	v_add3_u32 v33, v33, v36, v30
	v_add_co_u32 v30, vcc_lo, s22, v7
	v_add_co_ci_u32_e32 v31, vcc_lo, s23, v8, vcc_lo
	v_add3_u32 v35, v35, v37, v0
	v_add_co_u32 v0, vcc_lo, v5, 24
	v_add_co_ci_u32_e32 v36, vcc_lo, 0, v6, vcc_lo
	v_lshlrev_b64 v[7:8], 1, v[32:33]
	s_delay_alu instid0(VALU_DEP_3) | instskip(SKIP_1) | instid1(VALU_DEP_4)
	v_mul_lo_u32 v42, s19, v0
	v_mad_u64_u32 v[40:41], null, s18, v0, 0
	v_mul_lo_u32 v43, s18, v36
	v_lshlrev_b64 v[38:39], 1, v[34:35]
	v_add_co_u32 v32, vcc_lo, s20, v7
	v_add_co_ci_u32_e32 v33, vcc_lo, s21, v8, vcc_lo
	v_add_co_u32 v34, vcc_lo, s22, v7
	v_add_co_ci_u32_e32 v35, vcc_lo, s23, v8, vcc_lo
	v_add_co_u32 v36, vcc_lo, s20, v38
	v_add3_u32 v41, v41, v43, v42
	v_add_co_ci_u32_e32 v37, vcc_lo, s21, v39, vcc_lo
	v_add_co_u32 v0, vcc_lo, v5, 23
	s_delay_alu instid0(VALU_DEP_3) | instskip(SKIP_4) | instid1(VALU_DEP_4)
	v_lshlrev_b64 v[7:8], 1, v[40:41]
	v_add_co_ci_u32_e32 v40, vcc_lo, 0, v6, vcc_lo
	v_add_co_u32 v41, vcc_lo, v5, 22
	v_add_co_ci_u32_e32 v43, vcc_lo, 0, v6, vcc_lo
	v_mul_lo_u32 v42, s19, v0
	v_mul_lo_u32 v48, s18, v40
	v_mad_u64_u32 v[44:45], null, s18, v0, 0
	v_mul_lo_u32 v0, s19, v41
	v_mul_lo_u32 v49, s18, v43
	v_mad_u64_u32 v[46:47], null, s18, v41, 0
	v_add_co_u32 v40, vcc_lo, s20, v7
	v_add_co_ci_u32_e32 v41, vcc_lo, s21, v8, vcc_lo
	v_add3_u32 v45, v45, v48, v42
	v_add_co_u32 v42, vcc_lo, s22, v7
	v_add_co_ci_u32_e32 v43, vcc_lo, s23, v8, vcc_lo
	v_add3_u32 v47, v47, v49, v0
	v_add_co_u32 v0, vcc_lo, v5, 21
	v_add_co_ci_u32_e32 v48, vcc_lo, 0, v6, vcc_lo
	v_lshlrev_b64 v[7:8], 1, v[44:45]
	s_delay_alu instid0(VALU_DEP_3) | instskip(SKIP_1) | instid1(VALU_DEP_4)
	v_mul_lo_u32 v54, s19, v0
	v_mad_u64_u32 v[52:53], null, s18, v0, 0
	v_mul_lo_u32 v55, s18, v48
	v_lshlrev_b64 v[50:51], 1, v[46:47]
	v_add_co_u32 v44, vcc_lo, s20, v7
	v_add_co_ci_u32_e32 v45, vcc_lo, s21, v8, vcc_lo
	v_add_co_u32 v46, vcc_lo, s22, v7
	v_add_co_ci_u32_e32 v47, vcc_lo, s23, v8, vcc_lo
	v_add_co_u32 v48, vcc_lo, s20, v50
	v_add3_u32 v53, v53, v55, v54
	v_add_co_ci_u32_e32 v49, vcc_lo, s21, v51, vcc_lo
	v_add_co_u32 v0, vcc_lo, v5, 20
	s_delay_alu instid0(VALU_DEP_3) | instskip(SKIP_4) | instid1(VALU_DEP_4)
	v_lshlrev_b64 v[7:8], 1, v[52:53]
	v_add_co_ci_u32_e32 v52, vcc_lo, 0, v6, vcc_lo
	v_add_co_u32 v53, vcc_lo, v5, 19
	v_add_co_ci_u32_e32 v55, vcc_lo, 0, v6, vcc_lo
	v_mul_lo_u32 v54, s19, v0
	v_mul_lo_u32 v60, s18, v52
	v_mad_u64_u32 v[56:57], null, s18, v0, 0
	v_mul_lo_u32 v0, s19, v53
	v_mul_lo_u32 v61, s18, v55
	v_mad_u64_u32 v[58:59], null, s18, v53, 0
	v_add_co_u32 v52, vcc_lo, s20, v7
	v_add_co_ci_u32_e32 v53, vcc_lo, s21, v8, vcc_lo
	v_add3_u32 v57, v57, v60, v54
	v_add_co_u32 v54, vcc_lo, s22, v7
	v_add_co_ci_u32_e32 v55, vcc_lo, s23, v8, vcc_lo
	v_add3_u32 v59, v59, v61, v0
	v_add_co_u32 v0, vcc_lo, v5, 18
	v_add_co_ci_u32_e32 v60, vcc_lo, 0, v6, vcc_lo
	v_lshlrev_b64 v[7:8], 1, v[56:57]
	s_delay_alu instid0(VALU_DEP_3) | instskip(SKIP_1) | instid1(VALU_DEP_4)
	v_mul_lo_u32 v66, s19, v0
	v_mad_u64_u32 v[64:65], null, s18, v0, 0
	v_mul_lo_u32 v67, s18, v60
	v_lshlrev_b64 v[62:63], 1, v[58:59]
	v_add_co_u32 v56, vcc_lo, s20, v7
	v_add_co_ci_u32_e32 v57, vcc_lo, s21, v8, vcc_lo
	v_add_co_u32 v58, vcc_lo, s22, v7
	v_add_co_ci_u32_e32 v59, vcc_lo, s23, v8, vcc_lo
	v_add_co_u32 v60, vcc_lo, s20, v62
	v_add3_u32 v65, v65, v67, v66
	v_add_co_ci_u32_e32 v61, vcc_lo, s21, v63, vcc_lo
	v_add_co_u32 v0, vcc_lo, v5, 17
	s_delay_alu instid0(VALU_DEP_3) | instskip(SKIP_2) | instid1(VALU_DEP_4)
	v_lshlrev_b64 v[7:8], 1, v[64:65]
	v_add_co_ci_u32_e32 v64, vcc_lo, 0, v6, vcc_lo
	v_add_co_u32 v65, vcc_lo, v5, 16
	v_mul_lo_u32 v66, s19, v0
	v_add_co_ci_u32_e32 v67, vcc_lo, 0, v6, vcc_lo
	s_delay_alu instid0(VALU_DEP_4) | instskip(SKIP_2) | instid1(VALU_DEP_4)
	v_mul_lo_u32 v72, s18, v64
	v_mad_u64_u32 v[68:69], null, s18, v0, 0
	v_mul_lo_u32 v0, s19, v65
	v_mul_lo_u32 v73, s18, v67
	v_mad_u64_u32 v[70:71], null, s18, v65, 0
	v_add_co_u32 v64, vcc_lo, s20, v7
	v_add3_u32 v69, v69, v72, v66
	v_add_co_ci_u32_e32 v65, vcc_lo, s21, v8, vcc_lo
	v_add_co_u32 v66, vcc_lo, s22, v7
	v_add_co_ci_u32_e32 v67, vcc_lo, s23, v8, vcc_lo
	s_delay_alu instid0(VALU_DEP_4) | instskip(SKIP_4) | instid1(VALU_DEP_1)
	v_lshlrev_b64 v[7:8], 1, v[68:69]
	v_add3_u32 v71, v71, v73, v0
	v_add_co_u32 v0, vcc_lo, v5, 15
	v_add_co_ci_u32_e32 v72, vcc_lo, 0, v6, vcc_lo
	v_add_co_u32 v26, s4, s22, v26
	v_add_co_ci_u32_e64 v27, s4, s23, v27, s4
	v_add_co_u32 v38, s4, s22, v38
	v_add_co_u32 v68, vcc_lo, s20, v7
	v_lshlrev_b64 v[74:75], 1, v[70:71]
	v_mul_lo_u32 v78, s19, v0
	v_mul_lo_u32 v79, s18, v72
	v_mad_u64_u32 v[76:77], null, s18, v0, 0
	v_add_co_ci_u32_e64 v39, s4, s23, v39, s4
	v_add_co_ci_u32_e32 v69, vcc_lo, s21, v8, vcc_lo
	v_add_co_u32 v50, s4, s22, v50
	v_add_co_u32 v70, vcc_lo, s22, v7
	v_add_co_ci_u32_e64 v51, s4, s23, v51, s4
	v_add_co_ci_u32_e32 v71, vcc_lo, s23, v8, vcc_lo
	v_add_co_u32 v62, s4, s22, v62
	v_add_co_u32 v72, vcc_lo, s20, v74
	v_add_co_ci_u32_e64 v63, s4, s23, v63, s4
	v_add_co_ci_u32_e32 v73, vcc_lo, s21, v75, vcc_lo
	v_add3_u32 v77, v77, v79, v78
	v_add_co_u32 v78, vcc_lo, v5, 14
	v_add_co_u32 v0, s4, s22, v74
	s_delay_alu instid0(VALU_DEP_1)
	v_add_co_ci_u32_e64 v74, s4, s23, v75, s4
	v_add_co_ci_u32_e32 v75, vcc_lo, 0, v6, vcc_lo
	v_lshlrev_b64 v[7:8], 1, v[76:77]
	v_add_co_u32 v76, vcc_lo, v5, 13
	v_mul_lo_u32 v77, s19, v78
	v_add_co_ci_u32_e32 v81, vcc_lo, 0, v6, vcc_lo
	v_mul_lo_u32 v83, s18, v75
	v_mad_u64_u32 v[79:80], null, s18, v78, 0
	v_mul_lo_u32 v84, s19, v76
	s_delay_alu instid0(VALU_DEP_4)
	v_mul_lo_u32 v85, s18, v81
	v_mad_u64_u32 v[81:82], null, s18, v76, 0
	v_add_co_u32 v75, vcc_lo, s20, v7
	v_add_co_ci_u32_e32 v76, vcc_lo, s21, v8, vcc_lo
	v_add3_u32 v80, v80, v83, v77
	v_add_co_u32 v77, vcc_lo, s22, v7
	v_add_co_ci_u32_e32 v78, vcc_lo, s23, v8, vcc_lo
	v_add_co_u32 v83, vcc_lo, v5, 12
	v_add3_u32 v82, v82, v85, v84
	v_add_co_ci_u32_e32 v84, vcc_lo, 0, v6, vcc_lo
	v_lshlrev_b64 v[7:8], 1, v[79:80]
	s_delay_alu instid0(VALU_DEP_4) | instskip(SKIP_1) | instid1(VALU_DEP_4)
	v_mul_lo_u32 v89, s19, v83
	v_mad_u64_u32 v[87:88], null, s18, v83, 0
	v_mul_lo_u32 v90, s18, v84
	v_lshlrev_b64 v[85:86], 1, v[81:82]
	v_add_co_u32 v79, vcc_lo, s20, v7
	v_add_co_ci_u32_e32 v80, vcc_lo, s21, v8, vcc_lo
	v_add_co_u32 v81, vcc_lo, s22, v7
	v_add_co_ci_u32_e32 v82, vcc_lo, s23, v8, vcc_lo
	v_add_co_u32 v83, vcc_lo, s20, v85
	v_add3_u32 v88, v88, v90, v89
	v_add_co_ci_u32_e32 v84, vcc_lo, s21, v86, vcc_lo
	v_add_co_u32 v89, vcc_lo, v5, 11
	s_delay_alu instid0(VALU_DEP_3) | instskip(SKIP_4) | instid1(VALU_DEP_4)
	v_lshlrev_b64 v[7:8], 1, v[87:88]
	v_add_co_ci_u32_e32 v87, vcc_lo, 0, v6, vcc_lo
	v_add_co_u32 v88, vcc_lo, v5, 10
	v_add_co_ci_u32_e32 v93, vcc_lo, 0, v6, vcc_lo
	v_mul_lo_u32 v90, s19, v89
	v_mul_lo_u32 v95, s18, v87
	v_mad_u64_u32 v[91:92], null, s18, v89, 0
	v_mul_lo_u32 v96, s19, v88
	v_mul_lo_u32 v97, s18, v93
	v_mad_u64_u32 v[93:94], null, s18, v88, 0
	v_add_co_u32 v87, vcc_lo, s20, v7
	v_add_co_ci_u32_e32 v88, vcc_lo, s21, v8, vcc_lo
	v_add_co_u32 v89, vcc_lo, s22, v7
	v_add3_u32 v92, v92, v95, v90
	v_add_co_ci_u32_e32 v90, vcc_lo, s23, v8, vcc_lo
	v_add_co_u32 v95, vcc_lo, v5, 9
	v_add3_u32 v94, v94, v97, v96
	v_add_co_ci_u32_e32 v96, vcc_lo, 0, v6, vcc_lo
	v_lshlrev_b64 v[7:8], 1, v[91:92]
	s_delay_alu instid0(VALU_DEP_4) | instskip(SKIP_1) | instid1(VALU_DEP_4)
	v_mul_lo_u32 v101, s19, v95
	v_mad_u64_u32 v[99:100], null, s18, v95, 0
	v_mul_lo_u32 v102, s18, v96
	v_lshlrev_b64 v[97:98], 1, v[93:94]
	v_add_co_u32 v91, vcc_lo, s20, v7
	v_add_co_ci_u32_e32 v92, vcc_lo, s21, v8, vcc_lo
	v_add_co_u32 v93, vcc_lo, s22, v7
	v_add_co_ci_u32_e32 v94, vcc_lo, s23, v8, vcc_lo
	v_add_co_u32 v95, vcc_lo, s20, v97
	v_add3_u32 v100, v100, v102, v101
	v_add_co_ci_u32_e32 v96, vcc_lo, s21, v98, vcc_lo
	v_add_co_u32 v101, vcc_lo, v5, 8
	s_delay_alu instid0(VALU_DEP_3) | instskip(SKIP_4) | instid1(VALU_DEP_4)
	v_lshlrev_b64 v[7:8], 1, v[99:100]
	v_add_co_ci_u32_e32 v99, vcc_lo, 0, v6, vcc_lo
	v_add_co_u32 v100, vcc_lo, v5, 7
	v_add_co_ci_u32_e32 v105, vcc_lo, 0, v6, vcc_lo
	v_mul_lo_u32 v102, s19, v101
	v_mul_lo_u32 v107, s18, v99
	v_mad_u64_u32 v[103:104], null, s18, v101, 0
	v_mul_lo_u32 v108, s19, v100
	v_mul_lo_u32 v109, s18, v105
	v_mad_u64_u32 v[105:106], null, s18, v100, 0
	v_add_co_u32 v99, vcc_lo, s20, v7
	v_add_co_ci_u32_e32 v100, vcc_lo, s21, v8, vcc_lo
	v_add_co_u32 v101, vcc_lo, s22, v7
	v_add3_u32 v104, v104, v107, v102
	v_add_co_ci_u32_e32 v102, vcc_lo, s23, v8, vcc_lo
	v_add_co_u32 v107, vcc_lo, v5, 6
	v_add3_u32 v106, v106, v109, v108
	v_add_co_ci_u32_e32 v108, vcc_lo, 0, v6, vcc_lo
	v_lshlrev_b64 v[7:8], 1, v[103:104]
	s_delay_alu instid0(VALU_DEP_4) | instskip(SKIP_1) | instid1(VALU_DEP_4)
	v_mul_lo_u32 v113, s19, v107
	v_mad_u64_u32 v[111:112], null, s18, v107, 0
	v_mul_lo_u32 v114, s18, v108
	v_lshlrev_b64 v[109:110], 1, v[105:106]
	v_add_co_u32 v103, vcc_lo, s20, v7
	v_add_co_ci_u32_e32 v104, vcc_lo, s21, v8, vcc_lo
	v_add_co_u32 v105, vcc_lo, s22, v7
	v_add_co_ci_u32_e32 v106, vcc_lo, s23, v8, vcc_lo
	v_add_co_u32 v107, vcc_lo, s20, v109
	v_add3_u32 v112, v112, v114, v113
	v_add_co_ci_u32_e32 v108, vcc_lo, s21, v110, vcc_lo
	v_add_co_u32 v113, vcc_lo, v5, 5
	s_delay_alu instid0(VALU_DEP_3) | instskip(SKIP_2) | instid1(VALU_DEP_4)
	v_lshlrev_b64 v[7:8], 1, v[111:112]
	v_add_co_ci_u32_e32 v111, vcc_lo, 0, v6, vcc_lo
	v_add_co_u32 v112, vcc_lo, v5, 4
	v_mul_lo_u32 v114, s19, v113
	s_delay_alu instid0(VALU_DEP_3) | instskip(SKIP_4) | instid1(VALU_DEP_3)
	v_mul_lo_u32 v119, s18, v111
	v_mad_u64_u32 v[115:116], null, s18, v113, 0
	v_add_co_ci_u32_e32 v117, vcc_lo, 0, v6, vcc_lo
	v_mul_lo_u32 v120, s19, v112
	v_add_co_u32 v111, vcc_lo, s20, v7
	v_mul_lo_u32 v121, s18, v117
	v_mad_u64_u32 v[117:118], null, s18, v112, 0
	v_add3_u32 v116, v116, v119, v114
	v_add_co_ci_u32_e32 v112, vcc_lo, s21, v8, vcc_lo
	v_add_co_u32 v113, vcc_lo, s22, v7
	v_add_co_ci_u32_e32 v114, vcc_lo, s23, v8, vcc_lo
	s_delay_alu instid0(VALU_DEP_4) | instskip(SKIP_3) | instid1(VALU_DEP_4)
	v_lshlrev_b64 v[7:8], 1, v[115:116]
	v_add_co_u32 v119, vcc_lo, v5, 3
	v_add3_u32 v118, v118, v121, v120
	v_add_co_ci_u32_e32 v120, vcc_lo, 0, v6, vcc_lo
	v_add_co_u32 v115, vcc_lo, s20, v7
	s_delay_alu instid0(VALU_DEP_3) | instskip(SKIP_1) | instid1(VALU_DEP_4)
	v_lshlrev_b64 v[121:122], 1, v[117:118]
	v_mul_lo_u32 v125, s19, v119
	v_mul_lo_u32 v126, s18, v120
	v_mad_u64_u32 v[123:124], null, s18, v119, 0
	v_add_co_ci_u32_e32 v116, vcc_lo, s21, v8, vcc_lo
	v_add_co_u32 v117, vcc_lo, s22, v7
	v_add_co_ci_u32_e32 v118, vcc_lo, s23, v8, vcc_lo
	v_add_co_u32 v119, vcc_lo, s20, v121
	v_add_co_ci_u32_e32 v120, vcc_lo, s21, v122, vcc_lo
	v_add3_u32 v124, v124, v126, v125
	v_add_co_u32 v125, vcc_lo, v5, 2
	v_add_co_ci_u32_e32 v126, vcc_lo, 0, v6, vcc_lo
	s_delay_alu instid0(VALU_DEP_3) | instskip(NEXT) | instid1(VALU_DEP_3)
	v_lshlrev_b64 v[7:8], 1, v[123:124]
	v_mul_lo_u32 v129, s19, v125
	v_mad_u64_u32 v[127:128], null, s18, v125, 0
	s_delay_alu instid0(VALU_DEP_4)
	v_mul_lo_u32 v126, s18, v126
	v_mul_lo_u32 v6, s18, v6
	v_add_co_u32 v121, vcc_lo, s22, v121
	v_add_co_ci_u32_e32 v122, vcc_lo, s23, v122, vcc_lo
	v_add_co_u32 v123, vcc_lo, s20, v7
	v_add_co_ci_u32_e32 v124, vcc_lo, s21, v8, vcc_lo
	v_add3_u32 v128, v128, v126, v129
	v_add_co_u32 v125, vcc_lo, s22, v7
	v_add3_u32 v134, v134, v6, v130
	v_add_co_ci_u32_e32 v126, vcc_lo, s23, v8, vcc_lo
	v_add_co_u32 v7, vcc_lo, v133, s18
	v_lshlrev_b64 v[5:6], 1, v[127:128]
	s_delay_alu instid0(VALU_DEP_4) | instskip(SKIP_1) | instid1(VALU_DEP_1)
	v_add_co_ci_u32_e32 v8, vcc_lo, s19, v134, vcc_lo
	v_add_co_u32 v85, s4, s22, v85
	v_add_co_ci_u32_e64 v86, s4, s23, v86, s4
	s_delay_alu instid0(VALU_DEP_4) | instskip(NEXT) | instid1(VALU_DEP_4)
	v_add_co_u32 v127, vcc_lo, s20, v5
	v_lshlrev_b64 v[7:8], 1, v[7:8]
	v_add_co_ci_u32_e32 v128, vcc_lo, s21, v6, vcc_lo
	v_add_co_u32 v129, vcc_lo, s22, v5
	v_add_co_ci_u32_e32 v130, vcc_lo, s23, v6, vcc_lo
	s_delay_alu instid0(VALU_DEP_4)
	v_add_co_u32 v131, vcc_lo, s20, v7
	v_lshlrev_b64 v[5:6], 1, v[133:134]
	v_add_co_ci_u32_e32 v132, vcc_lo, s21, v8, vcc_lo
	v_add_co_u32 v133, vcc_lo, s22, v7
	v_add_co_ci_u32_e32 v134, vcc_lo, s23, v8, vcc_lo
	v_add_co_u32 v97, s4, s22, v97
	v_add_co_u32 v135, vcc_lo, s20, v5
	v_add_co_ci_u32_e64 v98, s4, s23, v98, s4
	v_add_co_ci_u32_e32 v136, vcc_lo, s21, v6, vcc_lo
	v_add_co_u32 v109, s4, s22, v109
	v_add_co_u32 v137, vcc_lo, s22, v5
	v_add_co_ci_u32_e64 v110, s4, s23, v110, s4
	v_add_co_ci_u32_e32 v138, vcc_lo, s23, v6, vcc_lo
	s_mov_b64 s[4:5], 31
	s_lshl_b64 s[12:13], s[12:13], 1
	s_mov_b64 s[24:25], s[8:9]
.LBB176_3:                              ; =>This Inner Loop Header: Depth=1
	s_add_u32 s28, s8, s4
	s_addc_u32 s29, 0, s5
	v_add_co_u32 v5, vcc_lo, s8, v10
	v_cmp_ge_i64_e64 s28, s[28:29], s[16:17]
	v_add_co_ci_u32_e32 v6, vcc_lo, 0, v12, vcc_lo
	s_delay_alu instid0(VALU_DEP_2)
	s_and_b32 vcc_lo, exec_lo, s28
	s_cbranch_vccz .LBB176_71
; %bb.4:                                ;   in Loop: Header=BB176_3 Depth=1
	s_load_b32 s28, s[10:11], 0xc
	v_dual_mov_b32 v141, 0 :: v_dual_mov_b32 v140, 0
	s_waitcnt lgkmcnt(0)
	s_and_b32 s28, s28, 0xffff
	s_delay_alu instid0(SALU_CYCLE_1) | instskip(SKIP_1) | instid1(VALU_DEP_1)
	v_mad_u32_u24 v7, v9, s28, v11
	s_mov_b32 s28, exec_lo
	v_and_b32_e32 v7, 31, v7
	s_delay_alu instid0(VALU_DEP_1) | instskip(SKIP_1) | instid1(VALU_DEP_1)
	v_add_co_u32 v7, vcc_lo, v5, v7
	v_add_co_ci_u32_e32 v8, vcc_lo, 0, v6, vcc_lo
	v_cmpx_gt_i64_e64 s[16:17], v[7:8]
	s_cbranch_execz .LBB176_6
; %bb.5:                                ;   in Loop: Header=BB176_3 Depth=1
	v_lshlrev_b64 v[7:8], 2, v[7:8]
	s_delay_alu instid0(VALU_DEP_1) | instskip(NEXT) | instid1(VALU_DEP_2)
	v_add_co_u32 v7, vcc_lo, s6, v7
	v_add_co_ci_u32_e32 v8, vcc_lo, s7, v8, vcc_lo
	global_load_b32 v140, v[7:8], off
.LBB176_6:                              ;   in Loop: Header=BB176_3 Depth=1
	s_or_b32 exec_lo, exec_lo, s28
	v_cmp_gt_i64_e32 vcc_lo, s[16:17], v[5:6]
	v_mov_b32_e32 v7, 0
	s_and_b32 s29, s3, vcc_lo
	s_delay_alu instid0(SALU_CYCLE_1)
	s_and_saveexec_b32 s28, s29
	s_cbranch_execz .LBB176_8
; %bb.7:                                ;   in Loop: Header=BB176_3 Depth=1
	v_add_co_u32 v7, vcc_lo, v135, v3
	v_add_co_ci_u32_e32 v8, vcc_lo, v136, v4, vcc_lo
	v_add_co_u32 v141, vcc_lo, v137, v3
	v_add_co_ci_u32_e32 v142, vcc_lo, v138, v4, vcc_lo
	global_load_u16 v7, v[7:8], off
	global_load_u16 v8, v[141:142], off
	s_waitcnt vmcnt(1)
	v_cvt_f32_f16_e64 v141, v7
	s_waitcnt vmcnt(0)
	v_cvt_f32_f16_e32 v7, v8
.LBB176_8:                              ;   in Loop: Header=BB176_3 Depth=1
	s_or_b32 exec_lo, exec_lo, s28
	v_add_co_u32 v142, vcc_lo, v5, 1
	v_add_co_ci_u32_e32 v143, vcc_lo, 0, v6, vcc_lo
	v_mov_b32_e32 v8, 0
	s_delay_alu instid0(VALU_DEP_2) | instskip(SKIP_2) | instid1(SALU_CYCLE_1)
	v_cmp_gt_i64_e32 vcc_lo, s[16:17], v[142:143]
	v_dual_mov_b32 v143, 0 :: v_dual_mov_b32 v142, 0
	s_and_b32 s29, s3, vcc_lo
	s_and_saveexec_b32 s28, s29
	s_cbranch_execz .LBB176_10
; %bb.9:                                ;   in Loop: Header=BB176_3 Depth=1
	v_add_co_u32 v142, vcc_lo, v131, v3
	v_add_co_ci_u32_e32 v143, vcc_lo, v132, v4, vcc_lo
	v_add_co_u32 v144, vcc_lo, v133, v3
	v_add_co_ci_u32_e32 v145, vcc_lo, v134, v4, vcc_lo
	global_load_u16 v142, v[142:143], off
	global_load_u16 v143, v[144:145], off
	s_waitcnt vmcnt(1)
	v_cvt_f32_f16_e64 v142, v142
	s_waitcnt vmcnt(0)
	v_cvt_f32_f16_e64 v143, v143
.LBB176_10:                             ;   in Loop: Header=BB176_3 Depth=1
	s_or_b32 exec_lo, exec_lo, s28
	v_add_co_u32 v144, vcc_lo, v5, 2
	v_add_co_ci_u32_e32 v145, vcc_lo, 0, v6, vcc_lo
	s_delay_alu instid0(VALU_DEP_1) | instskip(SKIP_2) | instid1(SALU_CYCLE_1)
	v_cmp_gt_i64_e32 vcc_lo, s[16:17], v[144:145]
	v_mov_b32_e32 v145, 0
	s_and_b32 s29, s3, vcc_lo
	s_and_saveexec_b32 s28, s29
	s_cbranch_execz .LBB176_12
; %bb.11:                               ;   in Loop: Header=BB176_3 Depth=1
	v_add_co_u32 v144, vcc_lo, v127, v3
	v_add_co_ci_u32_e32 v145, vcc_lo, v128, v4, vcc_lo
	v_add_co_u32 v146, vcc_lo, v129, v3
	v_add_co_ci_u32_e32 v147, vcc_lo, v130, v4, vcc_lo
	global_load_u16 v8, v[144:145], off
	global_load_u16 v144, v[146:147], off
	s_waitcnt vmcnt(1)
	v_cvt_f32_f16_e32 v8, v8
	s_waitcnt vmcnt(0)
	v_cvt_f32_f16_e64 v145, v144
.LBB176_12:                             ;   in Loop: Header=BB176_3 Depth=1
	s_or_b32 exec_lo, exec_lo, s28
	v_add_co_u32 v146, vcc_lo, v5, 3
	v_add_co_ci_u32_e32 v147, vcc_lo, 0, v6, vcc_lo
	v_mov_b32_e32 v148, 0
	s_delay_alu instid0(VALU_DEP_2) | instskip(SKIP_2) | instid1(SALU_CYCLE_1)
	v_cmp_gt_i64_e32 vcc_lo, s[16:17], v[146:147]
	v_dual_mov_b32 v146, 0 :: v_dual_mov_b32 v147, 0
	s_and_b32 s29, s3, vcc_lo
	s_and_saveexec_b32 s28, s29
	s_cbranch_execz .LBB176_14
; %bb.13:                               ;   in Loop: Header=BB176_3 Depth=1
	v_add_co_u32 v147, vcc_lo, v123, v3
	v_add_co_ci_u32_e32 v148, vcc_lo, v124, v4, vcc_lo
	v_add_co_u32 v149, vcc_lo, v125, v3
	v_add_co_ci_u32_e32 v150, vcc_lo, v126, v4, vcc_lo
	global_load_u16 v144, v[147:148], off
	global_load_u16 v148, v[149:150], off
	s_waitcnt vmcnt(1)
	v_cvt_f32_f16_e64 v147, v144
	s_waitcnt vmcnt(0)
	v_cvt_f32_f16_e64 v148, v148
.LBB176_14:                             ;   in Loop: Header=BB176_3 Depth=1
	s_or_b32 exec_lo, exec_lo, s28
	v_add_co_u32 v149, vcc_lo, v5, 4
	v_add_co_ci_u32_e32 v150, vcc_lo, 0, v6, vcc_lo
	s_delay_alu instid0(VALU_DEP_1) | instskip(SKIP_2) | instid1(SALU_CYCLE_1)
	v_cmp_gt_i64_e32 vcc_lo, s[16:17], v[149:150]
	v_mov_b32_e32 v149, 0
	s_and_b32 s29, s3, vcc_lo
	s_and_saveexec_b32 s28, s29
	s_cbranch_execz .LBB176_16
; %bb.15:                               ;   in Loop: Header=BB176_3 Depth=1
	v_add_co_u32 v149, vcc_lo, v119, v3
	v_add_co_ci_u32_e32 v150, vcc_lo, v120, v4, vcc_lo
	v_add_co_u32 v151, vcc_lo, v121, v3
	v_add_co_ci_u32_e32 v152, vcc_lo, v122, v4, vcc_lo
	global_load_u16 v144, v[149:150], off
	global_load_u16 v149, v[151:152], off
	s_waitcnt vmcnt(1)
	v_cvt_f32_f16_e64 v146, v144
	s_waitcnt vmcnt(0)
	v_cvt_f32_f16_e64 v149, v149
.LBB176_16:                             ;   in Loop: Header=BB176_3 Depth=1
	s_or_b32 exec_lo, exec_lo, s28
	v_add_co_u32 v150, vcc_lo, v5, 5
	v_add_co_ci_u32_e32 v151, vcc_lo, 0, v6, vcc_lo
	v_mov_b32_e32 v152, 0
	s_delay_alu instid0(VALU_DEP_2) | instskip(SKIP_2) | instid1(SALU_CYCLE_1)
	v_cmp_gt_i64_e32 vcc_lo, s[16:17], v[150:151]
	v_dual_mov_b32 v150, 0 :: v_dual_mov_b32 v151, 0
	s_and_b32 s29, s3, vcc_lo
	s_and_saveexec_b32 s28, s29
	s_cbranch_execz .LBB176_18
; %bb.17:                               ;   in Loop: Header=BB176_3 Depth=1
	v_add_co_u32 v151, vcc_lo, v115, v3
	v_add_co_ci_u32_e32 v152, vcc_lo, v116, v4, vcc_lo
	v_add_co_u32 v153, vcc_lo, v117, v3
	v_add_co_ci_u32_e32 v154, vcc_lo, v118, v4, vcc_lo
	global_load_u16 v144, v[151:152], off
	global_load_u16 v152, v[153:154], off
	s_waitcnt vmcnt(1)
	v_cvt_f32_f16_e64 v151, v144
	s_waitcnt vmcnt(0)
	v_cvt_f32_f16_e64 v152, v152
.LBB176_18:                             ;   in Loop: Header=BB176_3 Depth=1
	s_or_b32 exec_lo, exec_lo, s28
	v_add_co_u32 v153, vcc_lo, v5, 6
	v_add_co_ci_u32_e32 v154, vcc_lo, 0, v6, vcc_lo
	s_delay_alu instid0(VALU_DEP_1) | instskip(SKIP_2) | instid1(SALU_CYCLE_1)
	v_cmp_gt_i64_e32 vcc_lo, s[16:17], v[153:154]
	v_mov_b32_e32 v153, 0
	s_and_b32 s29, s3, vcc_lo
	s_and_saveexec_b32 s28, s29
	s_cbranch_execz .LBB176_20
; %bb.19:                               ;   in Loop: Header=BB176_3 Depth=1
	v_add_co_u32 v153, vcc_lo, v111, v3
	v_add_co_ci_u32_e32 v154, vcc_lo, v112, v4, vcc_lo
	v_add_co_u32 v155, vcc_lo, v113, v3
	v_add_co_ci_u32_e32 v156, vcc_lo, v114, v4, vcc_lo
	global_load_u16 v144, v[153:154], off
	global_load_u16 v153, v[155:156], off
	s_waitcnt vmcnt(1)
	v_cvt_f32_f16_e64 v150, v144
	s_waitcnt vmcnt(0)
	v_cvt_f32_f16_e64 v153, v153
.LBB176_20:                             ;   in Loop: Header=BB176_3 Depth=1
	;; [unrolled: 43-line block ×14, first 2 shown]
	s_or_b32 exec_lo, exec_lo, s28
	v_add_co_u32 v203, vcc_lo, v5, 31
	v_add_co_ci_u32_e32 v204, vcc_lo, 0, v6, vcc_lo
	v_mov_b32_e32 v189, 0
	s_delay_alu instid0(VALU_DEP_2) | instskip(SKIP_1) | instid1(SALU_CYCLE_1)
	v_cmp_gt_i64_e32 vcc_lo, s[16:17], v[203:204]
	s_and_b32 s29, s3, vcc_lo
	s_and_saveexec_b32 s28, s29
	s_cbranch_execz .LBB176_70
; %bb.69:                               ;   in Loop: Header=BB176_3 Depth=1
	v_add_co_u32 v203, vcc_lo, v1, v3
	v_add_co_ci_u32_e32 v204, vcc_lo, v13, v4, vcc_lo
	v_add_co_u32 v205, vcc_lo, v14, v3
	v_add_co_ci_u32_e32 v206, vcc_lo, v15, v4, vcc_lo
	global_load_u16 v144, v[203:204], off
	global_load_u16 v189, v[205:206], off
	s_waitcnt vmcnt(1)
	v_cvt_f32_f16_e64 v144, v144
	s_waitcnt vmcnt(0)
	v_cvt_f32_f16_e64 v189, v189
	s_delay_alu instid0(VALU_DEP_1)
	v_mul_f32_e32 v189, v144, v189
.LBB176_70:                             ;   in Loop: Header=BB176_3 Depth=1
	s_or_b32 exec_lo, exec_lo, s28
	s_waitcnt vmcnt(0)
	ds_bpermute_b32 v144, v2, v140
	ds_bpermute_b32 v203, v2, v140 offset:4
	ds_bpermute_b32 v204, v2, v140 offset:8
	v_mul_f32_e32 v7, v141, v7
	ds_bpermute_b32 v141, v2, v140 offset:12
	v_mul_f32_e32 v142, v142, v143
	ds_bpermute_b32 v143, v2, v140 offset:16
	s_waitcnt lgkmcnt(4)
	v_fma_f32 v144, v7, v144, v139
	v_mul_f32_e32 v7, v8, v145
	ds_bpermute_b32 v8, v2, v140 offset:20
	ds_bpermute_b32 v145, v2, v140 offset:24
	s_waitcnt lgkmcnt(5)
	v_fmac_f32_e32 v144, v142, v203
	v_mul_f32_e32 v142, v147, v148
	s_waitcnt lgkmcnt(4)
	s_delay_alu instid0(VALU_DEP_2)
	v_dual_fmac_f32 v144, v7, v204 :: v_dual_mul_f32 v7, v146, v149
	ds_bpermute_b32 v146, v2, v140 offset:28
	s_waitcnt lgkmcnt(4)
	v_dual_fmac_f32 v144, v142, v141 :: v_dual_mul_f32 v141, v151, v152
	ds_bpermute_b32 v142, v2, v140 offset:32
	s_waitcnt lgkmcnt(4)
	;; [unrolled: 3-line block ×3, first 2 shown]
	v_fmac_f32_e32 v144, v141, v8
	v_mul_f32_e32 v8, v155, v156
	ds_bpermute_b32 v141, v2, v140 offset:40
	s_waitcnt lgkmcnt(4)
	v_fmac_f32_e32 v144, v7, v145
	v_mul_f32_e32 v7, v154, v157
	ds_bpermute_b32 v145, v2, v140 offset:44
	s_waitcnt lgkmcnt(4)
	;; [unrolled: 4-line block ×3, first 2 shown]
	v_dual_fmac_f32 v144, v7, v142 :: v_dual_mul_f32 v7, v158, v161
	ds_bpermute_b32 v142, v2, v140 offset:52
	s_waitcnt lgkmcnt(4)
	v_fmac_f32_e32 v144, v8, v143
	v_mul_f32_e32 v8, v163, v164
	ds_bpermute_b32 v143, v2, v140 offset:56
	s_waitcnt lgkmcnt(4)
	v_fmac_f32_e32 v144, v7, v141
	v_mul_f32_e32 v7, v162, v165
	ds_bpermute_b32 v141, v2, v140 offset:60
	s_waitcnt lgkmcnt(4)
	v_fmac_f32_e32 v144, v8, v145
	v_mul_f32_e32 v8, v167, v168
	ds_bpermute_b32 v145, v2, v140 offset:64
	s_waitcnt lgkmcnt(4)
	v_dual_fmac_f32 v144, v7, v146 :: v_dual_mul_f32 v7, v166, v169
	ds_bpermute_b32 v146, v2, v140 offset:68
	s_waitcnt lgkmcnt(4)
	v_fmac_f32_e32 v144, v8, v142
	v_mul_f32_e32 v8, v171, v172
	ds_bpermute_b32 v142, v2, v140 offset:72
	s_waitcnt lgkmcnt(4)
	v_dual_fmac_f32 v144, v7, v143 :: v_dual_mul_f32 v7, v170, v173
	ds_bpermute_b32 v143, v2, v140 offset:76
	s_waitcnt lgkmcnt(4)
	v_fmac_f32_e32 v144, v8, v141
	v_mul_f32_e32 v8, v175, v176
	ds_bpermute_b32 v141, v2, v140 offset:80
	s_waitcnt lgkmcnt(4)
	v_fmac_f32_e32 v144, v7, v145
	v_mul_f32_e32 v7, v174, v177
	;; [unrolled: 4-line block ×3, first 2 shown]
	ds_bpermute_b32 v146, v2, v140 offset:88
	s_waitcnt lgkmcnt(4)
	v_dual_fmac_f32 v144, v7, v142 :: v_dual_mul_f32 v7, v178, v181
	ds_bpermute_b32 v142, v2, v140 offset:92
	s_waitcnt lgkmcnt(4)
	v_fmac_f32_e32 v144, v8, v143
	v_mul_f32_e32 v8, v183, v184
	ds_bpermute_b32 v143, v2, v140 offset:96
	s_waitcnt lgkmcnt(4)
	v_fmac_f32_e32 v144, v7, v141
	v_mul_f32_e32 v7, v182, v185
	;; [unrolled: 4-line block ×9, first 2 shown]
	s_waitcnt lgkmcnt(3)
	s_delay_alu instid0(VALU_DEP_2) | instskip(SKIP_1) | instid1(VALU_DEP_1)
	v_fmac_f32_e32 v144, v145, v142
	s_waitcnt lgkmcnt(2)
	v_fmac_f32_e32 v144, v8, v143
	v_mul_f32_e32 v8, v199, v202
	s_waitcnt lgkmcnt(1)
	s_delay_alu instid0(VALU_DEP_1)
	v_fmac_f32_e32 v144, v8, v141
	s_branch .LBB176_137
.LBB176_71:                             ;   in Loop: Header=BB176_3 Depth=1
                                        ; implicit-def: $vgpr144
                                        ; implicit-def: $vgpr189
                                        ; implicit-def: $vgpr7
	s_cbranch_execz .LBB176_137
; %bb.72:                               ;   in Loop: Header=BB176_3 Depth=1
	s_load_b32 s28, s[10:11], 0x0
	v_mov_b32_e32 v8, 0
	s_waitcnt lgkmcnt(0)
	s_cmp_lt_u32 s14, s28
	s_cselect_b32 s28, 12, 18
	s_delay_alu instid0(SALU_CYCLE_1)
	s_add_u32 s28, s10, s28
	s_addc_u32 s29, s11, 0
	global_load_u16 v7, v2, s[28:29]
	s_mov_b32 s28, exec_lo
	s_waitcnt vmcnt(0)
	v_mad_u32_u24 v7, v9, v7, v11
	s_delay_alu instid0(VALU_DEP_1) | instskip(NEXT) | instid1(VALU_DEP_1)
	v_and_b32_e32 v7, 31, v7
	v_add_co_u32 v5, vcc_lo, v5, v7
	v_add_co_ci_u32_e32 v6, vcc_lo, 0, v6, vcc_lo
	v_mov_b32_e32 v7, 0
	s_delay_alu instid0(VALU_DEP_2)
	v_cmpx_gt_i64_e64 s[16:17], v[5:6]
	s_cbranch_execz .LBB176_74
; %bb.73:                               ;   in Loop: Header=BB176_3 Depth=1
	v_lshlrev_b64 v[5:6], 2, v[5:6]
	s_delay_alu instid0(VALU_DEP_1) | instskip(NEXT) | instid1(VALU_DEP_2)
	v_add_co_u32 v5, vcc_lo, s6, v5
	v_add_co_ci_u32_e32 v6, vcc_lo, s7, v6, vcc_lo
	global_load_b32 v7, v[5:6], off
.LBB176_74:                             ;   in Loop: Header=BB176_3 Depth=1
	s_or_b32 exec_lo, exec_lo, s28
	v_mov_b32_e32 v5, 0
	s_and_saveexec_b32 s28, s3
	s_cbranch_execz .LBB176_76
; %bb.75:                               ;   in Loop: Header=BB176_3 Depth=1
	v_add_co_u32 v5, vcc_lo, v135, v3
	v_add_co_ci_u32_e32 v6, vcc_lo, v136, v4, vcc_lo
	v_add_co_u32 v140, vcc_lo, v137, v3
	v_add_co_ci_u32_e32 v141, vcc_lo, v138, v4, vcc_lo
	global_load_u16 v5, v[5:6], off
	global_load_u16 v6, v[140:141], off
	s_waitcnt vmcnt(1)
	v_cvt_f32_f16_e32 v8, v5
	s_waitcnt vmcnt(0)
	v_cvt_f32_f16_e32 v5, v6
.LBB176_76:                             ;   in Loop: Header=BB176_3 Depth=1
	s_or_b32 exec_lo, exec_lo, s28
	v_dual_mov_b32 v6, 0 :: v_dual_mov_b32 v141, 0
	v_mov_b32_e32 v140, 0
	s_and_saveexec_b32 s28, s3
	s_cbranch_execz .LBB176_78
; %bb.77:                               ;   in Loop: Header=BB176_3 Depth=1
	v_add_co_u32 v140, vcc_lo, v131, v3
	v_add_co_ci_u32_e32 v141, vcc_lo, v132, v4, vcc_lo
	v_add_co_u32 v142, vcc_lo, v133, v3
	v_add_co_ci_u32_e32 v143, vcc_lo, v134, v4, vcc_lo
	global_load_u16 v140, v[140:141], off
	global_load_u16 v141, v[142:143], off
	s_waitcnt vmcnt(1)
	v_cvt_f32_f16_e64 v140, v140
	s_waitcnt vmcnt(0)
	v_cvt_f32_f16_e64 v141, v141
.LBB176_78:                             ;   in Loop: Header=BB176_3 Depth=1
	s_or_b32 exec_lo, exec_lo, s28
	v_mov_b32_e32 v142, 0
	s_and_saveexec_b32 s28, s3
	s_cbranch_execz .LBB176_80
; %bb.79:                               ;   in Loop: Header=BB176_3 Depth=1
	v_add_co_u32 v142, vcc_lo, v127, v3
	v_add_co_ci_u32_e32 v143, vcc_lo, v128, v4, vcc_lo
	v_add_co_u32 v144, vcc_lo, v129, v3
	v_add_co_ci_u32_e32 v145, vcc_lo, v130, v4, vcc_lo
	global_load_u16 v6, v[142:143], off
	global_load_u16 v142, v[144:145], off
	s_waitcnt vmcnt(1)
	v_cvt_f32_f16_e32 v6, v6
	s_waitcnt vmcnt(0)
	v_cvt_f32_f16_e64 v142, v142
.LBB176_80:                             ;   in Loop: Header=BB176_3 Depth=1
	s_or_b32 exec_lo, exec_lo, s28
	v_dual_mov_b32 v143, 0 :: v_dual_mov_b32 v144, 0
	v_mov_b32_e32 v145, 0
	s_and_saveexec_b32 s28, s3
	s_cbranch_execz .LBB176_82
; %bb.81:                               ;   in Loop: Header=BB176_3 Depth=1
	v_add_co_u32 v144, vcc_lo, v123, v3
	v_add_co_ci_u32_e32 v145, vcc_lo, v124, v4, vcc_lo
	v_add_co_u32 v146, vcc_lo, v125, v3
	v_add_co_ci_u32_e32 v147, vcc_lo, v126, v4, vcc_lo
	global_load_u16 v144, v[144:145], off
	global_load_u16 v145, v[146:147], off
	s_waitcnt vmcnt(1)
	v_cvt_f32_f16_e64 v144, v144
	s_waitcnt vmcnt(0)
	v_cvt_f32_f16_e64 v145, v145
.LBB176_82:                             ;   in Loop: Header=BB176_3 Depth=1
	s_or_b32 exec_lo, exec_lo, s28
	v_mov_b32_e32 v146, 0
	s_and_saveexec_b32 s28, s3
	s_cbranch_execz .LBB176_84
; %bb.83:                               ;   in Loop: Header=BB176_3 Depth=1
	v_add_co_u32 v146, vcc_lo, v119, v3
	v_add_co_ci_u32_e32 v147, vcc_lo, v120, v4, vcc_lo
	v_add_co_u32 v148, vcc_lo, v121, v3
	v_add_co_ci_u32_e32 v149, vcc_lo, v122, v4, vcc_lo
	global_load_u16 v143, v[146:147], off
	global_load_u16 v146, v[148:149], off
	s_waitcnt vmcnt(1)
	v_cvt_f32_f16_e64 v143, v143
	s_waitcnt vmcnt(0)
	v_cvt_f32_f16_e64 v146, v146
.LBB176_84:                             ;   in Loop: Header=BB176_3 Depth=1
	s_or_b32 exec_lo, exec_lo, s28
	v_dual_mov_b32 v147, 0 :: v_dual_mov_b32 v148, 0
	v_mov_b32_e32 v149, 0
	s_and_saveexec_b32 s28, s3
	s_cbranch_execz .LBB176_86
; %bb.85:                               ;   in Loop: Header=BB176_3 Depth=1
	v_add_co_u32 v148, vcc_lo, v115, v3
	v_add_co_ci_u32_e32 v149, vcc_lo, v116, v4, vcc_lo
	v_add_co_u32 v150, vcc_lo, v117, v3
	v_add_co_ci_u32_e32 v151, vcc_lo, v118, v4, vcc_lo
	global_load_u16 v148, v[148:149], off
	global_load_u16 v149, v[150:151], off
	s_waitcnt vmcnt(1)
	v_cvt_f32_f16_e64 v148, v148
	s_waitcnt vmcnt(0)
	v_cvt_f32_f16_e64 v149, v149
.LBB176_86:                             ;   in Loop: Header=BB176_3 Depth=1
	s_or_b32 exec_lo, exec_lo, s28
	v_mov_b32_e32 v150, 0
	s_and_saveexec_b32 s28, s3
	s_cbranch_execz .LBB176_88
; %bb.87:                               ;   in Loop: Header=BB176_3 Depth=1
	v_add_co_u32 v150, vcc_lo, v111, v3
	v_add_co_ci_u32_e32 v151, vcc_lo, v112, v4, vcc_lo
	v_add_co_u32 v152, vcc_lo, v113, v3
	v_add_co_ci_u32_e32 v153, vcc_lo, v114, v4, vcc_lo
	global_load_u16 v147, v[150:151], off
	global_load_u16 v150, v[152:153], off
	s_waitcnt vmcnt(1)
	v_cvt_f32_f16_e64 v147, v147
	s_waitcnt vmcnt(0)
	v_cvt_f32_f16_e64 v150, v150
.LBB176_88:                             ;   in Loop: Header=BB176_3 Depth=1
	s_or_b32 exec_lo, exec_lo, s28
	v_dual_mov_b32 v151, 0 :: v_dual_mov_b32 v152, 0
	v_mov_b32_e32 v153, 0
	s_and_saveexec_b32 s28, s3
	s_cbranch_execz .LBB176_90
; %bb.89:                               ;   in Loop: Header=BB176_3 Depth=1
	v_add_co_u32 v152, vcc_lo, v107, v3
	v_add_co_ci_u32_e32 v153, vcc_lo, v108, v4, vcc_lo
	v_add_co_u32 v154, vcc_lo, v109, v3
	v_add_co_ci_u32_e32 v155, vcc_lo, v110, v4, vcc_lo
	global_load_u16 v152, v[152:153], off
	global_load_u16 v153, v[154:155], off
	s_waitcnt vmcnt(1)
	v_cvt_f32_f16_e64 v152, v152
	s_waitcnt vmcnt(0)
	v_cvt_f32_f16_e64 v153, v153
.LBB176_90:                             ;   in Loop: Header=BB176_3 Depth=1
	s_or_b32 exec_lo, exec_lo, s28
	v_mov_b32_e32 v154, 0
	s_and_saveexec_b32 s28, s3
	s_cbranch_execz .LBB176_92
; %bb.91:                               ;   in Loop: Header=BB176_3 Depth=1
	v_add_co_u32 v154, vcc_lo, v103, v3
	v_add_co_ci_u32_e32 v155, vcc_lo, v104, v4, vcc_lo
	v_add_co_u32 v156, vcc_lo, v105, v3
	v_add_co_ci_u32_e32 v157, vcc_lo, v106, v4, vcc_lo
	global_load_u16 v151, v[154:155], off
	global_load_u16 v154, v[156:157], off
	s_waitcnt vmcnt(1)
	v_cvt_f32_f16_e64 v151, v151
	s_waitcnt vmcnt(0)
	v_cvt_f32_f16_e64 v154, v154
.LBB176_92:                             ;   in Loop: Header=BB176_3 Depth=1
	s_or_b32 exec_lo, exec_lo, s28
	v_dual_mov_b32 v155, 0 :: v_dual_mov_b32 v156, 0
	v_mov_b32_e32 v157, 0
	s_and_saveexec_b32 s28, s3
	s_cbranch_execz .LBB176_94
; %bb.93:                               ;   in Loop: Header=BB176_3 Depth=1
	v_add_co_u32 v156, vcc_lo, v99, v3
	v_add_co_ci_u32_e32 v157, vcc_lo, v100, v4, vcc_lo
	v_add_co_u32 v158, vcc_lo, v101, v3
	v_add_co_ci_u32_e32 v159, vcc_lo, v102, v4, vcc_lo
	global_load_u16 v156, v[156:157], off
	global_load_u16 v157, v[158:159], off
	s_waitcnt vmcnt(1)
	v_cvt_f32_f16_e64 v156, v156
	s_waitcnt vmcnt(0)
	v_cvt_f32_f16_e64 v157, v157
.LBB176_94:                             ;   in Loop: Header=BB176_3 Depth=1
	s_or_b32 exec_lo, exec_lo, s28
	v_mov_b32_e32 v158, 0
	s_and_saveexec_b32 s28, s3
	s_cbranch_execz .LBB176_96
; %bb.95:                               ;   in Loop: Header=BB176_3 Depth=1
	v_add_co_u32 v158, vcc_lo, v95, v3
	v_add_co_ci_u32_e32 v159, vcc_lo, v96, v4, vcc_lo
	v_add_co_u32 v160, vcc_lo, v97, v3
	v_add_co_ci_u32_e32 v161, vcc_lo, v98, v4, vcc_lo
	global_load_u16 v155, v[158:159], off
	global_load_u16 v158, v[160:161], off
	s_waitcnt vmcnt(1)
	v_cvt_f32_f16_e64 v155, v155
	s_waitcnt vmcnt(0)
	v_cvt_f32_f16_e64 v158, v158
.LBB176_96:                             ;   in Loop: Header=BB176_3 Depth=1
	s_or_b32 exec_lo, exec_lo, s28
	v_dual_mov_b32 v159, 0 :: v_dual_mov_b32 v160, 0
	v_mov_b32_e32 v161, 0
	s_and_saveexec_b32 s28, s3
	s_cbranch_execz .LBB176_98
; %bb.97:                               ;   in Loop: Header=BB176_3 Depth=1
	v_add_co_u32 v160, vcc_lo, v91, v3
	v_add_co_ci_u32_e32 v161, vcc_lo, v92, v4, vcc_lo
	v_add_co_u32 v162, vcc_lo, v93, v3
	v_add_co_ci_u32_e32 v163, vcc_lo, v94, v4, vcc_lo
	global_load_u16 v160, v[160:161], off
	global_load_u16 v161, v[162:163], off
	s_waitcnt vmcnt(1)
	v_cvt_f32_f16_e64 v160, v160
	s_waitcnt vmcnt(0)
	v_cvt_f32_f16_e64 v161, v161
.LBB176_98:                             ;   in Loop: Header=BB176_3 Depth=1
	s_or_b32 exec_lo, exec_lo, s28
	v_mov_b32_e32 v162, 0
	s_and_saveexec_b32 s28, s3
	s_cbranch_execz .LBB176_100
; %bb.99:                               ;   in Loop: Header=BB176_3 Depth=1
	v_add_co_u32 v162, vcc_lo, v87, v3
	v_add_co_ci_u32_e32 v163, vcc_lo, v88, v4, vcc_lo
	v_add_co_u32 v164, vcc_lo, v89, v3
	v_add_co_ci_u32_e32 v165, vcc_lo, v90, v4, vcc_lo
	global_load_u16 v159, v[162:163], off
	global_load_u16 v162, v[164:165], off
	s_waitcnt vmcnt(1)
	v_cvt_f32_f16_e64 v159, v159
	s_waitcnt vmcnt(0)
	v_cvt_f32_f16_e64 v162, v162
.LBB176_100:                            ;   in Loop: Header=BB176_3 Depth=1
	s_or_b32 exec_lo, exec_lo, s28
	v_dual_mov_b32 v163, 0 :: v_dual_mov_b32 v164, 0
	v_mov_b32_e32 v165, 0
	s_and_saveexec_b32 s28, s3
	s_cbranch_execz .LBB176_102
; %bb.101:                              ;   in Loop: Header=BB176_3 Depth=1
	v_add_co_u32 v164, vcc_lo, v83, v3
	v_add_co_ci_u32_e32 v165, vcc_lo, v84, v4, vcc_lo
	v_add_co_u32 v166, vcc_lo, v85, v3
	v_add_co_ci_u32_e32 v167, vcc_lo, v86, v4, vcc_lo
	global_load_u16 v164, v[164:165], off
	global_load_u16 v165, v[166:167], off
	s_waitcnt vmcnt(1)
	v_cvt_f32_f16_e64 v164, v164
	s_waitcnt vmcnt(0)
	v_cvt_f32_f16_e64 v165, v165
.LBB176_102:                            ;   in Loop: Header=BB176_3 Depth=1
	s_or_b32 exec_lo, exec_lo, s28
	v_mov_b32_e32 v166, 0
	s_and_saveexec_b32 s28, s3
	s_cbranch_execz .LBB176_104
; %bb.103:                              ;   in Loop: Header=BB176_3 Depth=1
	v_add_co_u32 v166, vcc_lo, v79, v3
	v_add_co_ci_u32_e32 v167, vcc_lo, v80, v4, vcc_lo
	v_add_co_u32 v168, vcc_lo, v81, v3
	v_add_co_ci_u32_e32 v169, vcc_lo, v82, v4, vcc_lo
	global_load_u16 v163, v[166:167], off
	global_load_u16 v166, v[168:169], off
	s_waitcnt vmcnt(1)
	v_cvt_f32_f16_e64 v163, v163
	s_waitcnt vmcnt(0)
	v_cvt_f32_f16_e64 v166, v166
.LBB176_104:                            ;   in Loop: Header=BB176_3 Depth=1
	s_or_b32 exec_lo, exec_lo, s28
	v_dual_mov_b32 v167, 0 :: v_dual_mov_b32 v168, 0
	v_mov_b32_e32 v169, 0
	s_and_saveexec_b32 s28, s3
	s_cbranch_execz .LBB176_106
; %bb.105:                              ;   in Loop: Header=BB176_3 Depth=1
	v_add_co_u32 v168, vcc_lo, v75, v3
	v_add_co_ci_u32_e32 v169, vcc_lo, v76, v4, vcc_lo
	v_add_co_u32 v170, vcc_lo, v77, v3
	v_add_co_ci_u32_e32 v171, vcc_lo, v78, v4, vcc_lo
	global_load_u16 v168, v[168:169], off
	global_load_u16 v169, v[170:171], off
	s_waitcnt vmcnt(1)
	v_cvt_f32_f16_e64 v168, v168
	s_waitcnt vmcnt(0)
	v_cvt_f32_f16_e64 v169, v169
.LBB176_106:                            ;   in Loop: Header=BB176_3 Depth=1
	s_or_b32 exec_lo, exec_lo, s28
	v_mov_b32_e32 v170, 0
	s_and_saveexec_b32 s28, s3
	s_cbranch_execz .LBB176_108
; %bb.107:                              ;   in Loop: Header=BB176_3 Depth=1
	v_add_co_u32 v170, vcc_lo, v72, v3
	v_add_co_ci_u32_e32 v171, vcc_lo, v73, v4, vcc_lo
	v_add_co_u32 v172, vcc_lo, v0, v3
	v_add_co_ci_u32_e32 v173, vcc_lo, v74, v4, vcc_lo
	global_load_u16 v167, v[170:171], off
	global_load_u16 v170, v[172:173], off
	s_waitcnt vmcnt(1)
	v_cvt_f32_f16_e64 v167, v167
	s_waitcnt vmcnt(0)
	v_cvt_f32_f16_e64 v170, v170
.LBB176_108:                            ;   in Loop: Header=BB176_3 Depth=1
	;; [unrolled: 33-line block ×8, first 2 shown]
	s_or_b32 exec_lo, exec_lo, s28
	v_dual_mov_b32 v196, 0 :: v_dual_mov_b32 v197, 0
	v_mov_b32_e32 v198, 0
	s_and_saveexec_b32 s28, s3
	s_cbranch_execnz .LBB176_139
; %bb.133:                              ;   in Loop: Header=BB176_3 Depth=1
	s_or_b32 exec_lo, exec_lo, s28
	v_mov_b32_e32 v199, 0
	s_and_saveexec_b32 s28, s3
	s_cbranch_execnz .LBB176_140
.LBB176_134:                            ;   in Loop: Header=BB176_3 Depth=1
	s_or_b32 exec_lo, exec_lo, s28
	v_mov_b32_e32 v189, 0
	s_and_saveexec_b32 s28, s3
	s_cbranch_execz .LBB176_136
.LBB176_135:                            ;   in Loop: Header=BB176_3 Depth=1
	v_add_co_u32 v200, vcc_lo, v1, v3
	v_add_co_ci_u32_e32 v201, vcc_lo, v13, v4, vcc_lo
	v_add_co_u32 v202, vcc_lo, v14, v3
	v_add_co_ci_u32_e32 v203, vcc_lo, v15, v4, vcc_lo
	global_load_u16 v189, v[200:201], off
	global_load_u16 v200, v[202:203], off
	s_waitcnt vmcnt(1)
	v_cvt_f32_f16_e64 v189, v189
	s_waitcnt vmcnt(0)
	v_cvt_f32_f16_e64 v200, v200
	s_delay_alu instid0(VALU_DEP_1)
	v_mul_f32_e32 v189, v189, v200
.LBB176_136:                            ;   in Loop: Header=BB176_3 Depth=1
	s_or_b32 exec_lo, exec_lo, s28
	s_waitcnt vmcnt(0)
	ds_bpermute_b32 v200, v2, v7
	ds_bpermute_b32 v201, v2, v7 offset:4
	ds_bpermute_b32 v202, v2, v7 offset:8
	v_mul_f32_e32 v5, v8, v5
	ds_bpermute_b32 v8, v2, v7 offset:12
	v_mul_f32_e32 v140, v140, v141
	ds_bpermute_b32 v141, v2, v7 offset:16
	s_waitcnt lgkmcnt(4)
	v_fmac_f32_e32 v139, v5, v200
	v_mul_f32_e32 v5, v6, v142
	ds_bpermute_b32 v6, v2, v7 offset:20
	ds_bpermute_b32 v142, v2, v7 offset:24
	s_waitcnt lgkmcnt(5)
	v_fmac_f32_e32 v139, v140, v201
	s_waitcnt lgkmcnt(4)
	s_delay_alu instid0(VALU_DEP_1)
	v_dual_mul_f32 v140, v144, v145 :: v_dual_fmac_f32 v139, v5, v202
	v_mul_f32_e32 v5, v143, v146
	ds_bpermute_b32 v143, v2, v7 offset:28
	s_waitcnt lgkmcnt(4)
	v_fmac_f32_e32 v139, v140, v8
	v_mul_f32_e32 v8, v148, v149
	ds_bpermute_b32 v140, v2, v7 offset:32
	s_waitcnt lgkmcnt(4)
	v_fmac_f32_e32 v139, v5, v141
	;; [unrolled: 4-line block ×4, first 2 shown]
	v_mul_f32_e32 v5, v151, v154
	ds_bpermute_b32 v142, v2, v7 offset:44
	s_waitcnt lgkmcnt(4)
	v_dual_fmac_f32 v139, v6, v143 :: v_dual_mul_f32 v6, v156, v157
	ds_bpermute_b32 v143, v2, v7 offset:48
	s_waitcnt lgkmcnt(4)
	v_fmac_f32_e32 v139, v5, v140
	v_mul_f32_e32 v5, v155, v158
	ds_bpermute_b32 v140, v2, v7 offset:52
	s_waitcnt lgkmcnt(4)
	v_fmac_f32_e32 v139, v6, v141
	v_mul_f32_e32 v6, v160, v161
	;; [unrolled: 4-line block ×3, first 2 shown]
	ds_bpermute_b32 v8, v2, v7 offset:60
	s_waitcnt lgkmcnt(4)
	v_dual_fmac_f32 v139, v6, v142 :: v_dual_mul_f32 v6, v164, v165
	ds_bpermute_b32 v142, v2, v7 offset:64
	s_waitcnt lgkmcnt(4)
	v_fmac_f32_e32 v139, v5, v143
	v_mul_f32_e32 v5, v163, v166
	ds_bpermute_b32 v143, v2, v7 offset:68
	s_waitcnt lgkmcnt(4)
	v_dual_fmac_f32 v139, v6, v140 :: v_dual_mul_f32 v6, v168, v169
	ds_bpermute_b32 v140, v2, v7 offset:72
	s_waitcnt lgkmcnt(4)
	v_fmac_f32_e32 v139, v5, v141
	v_mul_f32_e32 v5, v167, v170
	;; [unrolled: 7-line block ×4, first 2 shown]
	ds_bpermute_b32 v140, v2, v7 offset:92
	s_waitcnt lgkmcnt(4)
	v_fmac_f32_e32 v139, v6, v141
	v_mul_f32_e32 v6, v180, v181
	ds_bpermute_b32 v141, v2, v7 offset:96
	s_waitcnt lgkmcnt(4)
	v_fmac_f32_e32 v139, v5, v8
	v_mul_f32_e32 v5, v179, v182
	ds_bpermute_b32 v8, v2, v7 offset:100
	s_waitcnt lgkmcnt(4)
	v_dual_fmac_f32 v139, v6, v142 :: v_dual_mul_f32 v6, v184, v185
	ds_bpermute_b32 v142, v2, v7 offset:104
	s_waitcnt lgkmcnt(4)
	v_fmac_f32_e32 v139, v5, v143
	v_mul_f32_e32 v5, v183, v186
	ds_bpermute_b32 v143, v2, v7 offset:108
	s_waitcnt lgkmcnt(4)
	v_dual_fmac_f32 v139, v6, v140 :: v_dual_mul_f32 v6, v188, v190
	;; [unrolled: 7-line block ×3, first 2 shown]
	s_waitcnt lgkmcnt(3)
	s_delay_alu instid0(VALU_DEP_1)
	v_dual_mul_f32 v8, v192, v195 :: v_dual_fmac_f32 v139, v5, v142
	ds_bpermute_b32 v5, v2, v7 offset:120
	ds_bpermute_b32 v7, v2, v7 offset:124
	s_waitcnt lgkmcnt(4)
	v_dual_fmac_f32 v139, v6, v143 :: v_dual_mul_f32 v6, v197, v198
	s_waitcnt lgkmcnt(3)
	s_delay_alu instid0(VALU_DEP_1) | instskip(SKIP_1) | instid1(VALU_DEP_1)
	v_fmac_f32_e32 v139, v8, v140
	s_waitcnt lgkmcnt(2)
	v_dual_fmac_f32 v139, v6, v141 :: v_dual_mul_f32 v6, v196, v199
	s_waitcnt lgkmcnt(1)
	s_delay_alu instid0(VALU_DEP_1) | instskip(NEXT) | instid1(VALU_DEP_1)
	v_fmac_f32_e32 v139, v6, v5
	v_mov_b32_e32 v144, v139
.LBB176_137:                            ;   in Loop: Header=BB176_3 Depth=1
	v_add_co_u32 v1, vcc_lo, v1, s12
	v_add_co_ci_u32_e32 v13, vcc_lo, s13, v13, vcc_lo
	v_add_co_u32 v14, vcc_lo, v14, s12
	v_add_co_ci_u32_e32 v15, vcc_lo, s13, v15, vcc_lo
	;; [unrolled: 2-line block ×62, first 2 shown]
	v_add_co_u32 v135, vcc_lo, v135, s12
	s_add_u32 s24, s24, s27
	v_add_co_ci_u32_e32 v136, vcc_lo, s13, v136, vcc_lo
	s_addc_u32 s25, s25, 0
	v_add_co_u32 v137, vcc_lo, v137, s12
	v_add_co_ci_u32_e32 v138, vcc_lo, s13, v138, vcc_lo
	v_cmp_lt_i64_e64 s28, s[24:25], s[16:17]
	v_add_co_u32 v10, vcc_lo, v10, s27
	s_waitcnt lgkmcnt(0)
	v_fmac_f32_e32 v144, v189, v7
	v_add_co_ci_u32_e32 v12, vcc_lo, 0, v12, vcc_lo
	s_add_u32 s4, s4, s27
	s_addc_u32 s5, s5, 0
	s_and_b32 vcc_lo, exec_lo, s28
	s_cbranch_vccz .LBB176_142
; %bb.138:                              ;   in Loop: Header=BB176_3 Depth=1
	v_mov_b32_e32 v139, v144
	s_branch .LBB176_3
.LBB176_139:                            ;   in Loop: Header=BB176_3 Depth=1
	v_add_co_u32 v197, vcc_lo, v20, v3
	v_add_co_ci_u32_e32 v198, vcc_lo, v21, v4, vcc_lo
	v_add_co_u32 v199, vcc_lo, v22, v3
	v_add_co_ci_u32_e32 v200, vcc_lo, v23, v4, vcc_lo
	global_load_u16 v189, v[197:198], off
	global_load_u16 v198, v[199:200], off
	s_waitcnt vmcnt(1)
	v_cvt_f32_f16_e64 v197, v189
	s_waitcnt vmcnt(0)
	v_cvt_f32_f16_e64 v198, v198
	s_or_b32 exec_lo, exec_lo, s28
	v_mov_b32_e32 v199, 0
	s_and_saveexec_b32 s28, s3
	s_cbranch_execz .LBB176_134
.LBB176_140:                            ;   in Loop: Header=BB176_3 Depth=1
	v_add_co_u32 v199, vcc_lo, v16, v3
	v_add_co_ci_u32_e32 v200, vcc_lo, v17, v4, vcc_lo
	v_add_co_u32 v201, vcc_lo, v18, v3
	v_add_co_ci_u32_e32 v202, vcc_lo, v19, v4, vcc_lo
	global_load_u16 v189, v[199:200], off
	global_load_u16 v199, v[201:202], off
	s_waitcnt vmcnt(1)
	v_cvt_f32_f16_e64 v196, v189
	s_waitcnt vmcnt(0)
	v_cvt_f32_f16_e64 v199, v199
	s_or_b32 exec_lo, exec_lo, s28
	v_mov_b32_e32 v189, 0
	s_and_saveexec_b32 s28, s3
	s_cbranch_execnz .LBB176_135
	s_branch .LBB176_136
.LBB176_141:
                                        ; implicit-def: $vgpr144
	s_load_b64 s[4:5], s[0:1], 0x30
	s_branch .LBB176_143
.LBB176_142:
	s_load_b64 s[4:5], s[0:1], 0x30
	s_cbranch_execnz .LBB176_220
.LBB176_143:
	v_mov_b32_e32 v144, 0
	s_and_not1_b32 vcc_lo, exec_lo, s26
	s_cbranch_vccnz .LBB176_220
; %bb.144:
	v_bfe_u32 v7, v207, 10, 10
	s_add_u32 s10, s0, 64
	s_addc_u32 s11, s1, 0
	s_lshl_b64 s[12:13], s[8:9], 1
	s_delay_alu instid0(VALU_DEP_1) | instskip(NEXT) | instid1(VALU_DEP_1)
	v_lshlrev_b32_e32 v0, 6, v7
	v_add_co_u32 v121, s3, v0, s12
	s_delay_alu instid0(VALU_DEP_1) | instskip(NEXT) | instid1(VALU_DEP_2)
	v_add_co_ci_u32_e64 v122, null, 0, s13, s3
	v_add_co_u32 v11, vcc_lo, v121, 2
	s_delay_alu instid0(VALU_DEP_2) | instskip(SKIP_3) | instid1(VALU_DEP_4)
	v_add_co_ci_u32_e32 v0, vcc_lo, 0, v122, vcc_lo
	v_add_co_u32 v15, vcc_lo, v121, 4
	v_add_co_ci_u32_e32 v5, vcc_lo, 0, v122, vcc_lo
	v_add_co_u32 v19, vcc_lo, v121, 6
	v_mul_lo_u32 v18, s18, v0
	v_add_co_ci_u32_e32 v0, vcc_lo, 0, v122, vcc_lo
	v_add_co_u32 v24, vcc_lo, v121, 8
	v_add_co_ci_u32_e32 v9, vcc_lo, 0, v122, vcc_lo
	s_delay_alu instid0(VALU_DEP_3)
	v_mul_lo_u32 v22, s18, v0
	v_lshlrev_b32_e32 v0, 5, v7
	scratch_store_b32 off, v7, off offset:284 ; 4-byte Folded Spill
	v_add_co_u32 v25, vcc_lo, v121, 10
	v_mad_u64_u32 v[1:2], null, s18, v11, s[20:21]
	scratch_store_b32 off, v0, off          ; 4-byte Folded Spill
	v_add_co_u32 v0, s3, v0, s8
	s_delay_alu instid0(VALU_DEP_1) | instskip(SKIP_1) | instid1(VALU_DEP_3)
	v_add_co_ci_u32_e64 v133, null, 0, 0, s3
	v_mul_lo_u32 v17, s19, v11
	v_mul_lo_u32 v14, s19, v0
	v_mad_u64_u32 v[135:136], null, s18, v0, 0
	s_delay_alu instid0(VALU_DEP_4)
	v_mul_lo_u32 v16, s18, v133
	v_add_co_ci_u32_e32 v13, vcc_lo, 0, v122, vcc_lo
	v_mul_lo_u32 v26, s18, v9
	v_mad_u64_u32 v[9:10], null, s18, v11, s[22:23]
	v_mad_u64_u32 v[3:4], null, s18, v15, s[20:21]
	v_mul_lo_u32 v20, s18, v5
	v_mul_lo_u32 v21, s19, v15
	v_mad_u64_u32 v[5:6], null, s18, v19, s[20:21]
	v_mul_lo_u32 v23, s19, v19
	v_mul_lo_u32 v28, s18, v13
	v_add3_u32 v136, v136, v16, v14
	v_mad_u64_u32 v[13:14], null, s18, v15, s[22:23]
	v_mad_u64_u32 v[15:16], null, s18, v19, s[22:23]
	v_add3_u32 v2, v17, v2, v18
	v_mad_u64_u32 v[7:8], null, s18, v24, s[20:21]
	v_mul_lo_u32 v27, s19, v24
	v_add3_u32 v10, v17, v10, v18
	v_mad_u64_u32 v[17:18], null, s18, v24, s[22:23]
	v_add_co_u32 v30, vcc_lo, v121, 12
	v_add3_u32 v4, v21, v4, v20
	v_add3_u32 v6, v23, v6, v22
	v_mad_u64_u32 v[11:12], null, s18, v25, s[20:21]
	v_mul_lo_u32 v29, s19, v25
	v_add_co_ci_u32_e32 v31, vcc_lo, 0, v122, vcc_lo
	v_add3_u32 v14, v21, v14, v20
	v_add3_u32 v16, v23, v16, v22
	v_mad_u64_u32 v[21:22], null, s18, v25, s[22:23]
	v_mad_u64_u32 v[19:20], null, s18, v30, s[20:21]
	v_mul_lo_u32 v32, s19, v30
	v_mad_u64_u32 v[23:24], null, s18, v30, s[22:23]
	v_add_co_u32 v30, vcc_lo, v121, 14
	v_add3_u32 v8, v27, v8, v26
	v_add3_u32 v18, v27, v18, v26
	v_add_co_ci_u32_e32 v27, vcc_lo, 0, v122, vcc_lo
	v_mul_lo_u32 v31, s18, v31
	v_add3_u32 v12, v29, v12, v28
	v_add3_u32 v22, v29, v22, v28
	v_mad_u64_u32 v[25:26], null, s18, v30, s[20:21]
	v_mul_lo_u32 v29, s18, v27
	v_mul_lo_u32 v33, s19, v30
	v_mad_u64_u32 v[27:28], null, s18, v30, s[22:23]
	v_add_co_u32 v34, vcc_lo, v121, 16
	v_add_co_ci_u32_e32 v30, vcc_lo, 0, v122, vcc_lo
	v_add3_u32 v20, v32, v20, v31
	v_add3_u32 v24, v32, v24, v31
	;; [unrolled: 1-line block ×4, first 2 shown]
	v_mul_lo_u32 v33, s18, v30
	v_mul_lo_u32 v35, s19, v34
	v_mad_u64_u32 v[29:30], null, s18, v34, s[20:21]
	v_mad_u64_u32 v[31:32], null, s18, v34, s[22:23]
	v_add_co_u32 v37, vcc_lo, v121, 18
	v_lshlrev_b64 v[137:138], 1, v[135:136]
	s_load_b32 s3, s[0:1], 0x44
	s_delay_alu instid0(VALU_DEP_4) | instskip(NEXT) | instid1(VALU_DEP_3)
	v_add3_u32 v30, v35, v30, v33
	v_mul_lo_u32 v39, s19, v37
	v_add3_u32 v32, v35, v32, v33
	v_add_co_ci_u32_e32 v33, vcc_lo, 0, v122, vcc_lo
	v_mad_u64_u32 v[35:36], null, s18, v37, s[22:23]
	v_add_co_u32 v41, vcc_lo, v121, 20
	s_delay_alu instid0(VALU_DEP_3) | instskip(SKIP_2) | instid1(VALU_DEP_4)
	v_mul_lo_u32 v38, s18, v33
	v_mad_u64_u32 v[33:34], null, s18, v37, s[20:21]
	v_add_co_ci_u32_e32 v37, vcc_lo, 0, v122, vcc_lo
	v_mul_lo_u32 v43, s19, v41
	v_add_co_u32 v45, vcc_lo, v121, 22
	v_add3_u32 v36, v39, v36, v38
	v_add3_u32 v34, v39, v34, v38
	v_mul_lo_u32 v42, s18, v37
	v_mad_u64_u32 v[37:38], null, s18, v41, s[20:21]
	v_mad_u64_u32 v[39:40], null, s18, v41, s[22:23]
	v_add_co_ci_u32_e32 v41, vcc_lo, 0, v122, vcc_lo
	v_mul_lo_u32 v47, s19, v45
	v_add_co_u32 v49, vcc_lo, v121, 24
	v_add3_u32 v38, v43, v38, v42
	v_add3_u32 v40, v43, v40, v42
	v_mul_lo_u32 v46, s18, v41
	v_mad_u64_u32 v[41:42], null, s18, v45, s[20:21]
	;; [unrolled: 8-line block ×20, first 2 shown]
	v_mad_u64_u32 v[115:116], null, s18, v117, s[22:23]
	v_add_co_ci_u32_e32 v117, vcc_lo, 0, v122, vcc_lo
	v_mul_lo_u32 v125, s19, v123
	s_waitcnt lgkmcnt(0)
	s_lshl_b32 s3, s3, 5
	s_delay_alu instid0(VALU_DEP_4)
	v_add3_u32 v114, v119, v114, v118
	v_mul_lo_u32 v124, s18, v117
	v_add3_u32 v116, v119, v116, v118
	v_mad_u64_u32 v[117:118], null, s18, v123, s[20:21]
	v_mad_u64_u32 v[119:120], null, s18, v123, s[22:23]
	s_mul_i32 s12, s19, s3
	s_mul_hi_u32 s13, s18, s3
	s_delay_alu instid0(SALU_CYCLE_1) | instskip(NEXT) | instid1(VALU_DEP_2)
	s_add_i32 s13, s13, s12
	v_add3_u32 v118, v125, v118, v124
	s_mul_i32 s12, s18, s3
	s_delay_alu instid0(VALU_DEP_2) | instskip(SKIP_3) | instid1(VALU_DEP_2)
	v_add3_u32 v120, v125, v120, v124
	v_add_co_u32 v125, vcc_lo, v121, 62
	v_add_co_ci_u32_e32 v121, vcc_lo, 0, v122, vcc_lo
	s_lshl_b64 s[12:13], s[12:13], 1
	v_mul_lo_u32 v127, s19, v125
	v_mad_u64_u32 v[123:124], null, s18, v125, s[22:23]
	s_delay_alu instid0(VALU_DEP_3) | instskip(SKIP_2) | instid1(VALU_DEP_3)
	v_mul_lo_u32 v126, s18, v121
	v_mad_u64_u32 v[121:122], null, s18, v125, s[20:21]
	v_add_co_u32 v125, vcc_lo, v0, 31
	v_add3_u32 v124, v127, v124, v126
	s_delay_alu instid0(VALU_DEP_3) | instskip(SKIP_1) | instid1(VALU_DEP_4)
	v_add3_u32 v122, v127, v122, v126
	v_add_co_ci_u32_e32 v126, vcc_lo, 0, v133, vcc_lo
	v_mul_lo_u32 v129, s19, v125
	v_mad_u64_u32 v[127:128], null, s18, v125, 0
	s_delay_alu instid0(VALU_DEP_3) | instskip(SKIP_1) | instid1(VALU_DEP_1)
	v_mul_lo_u32 v126, s18, v126
	v_add_co_u32 v125, vcc_lo, v0, 30
	v_mul_lo_u32 v131, s19, v125
	s_delay_alu instid0(VALU_DEP_3) | instskip(SKIP_3) | instid1(VALU_DEP_3)
	v_add3_u32 v128, v128, v126, v129
	v_add_co_ci_u32_e32 v126, vcc_lo, 0, v133, vcc_lo
	v_mad_u64_u32 v[129:130], null, s18, v125, 0
	v_add_co_u32 v125, vcc_lo, v0, 29
	v_mul_lo_u32 v126, s18, v126
	v_lshlrev_b64 v[127:128], 1, v[127:128]
	s_delay_alu instid0(VALU_DEP_3) | instskip(NEXT) | instid1(VALU_DEP_3)
	v_mul_lo_u32 v134, s19, v125
	v_add3_u32 v130, v130, v126, v131
	v_add_co_ci_u32_e32 v126, vcc_lo, 0, v133, vcc_lo
	v_mad_u64_u32 v[131:132], null, s18, v125, 0
	v_add_co_u32 v125, vcc_lo, v0, 28
	s_delay_alu instid0(VALU_DEP_3) | instskip(NEXT) | instid1(VALU_DEP_2)
	v_mul_lo_u32 v126, s18, v126
	v_mad_u64_u32 v[139:140], null, s18, v125, 0
	s_delay_alu instid0(VALU_DEP_2) | instskip(SKIP_3) | instid1(VALU_DEP_3)
	v_add3_u32 v132, v132, v126, v134
	v_add_co_ci_u32_e32 v126, vcc_lo, 0, v133, vcc_lo
	v_mul_lo_u32 v134, s19, v125
	v_add_co_u32 v125, vcc_lo, v0, 27
	v_mul_lo_u32 v126, s18, v126
	s_delay_alu instid0(VALU_DEP_2) | instskip(NEXT) | instid1(VALU_DEP_2)
	v_mad_u64_u32 v[141:142], null, s18, v125, 0
	v_add3_u32 v140, v140, v126, v134
	v_add_co_ci_u32_e32 v126, vcc_lo, 0, v133, vcc_lo
	v_mul_lo_u32 v134, s19, v125
	v_add_co_u32 v125, vcc_lo, v0, 26
	s_delay_alu instid0(VALU_DEP_3) | instskip(NEXT) | instid1(VALU_DEP_2)
	v_mul_lo_u32 v126, s18, v126
	v_mad_u64_u32 v[143:144], null, s18, v125, 0
	s_delay_alu instid0(VALU_DEP_2) | instskip(SKIP_3) | instid1(VALU_DEP_3)
	v_add3_u32 v142, v142, v126, v134
	v_add_co_ci_u32_e32 v126, vcc_lo, 0, v133, vcc_lo
	v_mul_lo_u32 v134, s19, v125
	v_add_co_u32 v125, vcc_lo, v0, 25
	v_mul_lo_u32 v126, s18, v126
	s_delay_alu instid0(VALU_DEP_2) | instskip(NEXT) | instid1(VALU_DEP_2)
	v_mad_u64_u32 v[145:146], null, s18, v125, 0
	v_add3_u32 v144, v144, v126, v134
	v_add_co_ci_u32_e32 v126, vcc_lo, 0, v133, vcc_lo
	v_mul_lo_u32 v134, s19, v125
	;; [unrolled: 15-line block ×13, first 2 shown]
	v_add_co_u32 v0, vcc_lo, v0, 2
	s_delay_alu instid0(VALU_DEP_3) | instskip(SKIP_1) | instid1(VALU_DEP_1)
	v_mul_lo_u32 v126, s18, v126
	v_add_co_ci_u32_e32 v125, vcc_lo, 0, v133, vcc_lo
	v_mul_lo_u32 v125, s18, v125
	s_delay_alu instid0(VALU_DEP_3) | instskip(SKIP_2) | instid1(VALU_DEP_1)
	v_add3_u32 v252, v252, v126, v134
	v_mul_lo_u32 v126, s19, v0
	v_mad_u64_u32 v[133:134], null, s18, v0, 0
	v_add3_u32 v134, v134, v125, v126
	v_add_co_u32 v125, vcc_lo, v135, s18
	v_add_co_ci_u32_e32 v126, vcc_lo, s19, v136, vcc_lo
	v_add_co_u32 v135, vcc_lo, s20, v137
	v_add_co_ci_u32_e32 v136, vcc_lo, s21, v138, vcc_lo
	;; [unrolled: 2-line block ×3, first 2 shown]
	v_add_co_u32 v0, vcc_lo, s20, v127
	v_lshlrev_b64 v[125:126], 1, v[125:126]
	scratch_store_b32 off, v0, off offset:4 ; 4-byte Folded Spill
	v_add_co_ci_u32_e32 v0, vcc_lo, s21, v128, vcc_lo
	scratch_store_b32 off, v0, off offset:8 ; 4-byte Folded Spill
	v_add_co_u32 v0, vcc_lo, s22, v127
	scratch_store_b32 off, v0, off offset:12 ; 4-byte Folded Spill
	v_add_co_ci_u32_e32 v0, vcc_lo, s23, v128, vcc_lo
	v_lshlrev_b64 v[127:128], 1, v[129:130]
	v_mov_b32_e32 v129, v207
	s_clause 0x1
	scratch_store_b32 off, v0, off offset:16
	scratch_store_b32 off, v129, off offset:292
	v_add_co_u32 v0, vcc_lo, s20, v127
	scratch_store_b32 off, v0, off offset:20 ; 4-byte Folded Spill
	v_add_co_ci_u32_e32 v0, vcc_lo, s21, v128, vcc_lo
	scratch_store_b32 off, v0, off offset:24 ; 4-byte Folded Spill
	v_add_co_u32 v0, vcc_lo, s22, v127
	scratch_store_b32 off, v0, off offset:28 ; 4-byte Folded Spill
	v_add_co_ci_u32_e32 v0, vcc_lo, s23, v128, vcc_lo
	v_lshlrev_b64 v[127:128], 1, v[131:132]
	scratch_store_b32 off, v0, off offset:32 ; 4-byte Folded Spill
	v_add_co_u32 v0, vcc_lo, s20, v127
	scratch_store_b32 off, v0, off offset:36 ; 4-byte Folded Spill
	v_add_co_ci_u32_e32 v0, vcc_lo, s21, v128, vcc_lo
	scratch_store_b32 off, v0, off offset:40 ; 4-byte Folded Spill
	v_add_co_u32 v0, vcc_lo, s22, v127
	scratch_store_b32 off, v0, off offset:44 ; 4-byte Folded Spill
	v_add_co_ci_u32_e32 v0, vcc_lo, s23, v128, vcc_lo
	v_lshlrev_b64 v[127:128], 1, v[139:140]
	scratch_store_b32 off, v0, off offset:48 ; 4-byte Folded Spill
	;; [unrolled: 9-line block ×4, first 2 shown]
	v_add_co_u32 v0, vcc_lo, s20, v127
	scratch_store_b32 off, v0, off offset:84 ; 4-byte Folded Spill
	v_add_co_ci_u32_e32 v0, vcc_lo, s21, v128, vcc_lo
	scratch_store_b32 off, v0, off offset:88 ; 4-byte Folded Spill
	v_add_co_u32 v0, vcc_lo, s22, v127
	scratch_store_b32 off, v0, off offset:92 ; 4-byte Folded Spill
	v_add_co_ci_u32_e32 v0, vcc_lo, s23, v128, vcc_lo
	v_lshlrev_b64 v[127:128], 1, v[145:146]
	v_mov_b32_e32 v145, 0
	scratch_store_b32 off, v0, off offset:96 ; 4-byte Folded Spill
	v_add_co_u32 v0, vcc_lo, s20, v127
	scratch_store_b32 off, v0, off offset:100 ; 4-byte Folded Spill
	v_add_co_ci_u32_e32 v0, vcc_lo, s21, v128, vcc_lo
	scratch_store_b32 off, v0, off offset:104 ; 4-byte Folded Spill
	v_add_co_u32 v0, vcc_lo, s22, v127
	scratch_store_b32 off, v0, off offset:108 ; 4-byte Folded Spill
	v_add_co_ci_u32_e32 v0, vcc_lo, s23, v128, vcc_lo
	v_lshlrev_b64 v[127:128], 1, v[147:148]
	scratch_store_b32 off, v0, off offset:112 ; 4-byte Folded Spill
	v_add_co_u32 v0, vcc_lo, s20, v127
	scratch_store_b32 off, v0, off offset:116 ; 4-byte Folded Spill
	v_add_co_ci_u32_e32 v0, vcc_lo, s21, v128, vcc_lo
	scratch_store_b32 off, v0, off offset:120 ; 4-byte Folded Spill
	v_add_co_u32 v0, vcc_lo, s22, v127
	scratch_store_b32 off, v0, off offset:124 ; 4-byte Folded Spill
	v_add_co_ci_u32_e32 v0, vcc_lo, s23, v128, vcc_lo
	v_lshlrev_b64 v[127:128], 1, v[149:150]
	;; [unrolled: 9-line block ×4, first 2 shown]
	scratch_store_b32 off, v0, off offset:160 ; 4-byte Folded Spill
	v_add_co_u32 v0, vcc_lo, s20, v127
	v_add_co_ci_u32_e32 v180, vcc_lo, s21, v128, vcc_lo
	v_add_co_u32 v181, vcc_lo, s22, v127
	v_add_co_ci_u32_e32 v182, vcc_lo, s23, v128, vcc_lo
	v_lshlrev_b64 v[127:128], 1, v[155:156]
	scratch_store_b32 off, v0, off offset:164 ; 4-byte Folded Spill
	v_add_co_u32 v183, vcc_lo, s20, v127
	v_add_co_ci_u32_e32 v184, vcc_lo, s21, v128, vcc_lo
	v_add_co_u32 v185, vcc_lo, s22, v127
	v_add_co_ci_u32_e32 v186, vcc_lo, s23, v128, vcc_lo
	v_lshlrev_b64 v[127:128], 1, v[157:158]
	s_delay_alu instid0(VALU_DEP_1) | instskip(NEXT) | instid1(VALU_DEP_2)
	v_add_co_u32 v187, vcc_lo, s20, v127
	v_add_co_ci_u32_e32 v188, vcc_lo, s21, v128, vcc_lo
	v_add_co_u32 v189, vcc_lo, s22, v127
	v_add_co_ci_u32_e32 v190, vcc_lo, s23, v128, vcc_lo
	v_lshlrev_b64 v[127:128], 1, v[159:160]
	s_delay_alu instid0(VALU_DEP_1) | instskip(NEXT) | instid1(VALU_DEP_2)
	;; [unrolled: 6-line block ×16, first 2 shown]
	v_add_co_u32 v247, vcc_lo, s20, v127
	v_add_co_ci_u32_e32 v248, vcc_lo, s21, v128, vcc_lo
	v_add_co_u32 v249, vcc_lo, s22, v127
	v_add_co_ci_u32_e32 v0, vcc_lo, s23, v128, vcc_lo
	v_lshlrev_b64 v[127:128], 1, v[251:252]
	scratch_store_b32 off, v0, off offset:168 ; 4-byte Folded Spill
	v_add_co_u32 v0, vcc_lo, s20, v127
	scratch_store_b32 off, v0, off offset:172 ; 4-byte Folded Spill
	v_add_co_ci_u32_e32 v0, vcc_lo, s21, v128, vcc_lo
	v_add_co_u32 v253, vcc_lo, s22, v127
	v_add_co_ci_u32_e32 v254, vcc_lo, s23, v128, vcc_lo
	v_lshlrev_b64 v[127:128], 1, v[133:134]
	scratch_store_b32 off, v0, off offset:176 ; 4-byte Folded Spill
	v_add_co_u32 v255, vcc_lo, s20, v127
	v_add_co_ci_u32_e32 v133, vcc_lo, s21, v128, vcc_lo
	v_add_co_u32 v0, vcc_lo, s22, v127
	v_add_co_ci_u32_e32 v134, vcc_lo, s23, v128, vcc_lo
	v_add_co_u32 v139, vcc_lo, s20, v125
	v_add_co_ci_u32_e32 v140, vcc_lo, s21, v126, vcc_lo
	v_add_co_u32 v141, vcc_lo, s22, v125
	v_and_b32_e32 v125, 0x3ff, v129
	v_add_co_ci_u32_e32 v142, vcc_lo, s23, v126, vcc_lo
	v_mov_b32_e32 v126, 0
	s_mov_b64 s[20:21], 31
	scratch_store_b32 off, v125, off offset:288 ; 4-byte Folded Spill
	v_add_nc_u32_e32 v125, s15, v125
	s_mov_b64 s[22:23], s[8:9]
	v_mov_b32_e32 v143, v126
	s_delay_alu instid0(VALU_DEP_2)
	v_lshlrev_b64 v[127:128], 1, v[125:126]
.LBB176_145:                            ; =>This Inner Loop Header: Depth=1
	scratch_load_b32 v125, off, off         ; 4-byte Folded Reload
	s_add_u32 s24, s8, s20
	s_addc_u32 s25, 0, s21
	s_delay_alu instid0(SALU_CYCLE_1) | instskip(SKIP_3) | instid1(VALU_DEP_3)
	v_cmp_ge_i64_e64 s9, s[24:25], s[16:17]
	s_waitcnt vmcnt(0)
	v_add_co_u32 v129, vcc_lo, s8, v125
	v_add_co_ci_u32_e32 v130, vcc_lo, 0, v143, vcc_lo
	s_and_b32 vcc_lo, exec_lo, s9
	s_cbranch_vccz .LBB176_213
; %bb.146:                              ;   in Loop: Header=BB176_145 Depth=1
	s_load_b32 s9, s[10:11], 0xc
	s_clause 0x1
	scratch_load_b32 v125, off, off offset:284
	scratch_load_b32 v131, off, off offset:288
	v_mov_b32_e32 v176, 0
	s_waitcnt lgkmcnt(0)
	s_and_b32 s9, s9, 0xffff
	s_waitcnt vmcnt(0)
	v_mad_u32_u24 v125, v125, s9, v131
	s_mov_b32 s9, exec_lo
	s_delay_alu instid0(VALU_DEP_1) | instskip(NEXT) | instid1(VALU_DEP_1)
	v_and_b32_e32 v125, 31, v125
	v_add_co_u32 v131, vcc_lo, v129, v125
	v_add_co_ci_u32_e32 v132, vcc_lo, 0, v130, vcc_lo
	v_mov_b32_e32 v125, 0
	s_delay_alu instid0(VALU_DEP_2)
	v_cmpx_gt_i64_e64 s[16:17], v[131:132]
	s_cbranch_execz .LBB176_148
; %bb.147:                              ;   in Loop: Header=BB176_145 Depth=1
	v_lshlrev_b64 v[131:132], 2, v[131:132]
	s_delay_alu instid0(VALU_DEP_1) | instskip(NEXT) | instid1(VALU_DEP_2)
	v_add_co_u32 v131, vcc_lo, s6, v131
	v_add_co_ci_u32_e32 v132, vcc_lo, s7, v132, vcc_lo
	global_load_b32 v125, v[131:132], off
.LBB176_148:                            ;   in Loop: Header=BB176_145 Depth=1
	s_or_b32 exec_lo, exec_lo, s9
	v_mov_b32_e32 v177, 0
	s_mov_b32 s9, exec_lo
	v_cmpx_gt_i64_e64 s[16:17], v[129:130]
	s_cbranch_execz .LBB176_150
; %bb.149:                              ;   in Loop: Header=BB176_145 Depth=1
	v_add_co_u32 v131, vcc_lo, v135, v127
	v_add_co_ci_u32_e32 v132, vcc_lo, v136, v128, vcc_lo
	v_add_co_u32 v146, vcc_lo, v137, v127
	v_add_co_ci_u32_e32 v147, vcc_lo, v138, v128, vcc_lo
	global_load_u16 v131, v[131:132], off
	global_load_u16 v132, v[146:147], off
	s_waitcnt vmcnt(1)
	v_cvt_f32_f16_e64 v176, v131
	s_waitcnt vmcnt(0)
	v_cvt_f32_f16_e64 v177, v132
.LBB176_150:                            ;   in Loop: Header=BB176_145 Depth=1
	s_or_b32 exec_lo, exec_lo, s9
	v_add_co_u32 v131, vcc_lo, v129, 1
	v_add_co_ci_u32_e32 v132, vcc_lo, 0, v130, vcc_lo
	v_dual_mov_b32 v178, 0 :: v_dual_mov_b32 v179, 0
	v_mov_b32_e32 v144, 0
	s_mov_b32 s9, exec_lo
	s_delay_alu instid0(VALU_DEP_3)
	v_cmpx_gt_i64_e64 s[16:17], v[131:132]
	s_cbranch_execz .LBB176_152
; %bb.151:                              ;   in Loop: Header=BB176_145 Depth=1
	v_add_co_u32 v131, vcc_lo, v139, v127
	v_add_co_ci_u32_e32 v132, vcc_lo, v140, v128, vcc_lo
	v_add_co_u32 v146, vcc_lo, v141, v127
	v_add_co_ci_u32_e32 v147, vcc_lo, v142, v128, vcc_lo
	global_load_u16 v131, v[131:132], off
	global_load_u16 v132, v[146:147], off
	s_waitcnt vmcnt(1)
	v_cvt_f32_f16_e64 v179, v131
	s_waitcnt vmcnt(0)
	v_cvt_f32_f16_e64 v144, v132
.LBB176_152:                            ;   in Loop: Header=BB176_145 Depth=1
	s_or_b32 exec_lo, exec_lo, s9
	v_add_co_u32 v131, vcc_lo, v129, 2
	v_add_co_ci_u32_e32 v132, vcc_lo, 0, v130, vcc_lo
	v_mov_b32_e32 v175, 0
	s_mov_b32 s9, exec_lo
	s_delay_alu instid0(VALU_DEP_2)
	v_cmpx_gt_i64_e64 s[16:17], v[131:132]
	s_cbranch_execz .LBB176_154
; %bb.153:                              ;   in Loop: Header=BB176_145 Depth=1
	v_add_co_u32 v131, vcc_lo, v255, v127
	v_add_co_ci_u32_e32 v132, vcc_lo, v133, v128, vcc_lo
	v_add_co_u32 v146, vcc_lo, v0, v127
	v_add_co_ci_u32_e32 v147, vcc_lo, v134, v128, vcc_lo
	global_load_u16 v131, v[131:132], off
	global_load_u16 v132, v[146:147], off
	s_waitcnt vmcnt(1)
	v_cvt_f32_f16_e64 v178, v131
	s_waitcnt vmcnt(0)
	v_cvt_f32_f16_e64 v175, v132
.LBB176_154:                            ;   in Loop: Header=BB176_145 Depth=1
	s_or_b32 exec_lo, exec_lo, s9
	v_add_co_u32 v131, vcc_lo, v129, 3
	v_add_co_ci_u32_e32 v132, vcc_lo, 0, v130, vcc_lo
	v_dual_mov_b32 v250, 0 :: v_dual_mov_b32 v251, 0
	s_delay_alu instid0(VALU_DEP_2)
	v_cmp_gt_i64_e32 vcc_lo, s[16:17], v[131:132]
	v_mov_b32_e32 v131, 0
	scratch_store_b32 off, v131, off offset:180 ; 4-byte Folded Spill
	s_and_saveexec_b32 s9, vcc_lo
	s_cbranch_execz .LBB176_156
; %bb.155:                              ;   in Loop: Header=BB176_145 Depth=1
	s_clause 0x1
	scratch_load_b32 v131, off, off offset:172
	scratch_load_b32 v132, off, off offset:176
	s_waitcnt vmcnt(1)
	v_add_co_u32 v131, vcc_lo, v131, v127
	s_waitcnt vmcnt(0)
	v_add_co_ci_u32_e32 v132, vcc_lo, v132, v128, vcc_lo
	v_add_co_u32 v146, vcc_lo, v253, v127
	v_add_co_ci_u32_e32 v147, vcc_lo, v254, v128, vcc_lo
	global_load_u16 v131, v[131:132], off
	global_load_u16 v132, v[146:147], off
	s_waitcnt vmcnt(1)
	v_cvt_f32_f16_e64 v251, v131
	s_waitcnt vmcnt(0)
	v_cvt_f32_f16_e64 v131, v132
	scratch_store_b32 off, v131, off offset:180 ; 4-byte Folded Spill
.LBB176_156:                            ;   in Loop: Header=BB176_145 Depth=1
	s_or_b32 exec_lo, exec_lo, s9
	v_add_co_u32 v131, vcc_lo, v129, 4
	v_add_co_ci_u32_e32 v132, vcc_lo, 0, v130, vcc_lo
	s_delay_alu instid0(VALU_DEP_1)
	v_cmp_gt_i64_e32 vcc_lo, s[16:17], v[131:132]
	v_mov_b32_e32 v131, 0
	scratch_store_b32 off, v131, off offset:184 ; 4-byte Folded Spill
	s_and_saveexec_b32 s9, vcc_lo
	s_cbranch_execz .LBB176_158
; %bb.157:                              ;   in Loop: Header=BB176_145 Depth=1
	scratch_load_b32 v147, off, off offset:168 ; 4-byte Folded Reload
	v_add_co_u32 v131, vcc_lo, v247, v127
	v_add_co_ci_u32_e32 v132, vcc_lo, v248, v128, vcc_lo
	v_add_co_u32 v146, vcc_lo, v249, v127
	s_waitcnt vmcnt(0)
	v_add_co_ci_u32_e32 v147, vcc_lo, v147, v128, vcc_lo
	global_load_u16 v131, v[131:132], off
	global_load_u16 v132, v[146:147], off
	s_waitcnt vmcnt(1)
	v_cvt_f32_f16_e64 v250, v131
	s_waitcnt vmcnt(0)
	v_cvt_f32_f16_e64 v131, v132
	scratch_store_b32 off, v131, off offset:184 ; 4-byte Folded Spill
.LBB176_158:                            ;   in Loop: Header=BB176_145 Depth=1
	s_or_b32 exec_lo, exec_lo, s9
	v_add_co_u32 v131, vcc_lo, v129, 5
	v_add_co_ci_u32_e32 v132, vcc_lo, 0, v130, vcc_lo
	v_mov_b32_e32 v146, 0
	s_delay_alu instid0(VALU_DEP_2)
	v_cmp_gt_i64_e32 vcc_lo, s[16:17], v[131:132]
	v_mov_b32_e32 v131, 0
	s_clause 0x1
	scratch_store_b32 off, v146, off offset:188
	scratch_store_b32 off, v131, off offset:192
	v_mov_b32_e32 v131, 0
	scratch_store_b32 off, v131, off offset:196 ; 4-byte Folded Spill
	s_and_saveexec_b32 s9, vcc_lo
	s_cbranch_execz .LBB176_160
; %bb.159:                              ;   in Loop: Header=BB176_145 Depth=1
	v_add_co_u32 v131, vcc_lo, v243, v127
	v_add_co_ci_u32_e32 v132, vcc_lo, v244, v128, vcc_lo
	v_add_co_u32 v146, vcc_lo, v245, v127
	v_add_co_ci_u32_e32 v147, vcc_lo, v246, v128, vcc_lo
	global_load_u16 v131, v[131:132], off
	global_load_u16 v132, v[146:147], off
	s_waitcnt vmcnt(1)
	v_cvt_f32_f16_e64 v131, v131
	scratch_store_b32 off, v131, off offset:192 ; 4-byte Folded Spill
	s_waitcnt vmcnt(0)
	v_cvt_f32_f16_e64 v131, v132
	scratch_store_b32 off, v131, off offset:196 ; 4-byte Folded Spill
.LBB176_160:                            ;   in Loop: Header=BB176_145 Depth=1
	s_or_b32 exec_lo, exec_lo, s9
	v_add_co_u32 v131, vcc_lo, v129, 6
	v_add_co_ci_u32_e32 v132, vcc_lo, 0, v130, vcc_lo
	s_delay_alu instid0(VALU_DEP_1)
	v_cmp_gt_i64_e32 vcc_lo, s[16:17], v[131:132]
	v_mov_b32_e32 v131, 0
	scratch_store_b32 off, v131, off offset:200 ; 4-byte Folded Spill
	s_and_saveexec_b32 s9, vcc_lo
	s_cbranch_execz .LBB176_162
; %bb.161:                              ;   in Loop: Header=BB176_145 Depth=1
	v_add_co_u32 v131, vcc_lo, v239, v127
	v_add_co_ci_u32_e32 v132, vcc_lo, v240, v128, vcc_lo
	v_add_co_u32 v146, vcc_lo, v241, v127
	v_add_co_ci_u32_e32 v147, vcc_lo, v242, v128, vcc_lo
	global_load_u16 v131, v[131:132], off
	global_load_u16 v132, v[146:147], off
	s_waitcnt vmcnt(1)
	v_cvt_f32_f16_e64 v131, v131
	scratch_store_b32 off, v131, off offset:188 ; 4-byte Folded Spill
	s_waitcnt vmcnt(0)
	v_cvt_f32_f16_e64 v131, v132
	scratch_store_b32 off, v131, off offset:200 ; 4-byte Folded Spill
.LBB176_162:                            ;   in Loop: Header=BB176_145 Depth=1
	s_or_b32 exec_lo, exec_lo, s9
	v_add_co_u32 v131, vcc_lo, v129, 7
	v_add_co_ci_u32_e32 v132, vcc_lo, 0, v130, vcc_lo
	v_mov_b32_e32 v146, 0
	s_delay_alu instid0(VALU_DEP_2)
	v_cmp_gt_i64_e32 vcc_lo, s[16:17], v[131:132]
	v_mov_b32_e32 v131, 0
	s_clause 0x1
	scratch_store_b32 off, v146, off offset:204
	scratch_store_b32 off, v131, off offset:208
	v_mov_b32_e32 v131, 0
	scratch_store_b32 off, v131, off offset:212 ; 4-byte Folded Spill
	s_and_saveexec_b32 s9, vcc_lo
	s_cbranch_execz .LBB176_164
; %bb.163:                              ;   in Loop: Header=BB176_145 Depth=1
	v_add_co_u32 v131, vcc_lo, v235, v127
	v_add_co_ci_u32_e32 v132, vcc_lo, v236, v128, vcc_lo
	v_add_co_u32 v146, vcc_lo, v237, v127
	v_add_co_ci_u32_e32 v147, vcc_lo, v238, v128, vcc_lo
	global_load_u16 v131, v[131:132], off
	global_load_u16 v132, v[146:147], off
	s_waitcnt vmcnt(1)
	v_cvt_f32_f16_e64 v131, v131
	scratch_store_b32 off, v131, off offset:208 ; 4-byte Folded Spill
	s_waitcnt vmcnt(0)
	v_cvt_f32_f16_e64 v131, v132
	scratch_store_b32 off, v131, off offset:212 ; 4-byte Folded Spill
.LBB176_164:                            ;   in Loop: Header=BB176_145 Depth=1
	s_or_b32 exec_lo, exec_lo, s9
	v_add_co_u32 v131, vcc_lo, v129, 8
	v_add_co_ci_u32_e32 v132, vcc_lo, 0, v130, vcc_lo
	s_delay_alu instid0(VALU_DEP_1)
	v_cmp_gt_i64_e32 vcc_lo, s[16:17], v[131:132]
	v_mov_b32_e32 v131, 0
	scratch_store_b32 off, v131, off offset:216 ; 4-byte Folded Spill
	s_and_saveexec_b32 s9, vcc_lo
	s_cbranch_execz .LBB176_166
; %bb.165:                              ;   in Loop: Header=BB176_145 Depth=1
	v_add_co_u32 v131, vcc_lo, v231, v127
	v_add_co_ci_u32_e32 v132, vcc_lo, v232, v128, vcc_lo
	v_add_co_u32 v146, vcc_lo, v233, v127
	v_add_co_ci_u32_e32 v147, vcc_lo, v234, v128, vcc_lo
	global_load_u16 v131, v[131:132], off
	global_load_u16 v132, v[146:147], off
	s_waitcnt vmcnt(1)
	v_cvt_f32_f16_e64 v131, v131
	scratch_store_b32 off, v131, off offset:204 ; 4-byte Folded Spill
	s_waitcnt vmcnt(0)
	v_cvt_f32_f16_e64 v131, v132
	scratch_store_b32 off, v131, off offset:216 ; 4-byte Folded Spill
.LBB176_166:                            ;   in Loop: Header=BB176_145 Depth=1
	;; [unrolled: 51-line block ×6, first 2 shown]
	s_or_b32 exec_lo, exec_lo, s9
	v_add_co_u32 v146, vcc_lo, v129, 17
	v_add_co_ci_u32_e32 v147, vcc_lo, 0, v130, vcc_lo
	v_mov_b32_e32 v252, 0
	s_delay_alu instid0(VALU_DEP_2)
	v_cmp_gt_i64_e32 vcc_lo, s[16:17], v[146:147]
	v_dual_mov_b32 v147, 0 :: v_dual_mov_b32 v146, 0
	s_and_saveexec_b32 s9, vcc_lo
	s_cbranch_execz .LBB176_184
; %bb.183:                              ;   in Loop: Header=BB176_145 Depth=1
	v_add_co_u32 v146, vcc_lo, v195, v127
	v_add_co_ci_u32_e32 v147, vcc_lo, v196, v128, vcc_lo
	v_add_co_u32 v148, vcc_lo, v197, v127
	v_add_co_ci_u32_e32 v149, vcc_lo, v198, v128, vcc_lo
	global_load_u16 v132, v[146:147], off
	global_load_u16 v147, v[148:149], off
	s_waitcnt vmcnt(1)
	v_cvt_f32_f16_e64 v146, v132
	s_waitcnt vmcnt(0)
	v_cvt_f32_f16_e64 v147, v147
.LBB176_184:                            ;   in Loop: Header=BB176_145 Depth=1
	s_or_b32 exec_lo, exec_lo, s9
	v_add_co_u32 v148, vcc_lo, v129, 18
	v_add_co_ci_u32_e32 v149, vcc_lo, 0, v130, vcc_lo
	s_delay_alu instid0(VALU_DEP_1)
	v_cmp_gt_i64_e32 vcc_lo, s[16:17], v[148:149]
	v_mov_b32_e32 v148, 0
	s_and_saveexec_b32 s9, vcc_lo
	s_cbranch_execz .LBB176_186
; %bb.185:                              ;   in Loop: Header=BB176_145 Depth=1
	v_add_co_u32 v131, vcc_lo, v191, v127
	v_add_co_ci_u32_e32 v132, vcc_lo, v192, v128, vcc_lo
	v_add_co_u32 v148, vcc_lo, v193, v127
	v_add_co_ci_u32_e32 v149, vcc_lo, v194, v128, vcc_lo
	global_load_u16 v131, v[131:132], off
	global_load_u16 v132, v[148:149], off
	s_waitcnt vmcnt(1)
	v_cvt_f32_f16_e64 v252, v131
	s_waitcnt vmcnt(0)
	v_cvt_f32_f16_e64 v148, v132
.LBB176_186:                            ;   in Loop: Header=BB176_145 Depth=1
	s_or_b32 exec_lo, exec_lo, s9
	v_add_co_u32 v150, vcc_lo, v129, 19
	v_add_co_ci_u32_e32 v151, vcc_lo, 0, v130, vcc_lo
	v_dual_mov_b32 v149, 0 :: v_dual_mov_b32 v132, 0
	s_delay_alu instid0(VALU_DEP_2)
	v_cmp_gt_i64_e32 vcc_lo, s[16:17], v[150:151]
	v_mov_b32_e32 v150, 0
	s_and_saveexec_b32 s9, vcc_lo
	s_cbranch_execz .LBB176_188
; %bb.187:                              ;   in Loop: Header=BB176_145 Depth=1
	v_add_co_u32 v150, vcc_lo, v187, v127
	v_add_co_ci_u32_e32 v151, vcc_lo, v188, v128, vcc_lo
	v_add_co_u32 v152, vcc_lo, v189, v127
	v_add_co_ci_u32_e32 v153, vcc_lo, v190, v128, vcc_lo
	global_load_u16 v132, v[150:151], off
	global_load_u16 v150, v[152:153], off
	s_waitcnt vmcnt(1)
	v_cvt_f32_f16_e64 v132, v132
	s_waitcnt vmcnt(0)
	v_cvt_f32_f16_e64 v150, v150
.LBB176_188:                            ;   in Loop: Header=BB176_145 Depth=1
	s_or_b32 exec_lo, exec_lo, s9
	v_add_co_u32 v151, vcc_lo, v129, 20
	v_add_co_ci_u32_e32 v152, vcc_lo, 0, v130, vcc_lo
	s_delay_alu instid0(VALU_DEP_1)
	v_cmp_gt_i64_e32 vcc_lo, s[16:17], v[151:152]
	v_mov_b32_e32 v151, 0
	s_and_saveexec_b32 s9, vcc_lo
	s_cbranch_execz .LBB176_190
; %bb.189:                              ;   in Loop: Header=BB176_145 Depth=1
	v_add_co_u32 v151, vcc_lo, v183, v127
	v_add_co_ci_u32_e32 v152, vcc_lo, v184, v128, vcc_lo
	v_add_co_u32 v153, vcc_lo, v185, v127
	v_add_co_ci_u32_e32 v154, vcc_lo, v186, v128, vcc_lo
	global_load_u16 v149, v[151:152], off
	global_load_u16 v151, v[153:154], off
	s_waitcnt vmcnt(1)
	v_cvt_f32_f16_e64 v149, v149
	s_waitcnt vmcnt(0)
	v_cvt_f32_f16_e64 v151, v151
.LBB176_190:                            ;   in Loop: Header=BB176_145 Depth=1
	s_or_b32 exec_lo, exec_lo, s9
	v_add_co_u32 v153, vcc_lo, v129, 21
	v_add_co_ci_u32_e32 v154, vcc_lo, 0, v130, vcc_lo
	v_mov_b32_e32 v152, 0
	s_delay_alu instid0(VALU_DEP_2)
	v_cmp_gt_i64_e32 vcc_lo, s[16:17], v[153:154]
	v_dual_mov_b32 v153, 0 :: v_dual_mov_b32 v154, 0
	s_and_saveexec_b32 s9, vcc_lo
	s_cbranch_execz .LBB176_192
; %bb.191:                              ;   in Loop: Header=BB176_145 Depth=1
	scratch_load_b32 v153, off, off offset:164 ; 4-byte Folded Reload
	s_waitcnt vmcnt(0)
	v_add_co_u32 v153, vcc_lo, v153, v127
	v_add_co_ci_u32_e32 v154, vcc_lo, v180, v128, vcc_lo
	v_add_co_u32 v155, vcc_lo, v181, v127
	v_add_co_ci_u32_e32 v156, vcc_lo, v182, v128, vcc_lo
	global_load_u16 v153, v[153:154], off
	global_load_u16 v154, v[155:156], off
	s_waitcnt vmcnt(1)
	v_cvt_f32_f16_e64 v153, v153
	s_waitcnt vmcnt(0)
	v_cvt_f32_f16_e64 v154, v154
.LBB176_192:                            ;   in Loop: Header=BB176_145 Depth=1
	s_or_b32 exec_lo, exec_lo, s9
	v_add_co_u32 v155, vcc_lo, v129, 22
	v_add_co_ci_u32_e32 v156, vcc_lo, 0, v130, vcc_lo
	s_delay_alu instid0(VALU_DEP_1)
	v_cmp_gt_i64_e32 vcc_lo, s[16:17], v[155:156]
	v_mov_b32_e32 v155, 0
	s_and_saveexec_b32 s9, vcc_lo
	s_cbranch_execz .LBB176_194
; %bb.193:                              ;   in Loop: Header=BB176_145 Depth=1
	scratch_load_b32 v152, off, off offset:148 ; 4-byte Folded Reload
	s_waitcnt vmcnt(0)
	v_add_co_u32 v155, vcc_lo, v152, v127
	scratch_load_b32 v152, off, off offset:152 ; 4-byte Folded Reload
	s_waitcnt vmcnt(0)
	v_add_co_ci_u32_e32 v156, vcc_lo, v152, v128, vcc_lo
	scratch_load_b32 v152, off, off offset:156 ; 4-byte Folded Reload
	s_waitcnt vmcnt(0)
	v_add_co_u32 v157, vcc_lo, v152, v127
	scratch_load_b32 v152, off, off offset:160 ; 4-byte Folded Reload
	s_waitcnt vmcnt(0)
	v_add_co_ci_u32_e32 v158, vcc_lo, v152, v128, vcc_lo
	global_load_u16 v152, v[155:156], off
	global_load_u16 v155, v[157:158], off
	s_waitcnt vmcnt(1)
	v_cvt_f32_f16_e64 v152, v152
	s_waitcnt vmcnt(0)
	v_cvt_f32_f16_e64 v155, v155
.LBB176_194:                            ;   in Loop: Header=BB176_145 Depth=1
	s_or_b32 exec_lo, exec_lo, s9
	v_add_co_u32 v157, vcc_lo, v129, 23
	v_add_co_ci_u32_e32 v158, vcc_lo, 0, v130, vcc_lo
	v_mov_b32_e32 v156, 0
	s_delay_alu instid0(VALU_DEP_2)
	v_cmp_gt_i64_e32 vcc_lo, s[16:17], v[157:158]
	v_dual_mov_b32 v157, 0 :: v_dual_mov_b32 v158, 0
	s_and_saveexec_b32 s9, vcc_lo
	s_cbranch_execz .LBB176_196
; %bb.195:                              ;   in Loop: Header=BB176_145 Depth=1
	s_clause 0x3
	scratch_load_b32 v157, off, off offset:132
	scratch_load_b32 v158, off, off offset:136
	scratch_load_b32 v159, off, off offset:140
	scratch_load_b32 v160, off, off offset:144
	s_waitcnt vmcnt(3)
	v_add_co_u32 v157, vcc_lo, v157, v127
	s_waitcnt vmcnt(2)
	v_add_co_ci_u32_e32 v158, vcc_lo, v158, v128, vcc_lo
	s_waitcnt vmcnt(1)
	v_add_co_u32 v159, vcc_lo, v159, v127
	s_waitcnt vmcnt(0)
	v_add_co_ci_u32_e32 v160, vcc_lo, v160, v128, vcc_lo
	global_load_u16 v157, v[157:158], off
	global_load_u16 v158, v[159:160], off
	s_waitcnt vmcnt(1)
	v_cvt_f32_f16_e64 v157, v157
	s_waitcnt vmcnt(0)
	v_cvt_f32_f16_e64 v158, v158
.LBB176_196:                            ;   in Loop: Header=BB176_145 Depth=1
	s_or_b32 exec_lo, exec_lo, s9
	v_add_co_u32 v159, vcc_lo, v129, 24
	v_add_co_ci_u32_e32 v160, vcc_lo, 0, v130, vcc_lo
	s_delay_alu instid0(VALU_DEP_1)
	v_cmp_gt_i64_e32 vcc_lo, s[16:17], v[159:160]
	v_mov_b32_e32 v159, 0
	s_and_saveexec_b32 s9, vcc_lo
	s_cbranch_execz .LBB176_198
; %bb.197:                              ;   in Loop: Header=BB176_145 Depth=1
	scratch_load_b32 v156, off, off offset:116 ; 4-byte Folded Reload
	s_waitcnt vmcnt(0)
	v_add_co_u32 v159, vcc_lo, v156, v127
	scratch_load_b32 v156, off, off offset:120 ; 4-byte Folded Reload
	s_waitcnt vmcnt(0)
	v_add_co_ci_u32_e32 v160, vcc_lo, v156, v128, vcc_lo
	scratch_load_b32 v156, off, off offset:124 ; 4-byte Folded Reload
	s_waitcnt vmcnt(0)
	v_add_co_u32 v161, vcc_lo, v156, v127
	scratch_load_b32 v156, off, off offset:128 ; 4-byte Folded Reload
	s_waitcnt vmcnt(0)
	v_add_co_ci_u32_e32 v162, vcc_lo, v156, v128, vcc_lo
	global_load_u16 v156, v[159:160], off
	global_load_u16 v159, v[161:162], off
	s_waitcnt vmcnt(1)
	v_cvt_f32_f16_e64 v156, v156
	s_waitcnt vmcnt(0)
	v_cvt_f32_f16_e64 v159, v159
.LBB176_198:                            ;   in Loop: Header=BB176_145 Depth=1
	s_or_b32 exec_lo, exec_lo, s9
	v_add_co_u32 v161, vcc_lo, v129, 25
	v_add_co_ci_u32_e32 v162, vcc_lo, 0, v130, vcc_lo
	v_mov_b32_e32 v160, 0
	s_delay_alu instid0(VALU_DEP_2)
	v_cmp_gt_i64_e32 vcc_lo, s[16:17], v[161:162]
	v_dual_mov_b32 v161, 0 :: v_dual_mov_b32 v162, 0
	s_and_saveexec_b32 s9, vcc_lo
	s_cbranch_execz .LBB176_200
; %bb.199:                              ;   in Loop: Header=BB176_145 Depth=1
	s_clause 0x3
	scratch_load_b32 v161, off, off offset:100
	scratch_load_b32 v162, off, off offset:104
	scratch_load_b32 v163, off, off offset:108
	scratch_load_b32 v164, off, off offset:112
	s_waitcnt vmcnt(3)
	v_add_co_u32 v161, vcc_lo, v161, v127
	s_waitcnt vmcnt(2)
	v_add_co_ci_u32_e32 v162, vcc_lo, v162, v128, vcc_lo
	s_waitcnt vmcnt(1)
	v_add_co_u32 v163, vcc_lo, v163, v127
	s_waitcnt vmcnt(0)
	v_add_co_ci_u32_e32 v164, vcc_lo, v164, v128, vcc_lo
	global_load_u16 v161, v[161:162], off
	global_load_u16 v162, v[163:164], off
	s_waitcnt vmcnt(1)
	v_cvt_f32_f16_e64 v161, v161
	s_waitcnt vmcnt(0)
	v_cvt_f32_f16_e64 v162, v162
.LBB176_200:                            ;   in Loop: Header=BB176_145 Depth=1
	;; [unrolled: 58-line block ×4, first 2 shown]
	s_or_b32 exec_lo, exec_lo, s9
	v_add_co_u32 v171, vcc_lo, v129, 30
	v_add_co_ci_u32_e32 v172, vcc_lo, 0, v130, vcc_lo
	s_delay_alu instid0(VALU_DEP_1)
	v_cmp_gt_i64_e32 vcc_lo, s[16:17], v[171:172]
	v_mov_b32_e32 v171, 0
	s_and_saveexec_b32 s9, vcc_lo
	s_cbranch_execz .LBB176_210
; %bb.209:                              ;   in Loop: Header=BB176_145 Depth=1
	scratch_load_b32 v168, off, off offset:20 ; 4-byte Folded Reload
	s_waitcnt vmcnt(0)
	v_add_co_u32 v171, vcc_lo, v168, v127
	scratch_load_b32 v168, off, off offset:24 ; 4-byte Folded Reload
	s_waitcnt vmcnt(0)
	v_add_co_ci_u32_e32 v172, vcc_lo, v168, v128, vcc_lo
	scratch_load_b32 v168, off, off offset:28 ; 4-byte Folded Reload
	s_waitcnt vmcnt(0)
	v_add_co_u32 v173, vcc_lo, v168, v127
	scratch_load_b32 v168, off, off offset:32 ; 4-byte Folded Reload
	s_waitcnt vmcnt(0)
	v_add_co_ci_u32_e32 v174, vcc_lo, v168, v128, vcc_lo
	global_load_u16 v168, v[171:172], off
	global_load_u16 v171, v[173:174], off
	s_waitcnt vmcnt(1)
	v_cvt_f32_f16_e64 v168, v168
	s_waitcnt vmcnt(0)
	v_cvt_f32_f16_e64 v171, v171
.LBB176_210:                            ;   in Loop: Header=BB176_145 Depth=1
	s_or_b32 exec_lo, exec_lo, s9
	v_add_co_u32 v172, vcc_lo, v129, 31
	v_add_co_ci_u32_e32 v173, vcc_lo, 0, v130, vcc_lo
	s_delay_alu instid0(VALU_DEP_1)
	v_cmp_gt_i64_e32 vcc_lo, s[16:17], v[172:173]
	v_mov_b32_e32 v172, 0
	s_and_saveexec_b32 s9, vcc_lo
	s_cbranch_execz .LBB176_212
; %bb.211:                              ;   in Loop: Header=BB176_145 Depth=1
	s_clause 0x2
	scratch_load_b32 v172, off, off offset:4
	scratch_load_b32 v173, off, off offset:8
	;; [unrolled: 1-line block ×3, first 2 shown]
	v_mov_b32_e32 v131, v249
	v_dual_mov_b32 v249, v248 :: v_dual_mov_b32 v248, v247
	v_dual_mov_b32 v247, v246 :: v_dual_mov_b32 v246, v245
	;; [unrolled: 1-line block ×34, first 2 shown]
	v_mov_b32_e32 v181, v180
	v_mov_b32_e32 v180, v144
	v_dual_mov_b32 v144, v179 :: v_dual_mov_b32 v179, v178
	v_dual_mov_b32 v178, v177 :: v_dual_mov_b32 v177, v176
	v_mov_b32_e32 v176, v175
	scratch_load_b32 v175, off, off offset:16 ; 4-byte Folded Reload
	s_waitcnt vmcnt(3)
	v_add_co_u32 v172, vcc_lo, v172, v127
	s_waitcnt vmcnt(2)
	v_add_co_ci_u32_e32 v173, vcc_lo, v173, v128, vcc_lo
	s_waitcnt vmcnt(1)
	v_add_co_u32 v174, vcc_lo, v174, v127
	s_waitcnt vmcnt(0)
	v_add_co_ci_u32_e32 v175, vcc_lo, v175, v128, vcc_lo
	global_load_u16 v172, v[172:173], off
	global_load_u16 v173, v[174:175], off
	v_dual_mov_b32 v175, v176 :: v_dual_mov_b32 v176, v177
	v_dual_mov_b32 v177, v178 :: v_dual_mov_b32 v178, v179
	v_mov_b32_e32 v179, v144
	v_mov_b32_e32 v144, v180
	v_dual_mov_b32 v180, v181 :: v_dual_mov_b32 v181, v182
	v_dual_mov_b32 v182, v183 :: v_dual_mov_b32 v183, v184
	;; [unrolled: 1-line block ×35, first 2 shown]
	s_waitcnt vmcnt(1)
	v_cvt_f32_f16_e64 v172, v172
	s_waitcnt vmcnt(0)
	v_cvt_f32_f16_e64 v173, v173
	s_delay_alu instid0(VALU_DEP_1)
	v_mul_f32_e32 v172, v172, v173
.LBB176_212:                            ;   in Loop: Header=BB176_145 Depth=1
	s_or_b32 exec_lo, exec_lo, s9
	scratch_load_b32 v131, off, off offset:180 ; 4-byte Folded Reload
	v_dual_mul_f32 v173, v176, v177 :: v_dual_mul_f32 v174, v179, v144
	s_waitcnt vmcnt(1)
	ds_bpermute_b32 v144, v126, v125
	ds_bpermute_b32 v176, v126, v125 offset:60
	ds_bpermute_b32 v179, v126, v125 offset:72
	v_mul_f32_e32 v146, v146, v147
	ds_bpermute_b32 v147, v126, v125 offset:80
	v_mul_f32_e32 v132, v132, v150
	ds_bpermute_b32 v150, v126, v125 offset:96
	s_waitcnt lgkmcnt(4)
	v_fma_f32 v144, v173, v144, v145
	ds_bpermute_b32 v173, v126, v125 offset:4
	s_waitcnt lgkmcnt(0)
	v_fmac_f32_e32 v144, v174, v173
	ds_bpermute_b32 v174, v126, v125 offset:8
	v_mul_f32_e32 v173, v178, v175
	ds_bpermute_b32 v178, v126, v125 offset:64
	s_waitcnt lgkmcnt(1)
	v_fmac_f32_e32 v144, v173, v174
	ds_bpermute_b32 v174, v126, v125 offset:12
	s_waitcnt vmcnt(0)
	v_mul_f32_e32 v173, v251, v131
	scratch_load_b32 v131, off, off offset:184 ; 4-byte Folded Reload
	s_waitcnt lgkmcnt(0)
	v_fmac_f32_e32 v144, v173, v174
	ds_bpermute_b32 v174, v126, v125 offset:16
	s_waitcnt vmcnt(0)
	v_mul_f32_e32 v173, v250, v131
	s_waitcnt lgkmcnt(0)
	s_delay_alu instid0(VALU_DEP_1)
	v_fmac_f32_e32 v144, v173, v174
	s_clause 0x1
	scratch_load_b32 v131, off, off offset:192
	scratch_load_b32 v173, off, off offset:196
	ds_bpermute_b32 v174, v126, v125 offset:20
	s_waitcnt vmcnt(0)
	v_mul_f32_e32 v173, v131, v173
	s_waitcnt lgkmcnt(0)
	s_delay_alu instid0(VALU_DEP_1)
	v_fmac_f32_e32 v144, v173, v174
	s_clause 0x1
	scratch_load_b32 v131, off, off offset:188
	scratch_load_b32 v173, off, off offset:200
	;; [unrolled: 9-line block ×8, first 2 shown]
	ds_bpermute_b32 v174, v126, v125 offset:48
	s_waitcnt vmcnt(0)
	v_mul_f32_e32 v173, v131, v173
	s_clause 0x1
	scratch_load_b32 v131, off, off offset:256
	scratch_load_b32 v175, off, off offset:260
	s_waitcnt vmcnt(0)
	v_mul_f32_e32 v175, v131, v175
	s_clause 0x1
	scratch_load_b32 v131, off, off offset:252
	scratch_load_b32 v177, off, off offset:264
	s_waitcnt lgkmcnt(0)
	v_fmac_f32_e32 v144, v173, v174
	ds_bpermute_b32 v173, v126, v125 offset:52
	ds_bpermute_b32 v174, v126, v125 offset:56
	s_waitcnt vmcnt(0)
	v_mul_f32_e32 v177, v131, v177
	s_waitcnt lgkmcnt(1)
	v_fmac_f32_e32 v144, v175, v173
	s_clause 0x1
	scratch_load_b32 v131, off, off offset:272
	scratch_load_b32 v175, off, off offset:276
	ds_bpermute_b32 v173, v126, v125 offset:68
	s_waitcnt lgkmcnt(1)
	v_fmac_f32_e32 v144, v177, v174
	ds_bpermute_b32 v177, v126, v125 offset:76
	s_waitcnt vmcnt(0)
	v_mul_f32_e32 v175, v131, v175
	s_clause 0x1
	scratch_load_b32 v131, off, off offset:268
	scratch_load_b32 v174, off, off offset:280
	v_fmac_f32_e32 v144, v175, v176
	s_waitcnt vmcnt(0)
	v_dual_mul_f32 v174, v131, v174 :: v_dual_mul_f32 v131, v252, v148
	ds_bpermute_b32 v148, v126, v125 offset:84
	v_fmac_f32_e32 v144, v174, v178
	s_waitcnt lgkmcnt(2)
	s_delay_alu instid0(VALU_DEP_1)
	v_fmac_f32_e32 v144, v146, v173
	ds_bpermute_b32 v146, v126, v125 offset:88
	v_fmac_f32_e32 v144, v131, v179
	v_mul_f32_e32 v131, v149, v151
	ds_bpermute_b32 v149, v126, v125 offset:92
	s_waitcnt lgkmcnt(3)
	v_fmac_f32_e32 v144, v132, v177
	v_mul_f32_e32 v132, v153, v154
	s_delay_alu instid0(VALU_DEP_2)
	v_fmac_f32_e32 v144, v131, v147
	v_mul_f32_e32 v131, v152, v155
	ds_bpermute_b32 v147, v126, v125 offset:100
	s_waitcnt lgkmcnt(3)
	v_fmac_f32_e32 v144, v132, v148
	v_mul_f32_e32 v132, v157, v158
	ds_bpermute_b32 v148, v126, v125 offset:104
	s_waitcnt lgkmcnt(3)
	v_dual_fmac_f32 v144, v131, v146 :: v_dual_mul_f32 v131, v156, v159
	ds_bpermute_b32 v146, v126, v125 offset:108
	s_waitcnt lgkmcnt(3)
	v_fmac_f32_e32 v144, v132, v149
	v_mul_f32_e32 v132, v161, v162
	ds_bpermute_b32 v149, v126, v125 offset:112
	v_dual_fmac_f32 v144, v131, v150 :: v_dual_mul_f32 v131, v160, v163
	ds_bpermute_b32 v150, v126, v125 offset:116
	s_waitcnt lgkmcnt(4)
	v_fmac_f32_e32 v144, v132, v147
	v_dual_mul_f32 v147, v164, v167 :: v_dual_mul_f32 v132, v165, v166
	s_waitcnt lgkmcnt(3)
	s_delay_alu instid0(VALU_DEP_2)
	v_fmac_f32_e32 v144, v131, v148
	ds_bpermute_b32 v131, v126, v125 offset:120
	ds_bpermute_b32 v125, v126, v125 offset:124
	s_waitcnt lgkmcnt(4)
	v_fmac_f32_e32 v144, v132, v146
	v_mul_f32_e32 v132, v169, v170
	s_waitcnt lgkmcnt(3)
	s_delay_alu instid0(VALU_DEP_2) | instskip(SKIP_1) | instid1(VALU_DEP_1)
	v_fmac_f32_e32 v144, v147, v149
	s_waitcnt lgkmcnt(2)
	v_fmac_f32_e32 v144, v132, v150
	v_mul_f32_e32 v132, v168, v171
	s_waitcnt lgkmcnt(1)
	s_delay_alu instid0(VALU_DEP_1) | instskip(SKIP_1) | instid1(VALU_DEP_1)
	v_fmac_f32_e32 v144, v132, v131
	s_waitcnt lgkmcnt(0)
	v_fmac_f32_e32 v144, v172, v125
	s_branch .LBB176_217
.LBB176_213:                            ;   in Loop: Header=BB176_145 Depth=1
                                        ; implicit-def: $vgpr144
	s_cbranch_execz .LBB176_217
; %bb.214:                              ;   in Loop: Header=BB176_145 Depth=1
	s_load_b32 s9, s[10:11], 0x0
	s_waitcnt lgkmcnt(0)
	s_cmp_lt_u32 s14, s9
	s_cselect_b32 s9, 12, 18
	s_delay_alu instid0(SALU_CYCLE_1)
	s_add_u32 s24, s10, s9
	s_addc_u32 s25, s11, 0
	s_mov_b32 s9, exec_lo
	global_load_u16 v125, v126, s[24:25]
	s_clause 0x1
	scratch_load_b32 v131, off, off offset:284
	scratch_load_b32 v132, off, off offset:288
	s_waitcnt vmcnt(0)
	v_mad_u32_u24 v125, v131, v125, v132
	s_delay_alu instid0(VALU_DEP_1) | instskip(NEXT) | instid1(VALU_DEP_1)
	v_and_b32_e32 v125, 31, v125
	v_add_co_u32 v129, vcc_lo, v129, v125
	v_add_co_ci_u32_e32 v130, vcc_lo, 0, v130, vcc_lo
	v_mov_b32_e32 v125, 0
	s_delay_alu instid0(VALU_DEP_2)
	v_cmpx_gt_i64_e64 s[16:17], v[129:130]
	s_cbranch_execz .LBB176_216
; %bb.215:                              ;   in Loop: Header=BB176_145 Depth=1
	v_lshlrev_b64 v[129:130], 2, v[129:130]
	s_delay_alu instid0(VALU_DEP_1) | instskip(NEXT) | instid1(VALU_DEP_2)
	v_add_co_u32 v129, vcc_lo, s6, v129
	v_add_co_ci_u32_e32 v130, vcc_lo, s7, v130, vcc_lo
	global_load_b32 v125, v[129:130], off
.LBB176_216:                            ;   in Loop: Header=BB176_145 Depth=1
	s_or_b32 exec_lo, exec_lo, s9
	v_add_co_u32 v129, vcc_lo, v135, v127
	v_add_co_ci_u32_e32 v130, vcc_lo, v136, v128, vcc_lo
	global_load_u16 v131, v[129:130], off
	v_add_co_u32 v129, vcc_lo, v137, v127
	v_add_co_ci_u32_e32 v130, vcc_lo, v138, v128, vcc_lo
	global_load_u16 v129, v[129:130], off
	s_waitcnt vmcnt(1)
	v_cvt_f32_f16_e64 v130, v131
	s_waitcnt vmcnt(0)
	v_cvt_f32_f16_e64 v129, v129
	s_delay_alu instid0(VALU_DEP_1)
	v_mul_f32_e32 v129, v130, v129
	ds_bpermute_b32 v130, v126, v125
	s_waitcnt lgkmcnt(0)
	v_fmac_f32_e32 v145, v129, v130
	v_add_co_u32 v129, vcc_lo, v1, v127
	v_add_co_ci_u32_e32 v130, vcc_lo, v2, v128, vcc_lo
	global_load_u16 v131, v[129:130], off
	v_add_co_u32 v129, vcc_lo, v9, v127
	v_add_co_ci_u32_e32 v130, vcc_lo, v10, v128, vcc_lo
	global_load_u16 v129, v[129:130], off
	s_waitcnt vmcnt(1)
	v_cvt_f32_f16_e64 v130, v131
	s_waitcnt vmcnt(0)
	v_cvt_f32_f16_e64 v129, v129
	s_delay_alu instid0(VALU_DEP_1)
	v_mul_f32_e32 v129, v130, v129
	ds_bpermute_b32 v130, v126, v125 offset:4
	s_waitcnt lgkmcnt(0)
	v_fmac_f32_e32 v145, v129, v130
	v_add_co_u32 v129, vcc_lo, v3, v127
	v_add_co_ci_u32_e32 v130, vcc_lo, v4, v128, vcc_lo
	global_load_u16 v131, v[129:130], off
	v_add_co_u32 v129, vcc_lo, v13, v127
	v_add_co_ci_u32_e32 v130, vcc_lo, v14, v128, vcc_lo
	global_load_u16 v129, v[129:130], off
	s_waitcnt vmcnt(1)
	v_cvt_f32_f16_e64 v130, v131
	s_waitcnt vmcnt(0)
	v_cvt_f32_f16_e64 v129, v129
	s_delay_alu instid0(VALU_DEP_1)
	v_mul_f32_e32 v129, v130, v129
	ds_bpermute_b32 v130, v126, v125 offset:8
	;; [unrolled: 15-line block ×30, first 2 shown]
	ds_bpermute_b32 v125, v126, v125 offset:124
	s_waitcnt lgkmcnt(1)
	v_fmac_f32_e32 v145, v129, v130
	v_add_co_u32 v129, vcc_lo, v121, v127
	v_add_co_ci_u32_e32 v130, vcc_lo, v122, v128, vcc_lo
	global_load_u16 v131, v[129:130], off
	v_add_co_u32 v129, vcc_lo, v123, v127
	v_add_co_ci_u32_e32 v130, vcc_lo, v124, v128, vcc_lo
	global_load_u16 v129, v[129:130], off
	s_waitcnt vmcnt(1)
	v_cvt_f32_f16_e64 v130, v131
	s_waitcnt vmcnt(0)
	v_cvt_f32_f16_e64 v129, v129
	s_delay_alu instid0(VALU_DEP_1) | instskip(SKIP_1) | instid1(VALU_DEP_1)
	v_mul_f32_e32 v129, v130, v129
	s_waitcnt lgkmcnt(0)
	v_fmac_f32_e32 v145, v129, v125
	s_delay_alu instid0(VALU_DEP_1)
	v_mov_b32_e32 v144, v145
.LBB176_217:                            ;   in Loop: Header=BB176_145 Depth=1
	scratch_load_b32 v125, off, off         ; 4-byte Folded Reload
	v_add_co_u32 v1, vcc_lo, v1, s12
	v_add_co_ci_u32_e32 v2, vcc_lo, s13, v2, vcc_lo
	v_add_co_u32 v3, vcc_lo, v3, s12
	v_add_co_ci_u32_e32 v4, vcc_lo, s13, v4, vcc_lo
	;; [unrolled: 2-line block ×64, first 2 shown]
	s_add_u32 s22, s22, s3
	s_addc_u32 s23, s23, 0
	s_add_u32 s20, s20, s3
	v_cmp_ge_i64_e64 s9, s[22:23], s[16:17]
	s_addc_u32 s21, s21, 0
	s_waitcnt vmcnt(0)
	v_add_co_u32 v125, vcc_lo, v125, s3
	v_add_co_ci_u32_e32 v143, vcc_lo, 0, v143, vcc_lo
	scratch_store_b32 off, v125, off        ; 4-byte Folded Spill
	scratch_load_b32 v125, off, off offset:4 ; 4-byte Folded Reload
	s_waitcnt vmcnt(0)
	v_add_co_u32 v125, vcc_lo, v125, s12
	scratch_store_b32 off, v125, off offset:4 ; 4-byte Folded Spill
	scratch_load_b32 v125, off, off offset:8 ; 4-byte Folded Reload
	s_waitcnt vmcnt(0)
	v_add_co_ci_u32_e32 v125, vcc_lo, s13, v125, vcc_lo
	scratch_store_b32 off, v125, off offset:8 ; 4-byte Folded Spill
	scratch_load_b32 v125, off, off offset:12 ; 4-byte Folded Reload
	s_waitcnt vmcnt(0)
	v_add_co_u32 v125, vcc_lo, v125, s12
	scratch_store_b32 off, v125, off offset:12 ; 4-byte Folded Spill
	scratch_load_b32 v125, off, off offset:16 ; 4-byte Folded Reload
	s_waitcnt vmcnt(0)
	v_add_co_ci_u32_e32 v125, vcc_lo, s13, v125, vcc_lo
	scratch_store_b32 off, v125, off offset:16 ; 4-byte Folded Spill
	;; [unrolled: 8-line block ×20, first 2 shown]
	scratch_load_b32 v125, off, off offset:164 ; 4-byte Folded Reload
	s_waitcnt vmcnt(0)
	v_add_co_u32 v125, vcc_lo, v125, s12
	v_add_co_ci_u32_e32 v180, vcc_lo, s13, v180, vcc_lo
	v_add_co_u32 v181, vcc_lo, v181, s12
	scratch_store_b32 off, v125, off offset:164 ; 4-byte Folded Spill
	scratch_load_b32 v125, off, off offset:168 ; 4-byte Folded Reload
	v_add_co_ci_u32_e32 v182, vcc_lo, s13, v182, vcc_lo
	v_add_co_u32 v183, vcc_lo, v183, s12
	v_add_co_ci_u32_e32 v184, vcc_lo, s13, v184, vcc_lo
	v_add_co_u32 v185, vcc_lo, v185, s12
	;; [unrolled: 2-line block ×34, first 2 shown]
	s_waitcnt vmcnt(0)
	v_add_co_ci_u32_e32 v125, vcc_lo, s13, v125, vcc_lo
	scratch_store_b32 off, v125, off offset:168 ; 4-byte Folded Spill
	scratch_load_b32 v125, off, off offset:172 ; 4-byte Folded Reload
	s_waitcnt vmcnt(0)
	v_add_co_u32 v125, vcc_lo, v125, s12
	scratch_store_b32 off, v125, off offset:172 ; 4-byte Folded Spill
	scratch_load_b32 v125, off, off offset:176 ; 4-byte Folded Reload
	s_waitcnt vmcnt(0)
	v_add_co_ci_u32_e32 v125, vcc_lo, s13, v125, vcc_lo
	v_add_co_u32 v253, vcc_lo, v253, s12
	v_add_co_ci_u32_e32 v254, vcc_lo, s13, v254, vcc_lo
	v_add_co_u32 v255, vcc_lo, v255, s12
	v_add_co_ci_u32_e32 v133, vcc_lo, s13, v133, vcc_lo
	v_add_co_u32 v0, vcc_lo, v0, s12
	v_add_co_ci_u32_e32 v134, vcc_lo, s13, v134, vcc_lo
	v_add_co_u32 v139, vcc_lo, v139, s12
	v_add_co_ci_u32_e32 v140, vcc_lo, s13, v140, vcc_lo
	v_add_co_u32 v141, vcc_lo, v141, s12
	v_add_co_ci_u32_e32 v142, vcc_lo, s13, v142, vcc_lo
	s_and_b32 vcc_lo, exec_lo, s9
	scratch_store_b32 off, v125, off offset:176 ; 4-byte Folded Spill
	s_cbranch_vccnz .LBB176_219
; %bb.218:                              ;   in Loop: Header=BB176_145 Depth=1
	v_mov_b32_e32 v145, v144
	s_branch .LBB176_145
.LBB176_219:
	scratch_load_b32 v207, off, off offset:292 ; 4-byte Folded Reload
.LBB176_220:
	s_waitcnt vmcnt(0)
	v_and_b32_e32 v0, 0x3ff, v207
	s_mov_b32 s15, 0
	s_delay_alu instid0(SALU_CYCLE_1)
	s_lshl_b64 s[6:7], s[14:15], 5
	s_waitcnt lgkmcnt(0)
	s_cmp_lg_u64 s[4:5], 0
	v_or_b32_e32 v1, s6, v0
	v_mov_b32_e32 v2, s7
	s_cselect_b32 s3, -1, 0
	s_delay_alu instid0(VALU_DEP_1) | instskip(SKIP_1) | instid1(SALU_CYCLE_1)
	v_cmp_gt_i64_e32 vcc_lo, s[18:19], v[1:2]
	s_and_b32 s3, vcc_lo, s3
	s_and_saveexec_b32 s6, s3
	s_cbranch_execz .LBB176_222
; %bb.221:
	s_load_b32 s0, s[0:1], 0x4c
	v_bfe_u32 v3, v207, 10, 10
	v_mov_b32_e32 v4, 0
	s_waitcnt lgkmcnt(0)
	s_lshr_b32 s0, s0, 16
	s_delay_alu instid0(VALU_DEP_1) | instid1(SALU_CYCLE_1)
	v_mad_u64_u32 v[5:6], null, s0, s2, v[3:4]
	s_delay_alu instid0(VALU_DEP_1) | instskip(NEXT) | instid1(VALU_DEP_2)
	v_mul_lo_u32 v0, v6, s18
	v_mul_lo_u32 v6, v5, s19
	v_mad_u64_u32 v[3:4], null, v5, s18, 0
	s_delay_alu instid0(VALU_DEP_1) | instskip(SKIP_1) | instid1(VALU_DEP_2)
	v_add3_u32 v4, v4, v6, v0
	v_lshlrev_b64 v[0:1], 1, v[1:2]
	v_lshlrev_b64 v[3:4], 1, v[3:4]
	s_delay_alu instid0(VALU_DEP_1) | instskip(NEXT) | instid1(VALU_DEP_2)
	v_add_co_u32 v2, vcc_lo, s4, v3
	v_add_co_ci_u32_e32 v3, vcc_lo, s5, v4, vcc_lo
	v_cvt_f16_f32_e64 v4, v144
	s_delay_alu instid0(VALU_DEP_3) | instskip(NEXT) | instid1(VALU_DEP_3)
	v_add_co_u32 v0, vcc_lo, v2, v0
	v_add_co_ci_u32_e32 v1, vcc_lo, v3, v1, vcc_lo
	global_store_b16 v[0:1], v4, off
.LBB176_222:
	s_endpgm
	.section	.rodata,"a",@progbits
	.p2align	6, 0x0
	.amdhsa_kernel _ZN2at6native12_GLOBAL__N_135GammaBetaBackwardCUDAKernelTemplateIN3c104HalfEfLj32ELj1ELj32ELb1ELb0ELb1EEEvllPKT_S7_PKT0_SA_PS5_SB_
		.amdhsa_group_segment_fixed_size 0
		.amdhsa_private_segment_fixed_size 300
		.amdhsa_kernarg_size 320
		.amdhsa_user_sgpr_count 14
		.amdhsa_user_sgpr_dispatch_ptr 0
		.amdhsa_user_sgpr_queue_ptr 0
		.amdhsa_user_sgpr_kernarg_segment_ptr 1
		.amdhsa_user_sgpr_dispatch_id 0
		.amdhsa_user_sgpr_private_segment_size 0
		.amdhsa_wavefront_size32 1
		.amdhsa_uses_dynamic_stack 0
		.amdhsa_enable_private_segment 1
		.amdhsa_system_sgpr_workgroup_id_x 1
		.amdhsa_system_sgpr_workgroup_id_y 1
		.amdhsa_system_sgpr_workgroup_id_z 0
		.amdhsa_system_sgpr_workgroup_info 0
		.amdhsa_system_vgpr_workitem_id 1
		.amdhsa_next_free_vgpr 256
		.amdhsa_next_free_sgpr 30
		.amdhsa_reserve_vcc 1
		.amdhsa_float_round_mode_32 0
		.amdhsa_float_round_mode_16_64 0
		.amdhsa_float_denorm_mode_32 3
		.amdhsa_float_denorm_mode_16_64 3
		.amdhsa_dx10_clamp 1
		.amdhsa_ieee_mode 1
		.amdhsa_fp16_overflow 0
		.amdhsa_workgroup_processor_mode 1
		.amdhsa_memory_ordered 1
		.amdhsa_forward_progress 0
		.amdhsa_shared_vgpr_count 0
		.amdhsa_exception_fp_ieee_invalid_op 0
		.amdhsa_exception_fp_denorm_src 0
		.amdhsa_exception_fp_ieee_div_zero 0
		.amdhsa_exception_fp_ieee_overflow 0
		.amdhsa_exception_fp_ieee_underflow 0
		.amdhsa_exception_fp_ieee_inexact 0
		.amdhsa_exception_int_div_zero 0
	.end_amdhsa_kernel
	.section	.text._ZN2at6native12_GLOBAL__N_135GammaBetaBackwardCUDAKernelTemplateIN3c104HalfEfLj32ELj1ELj32ELb1ELb0ELb1EEEvllPKT_S7_PKT0_SA_PS5_SB_,"axG",@progbits,_ZN2at6native12_GLOBAL__N_135GammaBetaBackwardCUDAKernelTemplateIN3c104HalfEfLj32ELj1ELj32ELb1ELb0ELb1EEEvllPKT_S7_PKT0_SA_PS5_SB_,comdat
.Lfunc_end176:
	.size	_ZN2at6native12_GLOBAL__N_135GammaBetaBackwardCUDAKernelTemplateIN3c104HalfEfLj32ELj1ELj32ELb1ELb0ELb1EEEvllPKT_S7_PKT0_SA_PS5_SB_, .Lfunc_end176-_ZN2at6native12_GLOBAL__N_135GammaBetaBackwardCUDAKernelTemplateIN3c104HalfEfLj32ELj1ELj32ELb1ELb0ELb1EEEvllPKT_S7_PKT0_SA_PS5_SB_
                                        ; -- End function
	.section	.AMDGPU.csdata,"",@progbits
; Kernel info:
; codeLenInByte = 28240
; NumSgprs: 32
; NumVgprs: 256
; ScratchSize: 300
; MemoryBound: 0
; FloatMode: 240
; IeeeMode: 1
; LDSByteSize: 0 bytes/workgroup (compile time only)
; SGPRBlocks: 3
; VGPRBlocks: 31
; NumSGPRsForWavesPerEU: 32
; NumVGPRsForWavesPerEU: 256
; Occupancy: 5
; WaveLimiterHint : 0
; COMPUTE_PGM_RSRC2:SCRATCH_EN: 1
; COMPUTE_PGM_RSRC2:USER_SGPR: 14
; COMPUTE_PGM_RSRC2:TRAP_HANDLER: 0
; COMPUTE_PGM_RSRC2:TGID_X_EN: 1
; COMPUTE_PGM_RSRC2:TGID_Y_EN: 1
; COMPUTE_PGM_RSRC2:TGID_Z_EN: 0
; COMPUTE_PGM_RSRC2:TIDIG_COMP_CNT: 1
	.section	.text._ZN2at6native12_GLOBAL__N_135GammaBetaBackwardCUDAKernelTemplateIN3c104HalfEfLj32ELj1ELj8ELb1ELb1ELb1EEEvllPKT_S7_PKT0_SA_PS5_SB_,"axG",@progbits,_ZN2at6native12_GLOBAL__N_135GammaBetaBackwardCUDAKernelTemplateIN3c104HalfEfLj32ELj1ELj8ELb1ELb1ELb1EEEvllPKT_S7_PKT0_SA_PS5_SB_,comdat
	.globl	_ZN2at6native12_GLOBAL__N_135GammaBetaBackwardCUDAKernelTemplateIN3c104HalfEfLj32ELj1ELj8ELb1ELb1ELb1EEEvllPKT_S7_PKT0_SA_PS5_SB_ ; -- Begin function _ZN2at6native12_GLOBAL__N_135GammaBetaBackwardCUDAKernelTemplateIN3c104HalfEfLj32ELj1ELj8ELb1ELb1ELb1EEEvllPKT_S7_PKT0_SA_PS5_SB_
	.p2align	8
	.type	_ZN2at6native12_GLOBAL__N_135GammaBetaBackwardCUDAKernelTemplateIN3c104HalfEfLj32ELj1ELj8ELb1ELb1ELb1EEEvllPKT_S7_PKT0_SA_PS5_SB_,@function
_ZN2at6native12_GLOBAL__N_135GammaBetaBackwardCUDAKernelTemplateIN3c104HalfEfLj32ELj1ELj8ELb1ELb1ELb1EEEvllPKT_S7_PKT0_SA_PS5_SB_: ; @_ZN2at6native12_GLOBAL__N_135GammaBetaBackwardCUDAKernelTemplateIN3c104HalfEfLj32ELj1ELj8ELb1ELb1ELb1EEEvllPKT_S7_PKT0_SA_PS5_SB_
; %bb.0:
	s_clause 0x1
	s_load_b128 s[4:7], s[0:1], 0x0
	s_load_b64 s[12:13], s[0:1], 0x30
	s_mov_b32 s17, 0
	s_lshl_b32 s16, s15, 3
	v_mov_b32_e32 v3, 0
	v_bfe_u32 v1, v0, 10, 10
	v_and_b32_e32 v0, 0x3ff, v0
	s_waitcnt lgkmcnt(0)
	v_cmp_ge_i64_e64 s2, s[16:17], s[4:5]
	s_delay_alu instid0(VALU_DEP_1)
	s_and_b32 vcc_lo, exec_lo, s2
	s_cbranch_vccnz .LBB177_8
; %bb.1:
	s_clause 0x3
	s_load_b32 s2, s[0:1], 0x4c
	s_load_b32 s3, s[0:1], 0x44
	s_load_b128 s[8:11], s[0:1], 0x10
	s_load_b64 s[20:21], s[0:1], 0x28
	v_dual_mov_b32 v9, 4 :: v_dual_lshlrev_b32 v4, 3, v1
	v_dual_mov_b32 v8, 8 :: v_dual_mov_b32 v3, 0
	v_lshl_or_b32 v2, s14, 5, v0
	s_delay_alu instid0(VALU_DEP_3) | instskip(NEXT) | instid1(VALU_DEP_1)
	v_add_co_u32 v4, s18, v4, s16
	v_add_co_ci_u32_e64 v5, null, 0, 0, s18
	s_delay_alu instid0(VALU_DEP_3) | instskip(NEXT) | instid1(VALU_DEP_3)
	v_lshlrev_b64 v[15:16], 1, v[2:3]
	v_mul_lo_u32 v17, s7, v4
	v_dual_mov_b32 v10, 12 :: v_dual_mov_b32 v11, 16
	s_delay_alu instid0(VALU_DEP_4)
	v_mul_lo_u32 v18, s6, v5
	v_dual_mov_b32 v12, 20 :: v_dual_mov_b32 v13, 24
	s_waitcnt lgkmcnt(0)
	s_and_b32 s2, s2, 0xffff
	s_lshl_b32 s18, s3, 3
	v_mad_u32_u24 v6, v1, s2, v0
	s_mul_i32 s3, s7, s18
	s_mul_hi_u32 s22, s6, s18
	s_mov_b32 s19, s17
	s_add_i32 s23, s22, s3
	v_dual_mov_b32 v14, 28 :: v_dual_and_b32 v21, 31, v6
	v_mad_u64_u32 v[6:7], null, s6, v4, 0
	s_mul_i32 s22, s6, s18
	s_delay_alu instid0(VALU_DEP_2) | instskip(SKIP_2) | instid1(VALU_DEP_4)
	v_add_co_u32 v4, vcc_lo, v4, v21
	v_add_co_ci_u32_e32 v5, vcc_lo, 0, v5, vcc_lo
	v_cmp_gt_u32_e64 s2, 8, v21
	v_add3_u32 v7, v7, v18, v17
	s_lshl_b64 s[22:23], s[22:23], 1
	s_delay_alu instid0(VALU_DEP_3) | instskip(SKIP_1) | instid1(VALU_DEP_2)
	v_lshlrev_b64 v[17:18], 2, v[4:5]
	s_lshl_b64 s[24:25], s[6:7], 1
	v_lshlrev_b64 v[19:20], 1, v[6:7]
	s_delay_alu instid0(VALU_DEP_2) | instskip(NEXT) | instid1(VALU_DEP_3)
	v_add_co_u32 v6, vcc_lo, s20, v17
	v_add_co_ci_u32_e32 v7, vcc_lo, s21, v18, vcc_lo
	s_delay_alu instid0(VALU_DEP_3) | instskip(NEXT) | instid1(VALU_DEP_4)
	v_add_co_u32 v2, vcc_lo, v19, v15
	v_add_co_ci_u32_e32 v15, vcc_lo, v20, v16, vcc_lo
	v_mov_b32_e32 v16, 0
	s_lshl_b64 s[20:21], s[18:19], 2
	s_branch .LBB177_4
.LBB177_2:                              ;   in Loop: Header=BB177_4 Depth=1
	s_or_b32 exec_lo, exec_lo, s19
.LBB177_3:                              ;   in Loop: Header=BB177_4 Depth=1
	s_delay_alu instid0(SALU_CYCLE_1) | instskip(SKIP_4) | instid1(VALU_DEP_4)
	s_or_b32 exec_lo, exec_lo, s3
	v_add_co_u32 v18, vcc_lo, s8, v2
	v_add_co_ci_u32_e32 v19, vcc_lo, s9, v15, vcc_lo
	v_add_co_u32 v20, vcc_lo, s10, v2
	v_add_co_ci_u32_e32 v21, vcc_lo, s11, v15, vcc_lo
	v_add_co_u32 v22, vcc_lo, v18, s24
	s_delay_alu instid0(VALU_DEP_4)
	v_add_co_ci_u32_e32 v23, vcc_lo, s25, v19, vcc_lo
	global_load_u16 v28, v[18:19], off
	global_load_u16 v29, v[20:21], off
	;; [unrolled: 1-line block ×3, first 2 shown]
	v_add_co_u32 v18, vcc_lo, v20, s24
	v_add_co_ci_u32_e32 v19, vcc_lo, s25, v21, vcc_lo
	v_add_co_u32 v20, vcc_lo, v22, s24
	v_add_co_ci_u32_e32 v21, vcc_lo, s25, v23, vcc_lo
	s_delay_alu instid0(VALU_DEP_4) | instskip(NEXT) | instid1(VALU_DEP_4)
	v_add_co_u32 v22, vcc_lo, v18, s24
	v_add_co_ci_u32_e32 v23, vcc_lo, s25, v19, vcc_lo
	s_delay_alu instid0(VALU_DEP_4) | instskip(NEXT) | instid1(VALU_DEP_4)
	;; [unrolled: 3-line block ×3, first 2 shown]
	v_add_co_u32 v26, vcc_lo, v22, s24
	v_add_co_ci_u32_e32 v27, vcc_lo, s25, v23, vcc_lo
	global_load_u16 v31, v[18:19], off
	global_load_u16 v32, v[20:21], off
	;; [unrolled: 1-line block ×5, first 2 shown]
	v_add_co_u32 v18, vcc_lo, v24, s24
	v_add_co_ci_u32_e32 v19, vcc_lo, s25, v25, vcc_lo
	v_add_co_u32 v20, vcc_lo, v26, s24
	v_add_co_ci_u32_e32 v21, vcc_lo, s25, v27, vcc_lo
	s_delay_alu instid0(VALU_DEP_4) | instskip(NEXT) | instid1(VALU_DEP_4)
	v_add_co_u32 v22, vcc_lo, v18, s24
	v_add_co_ci_u32_e32 v23, vcc_lo, s25, v19, vcc_lo
	s_delay_alu instid0(VALU_DEP_4) | instskip(NEXT) | instid1(VALU_DEP_4)
	;; [unrolled: 3-line block ×3, first 2 shown]
	v_add_co_u32 v26, vcc_lo, v22, s24
	v_add_co_ci_u32_e32 v27, vcc_lo, s25, v23, vcc_lo
	global_load_u16 v36, v[18:19], off
	global_load_u16 v37, v[20:21], off
	;; [unrolled: 1-line block ×5, first 2 shown]
	v_add_co_u32 v18, vcc_lo, v24, s24
	v_add_co_ci_u32_e32 v19, vcc_lo, s25, v25, vcc_lo
	v_add_co_u32 v20, vcc_lo, v26, s24
	v_add_co_ci_u32_e32 v21, vcc_lo, s25, v27, vcc_lo
	s_delay_alu instid0(VALU_DEP_4) | instskip(NEXT) | instid1(VALU_DEP_4)
	v_add_co_u32 v22, vcc_lo, v18, s24
	v_add_co_ci_u32_e32 v23, vcc_lo, s25, v19, vcc_lo
	global_load_u16 v18, v[18:19], off
	global_load_u16 v19, v[20:21], off
	;; [unrolled: 1-line block ×3, first 2 shown]
	s_waitcnt vmcnt(16)
	ds_bpermute_b32 v21, v3, v17
	ds_bpermute_b32 v22, v9, v17
	;; [unrolled: 1-line block ×4, first 2 shown]
	v_add_co_u32 v6, vcc_lo, v6, s20
	s_add_u32 s16, s16, s18
	v_add_co_ci_u32_e32 v7, vcc_lo, s21, v7, vcc_lo
	s_addc_u32 s17, s17, 0
	v_add_co_u32 v4, vcc_lo, v4, s18
	v_add_co_ci_u32_e32 v5, vcc_lo, 0, v5, vcc_lo
	v_cmp_lt_i64_e64 s3, s[16:17], s[4:5]
	v_add_co_u32 v2, vcc_lo, v2, s22
	v_add_co_ci_u32_e32 v15, vcc_lo, s23, v15, vcc_lo
	s_delay_alu instid0(VALU_DEP_3)
	s_and_b32 vcc_lo, exec_lo, s3
	s_waitcnt vmcnt(15)
	v_cvt_f32_f16_e32 v23, v28
	s_waitcnt vmcnt(14)
	v_cvt_f32_f16_e32 v24, v29
	;; [unrolled: 2-line block ×3, first 2 shown]
	s_delay_alu instid0(VALU_DEP_2)
	v_mul_f32_e32 v23, v23, v24
	s_waitcnt vmcnt(12)
	v_cvt_f32_f16_e32 v24, v31
	s_waitcnt vmcnt(11)
	v_cvt_f32_f16_e32 v28, v32
	s_waitcnt lgkmcnt(3)
	v_fmac_f32_e32 v16, v23, v21
	s_waitcnt vmcnt(10)
	v_cvt_f32_f16_e32 v23, v33
	s_waitcnt vmcnt(9)
	v_cvt_f32_f16_e32 v29, v34
	v_mul_f32_e32 v21, v26, v24
	ds_bpermute_b32 v24, v11, v17
	ds_bpermute_b32 v26, v12, v17
	s_waitcnt lgkmcnt(4)
	v_fmac_f32_e32 v16, v21, v22
	s_waitcnt vmcnt(8)
	v_cvt_f32_f16_e32 v22, v35
	s_waitcnt vmcnt(2)
	v_cvt_f32_f16_e32 v18, v18
	v_mul_f32_e32 v21, v28, v23
	ds_bpermute_b32 v23, v13, v17
	v_cvt_f32_f16_e32 v28, v36
	ds_bpermute_b32 v17, v14, v17
	s_waitcnt vmcnt(1)
	v_cvt_f32_f16_e32 v19, v19
	s_waitcnt lgkmcnt(5)
	v_fmac_f32_e32 v16, v21, v25
	v_mul_f32_e32 v21, v29, v22
	v_cvt_f32_f16_e32 v22, v37
	v_cvt_f32_f16_e32 v25, v38
	;; [unrolled: 1-line block ×3, first 2 shown]
	s_waitcnt vmcnt(0)
	v_cvt_f32_f16_e32 v20, v20
	s_waitcnt lgkmcnt(4)
	v_dual_fmac_f32 v16, v21, v27 :: v_dual_mul_f32 v21, v28, v22
	v_cvt_f32_f16_e32 v22, v40
	s_waitcnt lgkmcnt(3)
	s_delay_alu instid0(VALU_DEP_2) | instskip(NEXT) | instid1(VALU_DEP_2)
	v_fmac_f32_e32 v16, v21, v24
	v_dual_mul_f32 v21, v25, v29 :: v_dual_mul_f32 v18, v22, v18
	s_waitcnt lgkmcnt(2)
	s_delay_alu instid0(VALU_DEP_1) | instskip(SKIP_1) | instid1(VALU_DEP_1)
	v_fmac_f32_e32 v16, v21, v26
	s_waitcnt lgkmcnt(1)
	v_fmac_f32_e32 v16, v18, v23
	v_mul_f32_e32 v18, v19, v20
	s_waitcnt lgkmcnt(0)
	s_delay_alu instid0(VALU_DEP_1)
	v_fmac_f32_e32 v16, v18, v17
	s_cbranch_vccz .LBB177_7
.LBB177_4:                              ; =>This Inner Loop Header: Depth=1
	v_mov_b32_e32 v17, 0
	s_and_saveexec_b32 s3, s2
	s_cbranch_execz .LBB177_3
; %bb.5:                                ;   in Loop: Header=BB177_4 Depth=1
	v_mov_b32_e32 v17, 0
	s_mov_b32 s19, exec_lo
	v_cmpx_gt_i64_e64 s[4:5], v[4:5]
	s_cbranch_execz .LBB177_2
; %bb.6:                                ;   in Loop: Header=BB177_4 Depth=1
	global_load_b32 v17, v[6:7], off
	s_branch .LBB177_2
.LBB177_7:
	s_delay_alu instid0(VALU_DEP_1)
	v_cvt_f16_f32_e32 v3, v16
.LBB177_8:
	s_cmp_eq_u64 s[12:13], 0
	s_cbranch_scc1 .LBB177_10
; %bb.9:
	s_load_b32 s0, s[0:1], 0x4c
	v_mov_b32_e32 v2, 0
	v_lshlrev_b32_e32 v0, 1, v0
	s_waitcnt lgkmcnt(0)
	s_lshr_b32 s0, s0, 16
	s_delay_alu instid0(VALU_DEP_2) | instid1(SALU_CYCLE_1)
	v_mad_u64_u32 v[4:5], null, s0, s15, v[1:2]
	s_mov_b32 s15, 0
	s_delay_alu instid0(SALU_CYCLE_1) | instskip(NEXT) | instid1(SALU_CYCLE_1)
	s_lshl_b64 s[0:1], s[14:15], 6
	s_add_u32 s0, s0, s12
	s_addc_u32 s1, s1, s13
	s_delay_alu instid0(VALU_DEP_1) | instskip(NEXT) | instid1(VALU_DEP_2)
	v_mul_lo_u32 v5, v5, s6
	v_mul_lo_u32 v6, v4, s7
	v_mad_u64_u32 v[1:2], null, v4, s6, 0
	s_delay_alu instid0(VALU_DEP_1) | instskip(NEXT) | instid1(VALU_DEP_1)
	v_add3_u32 v2, v2, v6, v5
	v_lshlrev_b64 v[1:2], 1, v[1:2]
	s_delay_alu instid0(VALU_DEP_1) | instskip(NEXT) | instid1(VALU_DEP_2)
	v_add_co_u32 v1, vcc_lo, s0, v1
	v_add_co_ci_u32_e32 v2, vcc_lo, s1, v2, vcc_lo
	s_delay_alu instid0(VALU_DEP_2) | instskip(NEXT) | instid1(VALU_DEP_2)
	v_add_co_u32 v0, vcc_lo, v1, v0
	v_add_co_ci_u32_e32 v1, vcc_lo, 0, v2, vcc_lo
	global_store_b16 v[0:1], v3, off
.LBB177_10:
	s_nop 0
	s_sendmsg sendmsg(MSG_DEALLOC_VGPRS)
	s_endpgm
	.section	.rodata,"a",@progbits
	.p2align	6, 0x0
	.amdhsa_kernel _ZN2at6native12_GLOBAL__N_135GammaBetaBackwardCUDAKernelTemplateIN3c104HalfEfLj32ELj1ELj8ELb1ELb1ELb1EEEvllPKT_S7_PKT0_SA_PS5_SB_
		.amdhsa_group_segment_fixed_size 0
		.amdhsa_private_segment_fixed_size 0
		.amdhsa_kernarg_size 320
		.amdhsa_user_sgpr_count 14
		.amdhsa_user_sgpr_dispatch_ptr 0
		.amdhsa_user_sgpr_queue_ptr 0
		.amdhsa_user_sgpr_kernarg_segment_ptr 1
		.amdhsa_user_sgpr_dispatch_id 0
		.amdhsa_user_sgpr_private_segment_size 0
		.amdhsa_wavefront_size32 1
		.amdhsa_uses_dynamic_stack 0
		.amdhsa_enable_private_segment 0
		.amdhsa_system_sgpr_workgroup_id_x 1
		.amdhsa_system_sgpr_workgroup_id_y 1
		.amdhsa_system_sgpr_workgroup_id_z 0
		.amdhsa_system_sgpr_workgroup_info 0
		.amdhsa_system_vgpr_workitem_id 1
		.amdhsa_next_free_vgpr 41
		.amdhsa_next_free_sgpr 26
		.amdhsa_reserve_vcc 1
		.amdhsa_float_round_mode_32 0
		.amdhsa_float_round_mode_16_64 0
		.amdhsa_float_denorm_mode_32 3
		.amdhsa_float_denorm_mode_16_64 3
		.amdhsa_dx10_clamp 1
		.amdhsa_ieee_mode 1
		.amdhsa_fp16_overflow 0
		.amdhsa_workgroup_processor_mode 1
		.amdhsa_memory_ordered 1
		.amdhsa_forward_progress 0
		.amdhsa_shared_vgpr_count 0
		.amdhsa_exception_fp_ieee_invalid_op 0
		.amdhsa_exception_fp_denorm_src 0
		.amdhsa_exception_fp_ieee_div_zero 0
		.amdhsa_exception_fp_ieee_overflow 0
		.amdhsa_exception_fp_ieee_underflow 0
		.amdhsa_exception_fp_ieee_inexact 0
		.amdhsa_exception_int_div_zero 0
	.end_amdhsa_kernel
	.section	.text._ZN2at6native12_GLOBAL__N_135GammaBetaBackwardCUDAKernelTemplateIN3c104HalfEfLj32ELj1ELj8ELb1ELb1ELb1EEEvllPKT_S7_PKT0_SA_PS5_SB_,"axG",@progbits,_ZN2at6native12_GLOBAL__N_135GammaBetaBackwardCUDAKernelTemplateIN3c104HalfEfLj32ELj1ELj8ELb1ELb1ELb1EEEvllPKT_S7_PKT0_SA_PS5_SB_,comdat
.Lfunc_end177:
	.size	_ZN2at6native12_GLOBAL__N_135GammaBetaBackwardCUDAKernelTemplateIN3c104HalfEfLj32ELj1ELj8ELb1ELb1ELb1EEEvllPKT_S7_PKT0_SA_PS5_SB_, .Lfunc_end177-_ZN2at6native12_GLOBAL__N_135GammaBetaBackwardCUDAKernelTemplateIN3c104HalfEfLj32ELj1ELj8ELb1ELb1ELb1EEEvllPKT_S7_PKT0_SA_PS5_SB_
                                        ; -- End function
	.section	.AMDGPU.csdata,"",@progbits
; Kernel info:
; codeLenInByte = 1296
; NumSgprs: 28
; NumVgprs: 41
; ScratchSize: 0
; MemoryBound: 0
; FloatMode: 240
; IeeeMode: 1
; LDSByteSize: 0 bytes/workgroup (compile time only)
; SGPRBlocks: 3
; VGPRBlocks: 5
; NumSGPRsForWavesPerEU: 28
; NumVGPRsForWavesPerEU: 41
; Occupancy: 16
; WaveLimiterHint : 0
; COMPUTE_PGM_RSRC2:SCRATCH_EN: 0
; COMPUTE_PGM_RSRC2:USER_SGPR: 14
; COMPUTE_PGM_RSRC2:TRAP_HANDLER: 0
; COMPUTE_PGM_RSRC2:TGID_X_EN: 1
; COMPUTE_PGM_RSRC2:TGID_Y_EN: 1
; COMPUTE_PGM_RSRC2:TGID_Z_EN: 0
; COMPUTE_PGM_RSRC2:TIDIG_COMP_CNT: 1
	.section	.text._ZN2at6native12_GLOBAL__N_135GammaBetaBackwardCUDAKernelTemplateIN3c104HalfEfLj32ELj1ELj8ELb1ELb0ELb1EEEvllPKT_S7_PKT0_SA_PS5_SB_,"axG",@progbits,_ZN2at6native12_GLOBAL__N_135GammaBetaBackwardCUDAKernelTemplateIN3c104HalfEfLj32ELj1ELj8ELb1ELb0ELb1EEEvllPKT_S7_PKT0_SA_PS5_SB_,comdat
	.globl	_ZN2at6native12_GLOBAL__N_135GammaBetaBackwardCUDAKernelTemplateIN3c104HalfEfLj32ELj1ELj8ELb1ELb0ELb1EEEvllPKT_S7_PKT0_SA_PS5_SB_ ; -- Begin function _ZN2at6native12_GLOBAL__N_135GammaBetaBackwardCUDAKernelTemplateIN3c104HalfEfLj32ELj1ELj8ELb1ELb0ELb1EEEvllPKT_S7_PKT0_SA_PS5_SB_
	.p2align	8
	.type	_ZN2at6native12_GLOBAL__N_135GammaBetaBackwardCUDAKernelTemplateIN3c104HalfEfLj32ELj1ELj8ELb1ELb0ELb1EEEvllPKT_S7_PKT0_SA_PS5_SB_,@function
_ZN2at6native12_GLOBAL__N_135GammaBetaBackwardCUDAKernelTemplateIN3c104HalfEfLj32ELj1ELj8ELb1ELb0ELb1EEEvllPKT_S7_PKT0_SA_PS5_SB_: ; @_ZN2at6native12_GLOBAL__N_135GammaBetaBackwardCUDAKernelTemplateIN3c104HalfEfLj32ELj1ELj8ELb1ELb0ELb1EEEvllPKT_S7_PKT0_SA_PS5_SB_
; %bb.0:
	s_clause 0x1
	s_load_b256 s[16:23], s[0:1], 0x0
	s_load_b64 s[12:13], s[0:1], 0x28
	s_mov_b32 s2, s15
	s_lshl_b32 s15, s14, 5
	s_mov_b32 s35, 0
	s_or_b32 s34, s15, 31
	s_waitcnt lgkmcnt(0)
	v_cmp_ge_i64_e64 s3, s[34:35], s[18:19]
	s_lshl_b32 s34, s2, 3
	s_delay_alu instid0(SALU_CYCLE_1) | instskip(NEXT) | instid1(VALU_DEP_2)
	v_cmp_lt_i64_e64 s33, s[34:35], s[16:17]
	s_and_b32 vcc_lo, exec_lo, s3
	s_delay_alu instid0(VALU_DEP_1) | instskip(NEXT) | instid1(VALU_DEP_1)
	v_cndmask_b32_e64 v1, 0, 1, s33
	v_cmp_ne_u32_e64 s3, 1, v1
	s_cbranch_vccz .LBB178_49
; %bb.1:
	v_mov_b32_e32 v3, 0
	s_delay_alu instid0(VALU_DEP_2)
	s_and_b32 vcc_lo, exec_lo, s3
	s_cbranch_vccnz .LBB178_50
; %bb.2:
	v_bfe_u32 v29, v0, 10, 10
	s_load_b32 s4, s[0:1], 0x44
	v_dual_mov_b32 v2, 0 :: v_dual_and_b32 v31, 0x3ff, v0
	s_add_u32 s6, s0, 64
	s_delay_alu instid0(VALU_DEP_2) | instskip(NEXT) | instid1(VALU_DEP_2)
	v_dual_mov_b32 v65, 0 :: v_dual_lshlrev_b32 v30, 3, v29
	v_dual_mov_b32 v32, v2 :: v_dual_add_nc_u32 v1, s15, v31
	s_addc_u32 s7, s1, 0
	s_delay_alu instid0(VALU_DEP_2) | instskip(NEXT) | instid1(VALU_DEP_1)
	v_add_co_u32 v9, s3, v30, s34
	v_add_co_ci_u32_e64 v10, null, 0, 0, s3
	s_delay_alu instid0(VALU_DEP_3) | instskip(NEXT) | instid1(VALU_DEP_3)
	v_cmp_gt_i64_e64 s3, s[18:19], v[1:2]
	v_add_co_u32 v5, vcc_lo, v9, 7
	s_delay_alu instid0(VALU_DEP_3) | instskip(SKIP_1) | instid1(VALU_DEP_3)
	v_add_co_ci_u32_e32 v3, vcc_lo, 0, v10, vcc_lo
	v_add_co_u32 v8, vcc_lo, v9, 6
	v_mul_lo_u32 v6, s19, v5
	s_delay_alu instid0(VALU_DEP_3)
	v_mul_lo_u32 v7, s18, v3
	v_mad_u64_u32 v[3:4], null, s18, v5, 0
	v_add_co_ci_u32_e32 v5, vcc_lo, 0, v10, vcc_lo
	v_lshlrev_b64 v[25:26], 1, v[1:2]
	v_mul_lo_u32 v1, s19, v8
	s_waitcnt lgkmcnt(0)
	s_lshl_b32 s36, s4, 3
	s_mov_b32 s24, 0
	s_delay_alu instid0(VALU_DEP_4) | instskip(SKIP_3) | instid1(VALU_DEP_3)
	v_add3_u32 v4, v4, v7, v6
	v_mul_lo_u32 v7, s18, v5
	v_mad_u64_u32 v[5:6], null, s18, v8, 0
	s_mul_i32 s4, s19, s36
	v_lshlrev_b64 v[3:4], 1, v[3:4]
	s_mul_hi_u32 s5, s18, s36
	s_mul_i32 s8, s18, s36
	s_add_i32 s9, s5, s4
	s_mov_b64 s[10:11], s[34:35]
	s_delay_alu instid0(VALU_DEP_2) | instskip(SKIP_4) | instid1(VALU_DEP_1)
	v_add3_u32 v6, v6, v7, v1
	v_add_co_u32 v33, vcc_lo, s20, v3
	v_add_co_ci_u32_e32 v34, vcc_lo, s21, v4, vcc_lo
	v_add_co_u32 v1, vcc_lo, v9, 5
	v_add_co_u32 v35, s4, s22, v3
	v_add_co_ci_u32_e64 v36, s4, s23, v4, s4
	v_lshlrev_b64 v[3:4], 1, v[5:6]
	v_add_co_ci_u32_e32 v5, vcc_lo, 0, v10, vcc_lo
	v_add_co_u32 v12, vcc_lo, v9, 4
	v_mul_lo_u32 v11, s19, v1
	s_delay_alu instid0(VALU_DEP_3) | instskip(SKIP_4) | instid1(VALU_DEP_3)
	v_mul_lo_u32 v13, s18, v5
	v_mad_u64_u32 v[5:6], null, s18, v1, 0
	v_add_co_ci_u32_e32 v7, vcc_lo, 0, v10, vcc_lo
	v_mul_lo_u32 v1, s19, v12
	v_add_co_u32 v37, vcc_lo, s20, v3
	v_mul_lo_u32 v14, s18, v7
	v_mad_u64_u32 v[7:8], null, s18, v12, 0
	v_add3_u32 v6, v6, v13, v11
	v_add_co_ci_u32_e32 v38, vcc_lo, s21, v4, vcc_lo
	v_add_co_u32 v39, vcc_lo, s22, v3
	v_add_co_ci_u32_e32 v40, vcc_lo, s23, v4, vcc_lo
	s_delay_alu instid0(VALU_DEP_4) | instskip(SKIP_3) | instid1(VALU_DEP_4)
	v_lshlrev_b64 v[3:4], 1, v[5:6]
	v_add3_u32 v8, v8, v14, v1
	v_add_co_u32 v1, vcc_lo, v9, 3
	v_add_co_ci_u32_e32 v11, vcc_lo, 0, v10, vcc_lo
	v_add_co_u32 v41, vcc_lo, s20, v3
	s_delay_alu instid0(VALU_DEP_4)
	v_lshlrev_b64 v[5:6], 1, v[7:8]
	v_add_co_ci_u32_e32 v42, vcc_lo, s21, v4, vcc_lo
	v_mul_lo_u32 v12, s19, v1
	v_mul_lo_u32 v11, s18, v11
	v_mad_u64_u32 v[7:8], null, s18, v1, 0
	v_add_co_u32 v43, vcc_lo, s22, v3
	v_add_co_ci_u32_e32 v44, vcc_lo, s23, v4, vcc_lo
	v_add_co_u32 v45, vcc_lo, s20, v5
	v_add_co_ci_u32_e32 v46, vcc_lo, s21, v6, vcc_lo
	v_add_co_u32 v1, vcc_lo, v9, 2
	v_add3_u32 v8, v8, v11, v12
	v_add_co_ci_u32_e32 v11, vcc_lo, 0, v10, vcc_lo
	v_add_co_u32 v47, vcc_lo, s22, v5
	v_add_co_ci_u32_e32 v48, vcc_lo, s23, v6, vcc_lo
	v_mul_lo_u32 v12, s19, v1
	s_delay_alu instid0(VALU_DEP_4)
	v_mul_lo_u32 v11, s18, v11
	v_mad_u64_u32 v[5:6], null, s18, v1, 0
	v_lshlrev_b64 v[3:4], 1, v[7:8]
	v_mul_lo_u32 v1, s19, v9
	v_mul_lo_u32 v10, s18, v10
	v_mad_u64_u32 v[7:8], null, s18, v9, 0
	s_mov_b64 s[4:5], 7
	s_delay_alu instid0(VALU_DEP_4)
	v_add_co_u32 v49, vcc_lo, s20, v3
	v_add3_u32 v6, v6, v11, v12
	v_add_co_ci_u32_e32 v50, vcc_lo, s21, v4, vcc_lo
	v_add_co_u32 v51, vcc_lo, s22, v3
	v_add3_u32 v8, v8, v10, v1
	v_add_co_ci_u32_e32 v52, vcc_lo, s23, v4, vcc_lo
	v_lshlrev_b64 v[3:4], 1, v[5:6]
	v_add_co_u32 v5, vcc_lo, v7, s18
	s_delay_alu instid0(VALU_DEP_4) | instskip(SKIP_1) | instid1(VALU_DEP_3)
	v_add_co_ci_u32_e32 v6, vcc_lo, s19, v8, vcc_lo
	s_lshl_b64 s[8:9], s[8:9], 1
	v_add_co_u32 v53, vcc_lo, s20, v3
	s_delay_alu instid0(VALU_DEP_2) | instskip(SKIP_3) | instid1(VALU_DEP_4)
	v_lshlrev_b64 v[5:6], 1, v[5:6]
	v_add_co_ci_u32_e32 v54, vcc_lo, s21, v4, vcc_lo
	v_add_co_u32 v55, vcc_lo, s22, v3
	v_add_co_ci_u32_e32 v56, vcc_lo, s23, v4, vcc_lo
	v_add_co_u32 v57, vcc_lo, s20, v5
	v_lshlrev_b64 v[3:4], 1, v[7:8]
	v_add_co_ci_u32_e32 v58, vcc_lo, s21, v6, vcc_lo
	v_add_co_u32 v59, vcc_lo, s22, v5
	v_add_co_ci_u32_e32 v60, vcc_lo, s23, v6, vcc_lo
	s_delay_alu instid0(VALU_DEP_4)
	v_add_co_u32 v61, vcc_lo, s20, v3
	v_add_co_ci_u32_e32 v62, vcc_lo, s21, v4, vcc_lo
	v_add_co_u32 v63, vcc_lo, s22, v3
	v_add_co_ci_u32_e32 v64, vcc_lo, s23, v4, vcc_lo
.LBB178_3:                              ; =>This Inner Loop Header: Depth=1
	s_add_u32 s26, s34, s4
	s_addc_u32 s27, 0, s5
	v_add_co_u32 v27, vcc_lo, s34, v30
	v_cmp_ge_i64_e64 s25, s[26:27], s[16:17]
	v_add_co_ci_u32_e32 v28, vcc_lo, 0, v32, vcc_lo
	s_delay_alu instid0(VALU_DEP_2)
	s_and_b32 vcc_lo, exec_lo, s25
	s_cbranch_vccz .LBB178_25
; %bb.4:                                ;   in Loop: Header=BB178_3 Depth=1
	s_load_b32 s25, s[6:7], 0xc
	v_mov_b32_e32 v66, 0
	s_waitcnt lgkmcnt(0)
	s_and_b32 s25, s25, 0xffff
	s_delay_alu instid0(SALU_CYCLE_1) | instskip(SKIP_1) | instid1(VALU_DEP_1)
	v_mad_u32_u24 v1, v29, s25, v31
	s_mov_b32 s25, exec_lo
	v_and_b32_e32 v1, 31, v1
	s_delay_alu instid0(VALU_DEP_1)
	v_cmpx_gt_u32_e32 8, v1
	s_cbranch_execz .LBB178_8
; %bb.5:                                ;   in Loop: Header=BB178_3 Depth=1
	v_add_co_u32 v3, vcc_lo, v27, v1
	v_add_co_ci_u32_e32 v4, vcc_lo, 0, v28, vcc_lo
	v_mov_b32_e32 v66, 0
	s_mov_b32 s26, exec_lo
	s_delay_alu instid0(VALU_DEP_2)
	v_cmpx_gt_i64_e64 s[16:17], v[3:4]
	s_cbranch_execz .LBB178_7
; %bb.6:                                ;   in Loop: Header=BB178_3 Depth=1
	v_lshlrev_b64 v[3:4], 2, v[3:4]
	s_delay_alu instid0(VALU_DEP_1) | instskip(NEXT) | instid1(VALU_DEP_2)
	v_add_co_u32 v3, vcc_lo, s12, v3
	v_add_co_ci_u32_e32 v4, vcc_lo, s13, v4, vcc_lo
	global_load_b32 v66, v[3:4], off
.LBB178_7:                              ;   in Loop: Header=BB178_3 Depth=1
	s_or_b32 exec_lo, exec_lo, s26
.LBB178_8:                              ;   in Loop: Header=BB178_3 Depth=1
	s_delay_alu instid0(SALU_CYCLE_1)
	s_or_b32 exec_lo, exec_lo, s25
	s_mov_b32 s30, s24
	s_mov_b32 s31, s24
	;; [unrolled: 1-line block ×7, first 2 shown]
	v_dual_mov_b32 v9, s24 :: v_dual_mov_b32 v10, s25
	v_dual_mov_b32 v15, s30 :: v_dual_mov_b32 v16, s31
	;; [unrolled: 1-line block ×4, first 2 shown]
	v_cmp_gt_i64_e32 vcc_lo, s[16:17], v[27:28]
	s_delay_alu instid0(VALU_DEP_4) | instskip(NEXT) | instid1(VALU_DEP_3)
	v_dual_mov_b32 v24, v16 :: v_dual_mov_b32 v23, v15
	v_dual_mov_b32 v21, v13 :: v_dual_mov_b32 v22, v14
	;; [unrolled: 1-line block ×4, first 2 shown]
	s_and_b32 s26, s3, vcc_lo
	s_delay_alu instid0(SALU_CYCLE_1)
	s_and_saveexec_b32 s25, s26
	s_cbranch_execz .LBB178_10
; %bb.9:                                ;   in Loop: Header=BB178_3 Depth=1
	v_add_co_u32 v3, vcc_lo, v61, v25
	v_add_co_ci_u32_e32 v4, vcc_lo, v62, v26, vcc_lo
	v_add_co_u32 v5, vcc_lo, v63, v25
	v_add_co_ci_u32_e32 v6, vcc_lo, v64, v26, vcc_lo
	v_mov_b32_e32 v8, v2
	global_load_u16 v1, v[3:4], off
	global_load_u16 v9, v[5:6], off
	v_mov_b32_e32 v3, v2
	v_mov_b32_e32 v4, v2
	;; [unrolled: 1-line block ×6, first 2 shown]
	s_waitcnt vmcnt(1)
	v_cvt_f32_f16_e32 v1, v1
	v_dual_mov_b32 v11, v2 :: v_dual_mov_b32 v24, v8
	v_dual_mov_b32 v10, v2 :: v_dual_mov_b32 v23, v7
	s_waitcnt vmcnt(0)
	v_cvt_f32_f16_e32 v9, v9
	v_dual_mov_b32 v12, v2 :: v_dual_mov_b32 v21, v5
	v_dual_mov_b32 v13, v2 :: v_dual_mov_b32 v20, v4
	;; [unrolled: 1-line block ×4, first 2 shown]
	v_mov_b32_e32 v22, v6
	v_mov_b32_e32 v18, v2
.LBB178_10:                             ;   in Loop: Header=BB178_3 Depth=1
	s_or_b32 exec_lo, exec_lo, s25
	v_add_co_u32 v3, vcc_lo, v27, 1
	v_add_co_ci_u32_e32 v4, vcc_lo, 0, v28, vcc_lo
	s_delay_alu instid0(VALU_DEP_1) | instskip(SKIP_1) | instid1(SALU_CYCLE_1)
	v_cmp_gt_i64_e32 vcc_lo, s[16:17], v[3:4]
	s_and_b32 s26, s3, vcc_lo
	s_and_saveexec_b32 s25, s26
	s_cbranch_execz .LBB178_12
; %bb.11:                               ;   in Loop: Header=BB178_3 Depth=1
	v_add_co_u32 v3, vcc_lo, v57, v25
	v_add_co_ci_u32_e32 v4, vcc_lo, v58, v26, vcc_lo
	v_add_co_u32 v5, vcc_lo, v59, v25
	v_add_co_ci_u32_e32 v6, vcc_lo, v60, v26, vcc_lo
	global_load_u16 v1, v[3:4], off
	global_load_u16 v3, v[5:6], off
	s_waitcnt vmcnt(1)
	v_cvt_f32_f16_e32 v18, v1
	s_waitcnt vmcnt(0)
	v_cvt_f32_f16_e32 v10, v3
.LBB178_12:                             ;   in Loop: Header=BB178_3 Depth=1
	s_or_b32 exec_lo, exec_lo, s25
	v_add_co_u32 v3, vcc_lo, v27, 2
	v_add_co_ci_u32_e32 v4, vcc_lo, 0, v28, vcc_lo
	s_delay_alu instid0(VALU_DEP_1) | instskip(SKIP_1) | instid1(SALU_CYCLE_1)
	v_cmp_gt_i64_e32 vcc_lo, s[16:17], v[3:4]
	s_and_b32 s26, s3, vcc_lo
	s_and_saveexec_b32 s25, s26
	s_cbranch_execz .LBB178_14
; %bb.13:                               ;   in Loop: Header=BB178_3 Depth=1
	v_add_co_u32 v3, vcc_lo, v53, v25
	v_add_co_ci_u32_e32 v4, vcc_lo, v54, v26, vcc_lo
	v_add_co_u32 v5, vcc_lo, v55, v25
	v_add_co_ci_u32_e32 v6, vcc_lo, v56, v26, vcc_lo
	global_load_u16 v1, v[3:4], off
	global_load_u16 v3, v[5:6], off
	s_waitcnt vmcnt(1)
	v_cvt_f32_f16_e32 v19, v1
	s_waitcnt vmcnt(0)
	v_cvt_f32_f16_e32 v11, v3
.LBB178_14:                             ;   in Loop: Header=BB178_3 Depth=1
	;; [unrolled: 20-line block ×7, first 2 shown]
	s_or_b32 exec_lo, exec_lo, s25
	s_waitcnt vmcnt(0)
	ds_bpermute_b32 v1, v2, v66
	ds_bpermute_b32 v4, v2, v66 offset:4
	ds_bpermute_b32 v5, v2, v66 offset:8
	v_mul_f32_e32 v3, v9, v17
	ds_bpermute_b32 v6, v2, v66 offset:12
	v_mul_f32_e32 v7, v10, v18
	ds_bpermute_b32 v8, v2, v66 offset:16
	ds_bpermute_b32 v9, v2, v66 offset:20
	s_waitcnt lgkmcnt(5)
	v_fma_f32 v3, v3, v1, v65
	v_mul_f32_e32 v1, v11, v19
	s_waitcnt lgkmcnt(4)
	s_delay_alu instid0(VALU_DEP_2) | instskip(SKIP_2) | instid1(VALU_DEP_2)
	v_fmac_f32_e32 v3, v7, v4
	v_dual_mul_f32 v4, v12, v20 :: v_dual_mul_f32 v7, v13, v21
	s_waitcnt lgkmcnt(3)
	v_fmac_f32_e32 v3, v1, v5
	ds_bpermute_b32 v5, v2, v66 offset:24
	ds_bpermute_b32 v1, v2, v66 offset:28
	s_waitcnt lgkmcnt(4)
	v_fmac_f32_e32 v3, v4, v6
	s_waitcnt lgkmcnt(3)
	s_delay_alu instid0(VALU_DEP_1) | instskip(SKIP_1) | instid1(VALU_DEP_1)
	v_dual_mul_f32 v4, v14, v22 :: v_dual_fmac_f32 v3, v7, v8
	s_waitcnt lgkmcnt(2)
	v_dual_fmac_f32 v3, v4, v9 :: v_dual_mul_f32 v4, v15, v23
	s_waitcnt lgkmcnt(1)
	s_delay_alu instid0(VALU_DEP_1)
	v_fmac_f32_e32 v3, v4, v5
	s_branch .LBB178_40
.LBB178_25:                             ;   in Loop: Header=BB178_3 Depth=1
                                        ; implicit-def: $vgpr3
                                        ; implicit-def: $vgpr9_vgpr10_vgpr11_vgpr12_vgpr13_vgpr14_vgpr15_vgpr16
                                        ; implicit-def: $vgpr17_vgpr18_vgpr19_vgpr20_vgpr21_vgpr22_vgpr23_vgpr24
                                        ; implicit-def: $vgpr1
	s_cbranch_execz .LBB178_40
; %bb.26:                               ;   in Loop: Header=BB178_3 Depth=1
	s_load_b32 s25, s[6:7], 0x0
	v_mov_b32_e32 v66, 0
	s_waitcnt lgkmcnt(0)
	s_cmp_lt_u32 s14, s25
	s_cselect_b32 s25, 12, 18
	s_delay_alu instid0(SALU_CYCLE_1)
	s_add_u32 s26, s6, s25
	s_addc_u32 s27, s7, 0
	s_mov_b32 s25, exec_lo
	global_load_u16 v1, v2, s[26:27]
	s_waitcnt vmcnt(0)
	v_mad_u32_u24 v1, v29, v1, v31
	s_delay_alu instid0(VALU_DEP_1) | instskip(NEXT) | instid1(VALU_DEP_1)
	v_and_b32_e32 v1, 31, v1
	v_cmpx_gt_u32_e32 8, v1
	s_cbranch_execz .LBB178_30
; %bb.27:                               ;   in Loop: Header=BB178_3 Depth=1
	v_add_co_u32 v3, vcc_lo, v27, v1
	v_add_co_ci_u32_e32 v4, vcc_lo, 0, v28, vcc_lo
	v_mov_b32_e32 v66, 0
	s_mov_b32 s26, exec_lo
	s_delay_alu instid0(VALU_DEP_2)
	v_cmpx_gt_i64_e64 s[16:17], v[3:4]
	s_cbranch_execz .LBB178_29
; %bb.28:                               ;   in Loop: Header=BB178_3 Depth=1
	v_lshlrev_b64 v[3:4], 2, v[3:4]
	s_delay_alu instid0(VALU_DEP_1) | instskip(NEXT) | instid1(VALU_DEP_2)
	v_add_co_u32 v3, vcc_lo, s12, v3
	v_add_co_ci_u32_e32 v4, vcc_lo, s13, v4, vcc_lo
	global_load_b32 v66, v[3:4], off
.LBB178_29:                             ;   in Loop: Header=BB178_3 Depth=1
	s_or_b32 exec_lo, exec_lo, s26
.LBB178_30:                             ;   in Loop: Header=BB178_3 Depth=1
	s_delay_alu instid0(SALU_CYCLE_1)
	s_or_b32 exec_lo, exec_lo, s25
	s_mov_b32 s30, s24
	s_mov_b32 s31, s24
	;; [unrolled: 1-line block ×7, first 2 shown]
	v_dual_mov_b32 v9, s24 :: v_dual_mov_b32 v10, s25
	v_dual_mov_b32 v15, s30 :: v_dual_mov_b32 v16, s31
	;; [unrolled: 1-line block ×4, first 2 shown]
	s_delay_alu instid0(VALU_DEP_3) | instskip(NEXT) | instid1(VALU_DEP_3)
	v_dual_mov_b32 v24, v16 :: v_dual_mov_b32 v23, v15
	v_dual_mov_b32 v20, v12 :: v_dual_mov_b32 v19, v11
	s_delay_alu instid0(VALU_DEP_3)
	v_dual_mov_b32 v22, v14 :: v_dual_mov_b32 v21, v13
	v_dual_mov_b32 v18, v10 :: v_dual_mov_b32 v17, v9
	s_and_saveexec_b32 s25, s3
	s_cbranch_execnz .LBB178_42
; %bb.31:                               ;   in Loop: Header=BB178_3 Depth=1
	s_or_b32 exec_lo, exec_lo, s25
	s_and_saveexec_b32 s25, s3
	s_cbranch_execnz .LBB178_43
.LBB178_32:                             ;   in Loop: Header=BB178_3 Depth=1
	s_or_b32 exec_lo, exec_lo, s25
	s_and_saveexec_b32 s25, s3
	s_cbranch_execnz .LBB178_44
.LBB178_33:                             ;   in Loop: Header=BB178_3 Depth=1
	s_or_b32 exec_lo, exec_lo, s25
	s_and_saveexec_b32 s25, s3
	s_cbranch_execnz .LBB178_45
.LBB178_34:                             ;   in Loop: Header=BB178_3 Depth=1
	s_or_b32 exec_lo, exec_lo, s25
	s_and_saveexec_b32 s25, s3
	s_cbranch_execnz .LBB178_46
.LBB178_35:                             ;   in Loop: Header=BB178_3 Depth=1
	s_or_b32 exec_lo, exec_lo, s25
	s_and_saveexec_b32 s25, s3
	s_cbranch_execnz .LBB178_47
.LBB178_36:                             ;   in Loop: Header=BB178_3 Depth=1
	s_or_b32 exec_lo, exec_lo, s25
	s_and_saveexec_b32 s25, s3
	s_cbranch_execnz .LBB178_48
.LBB178_37:                             ;   in Loop: Header=BB178_3 Depth=1
	s_or_b32 exec_lo, exec_lo, s25
	s_and_saveexec_b32 s25, s3
	s_cbranch_execz .LBB178_39
.LBB178_38:                             ;   in Loop: Header=BB178_3 Depth=1
	v_add_co_u32 v3, vcc_lo, v33, v25
	v_add_co_ci_u32_e32 v4, vcc_lo, v34, v26, vcc_lo
	v_add_co_u32 v5, vcc_lo, v35, v25
	v_add_co_ci_u32_e32 v6, vcc_lo, v36, v26, vcc_lo
	global_load_u16 v1, v[3:4], off
	global_load_u16 v3, v[5:6], off
	s_waitcnt vmcnt(1)
	v_cvt_f32_f16_e32 v24, v1
	s_waitcnt vmcnt(0)
	v_cvt_f32_f16_e32 v16, v3
.LBB178_39:                             ;   in Loop: Header=BB178_3 Depth=1
	s_or_b32 exec_lo, exec_lo, s25
	s_waitcnt vmcnt(0)
	ds_bpermute_b32 v1, v2, v66
	ds_bpermute_b32 v3, v2, v66 offset:4
	ds_bpermute_b32 v4, v2, v66 offset:8
	v_mul_f32_e32 v5, v9, v17
	ds_bpermute_b32 v6, v2, v66 offset:12
	v_mul_f32_e32 v7, v10, v18
	ds_bpermute_b32 v8, v2, v66 offset:16
	s_waitcnt lgkmcnt(4)
	v_fmac_f32_e32 v65, v5, v1
	v_mul_f32_e32 v1, v11, v19
	ds_bpermute_b32 v5, v2, v66 offset:20
	s_waitcnt lgkmcnt(4)
	v_fmac_f32_e32 v65, v7, v3
	v_mul_f32_e32 v3, v12, v20
	s_waitcnt lgkmcnt(3)
	s_delay_alu instid0(VALU_DEP_2)
	v_fmac_f32_e32 v65, v1, v4
	ds_bpermute_b32 v4, v2, v66 offset:24
	v_mul_f32_e32 v1, v13, v21
	s_waitcnt lgkmcnt(3)
	v_fmac_f32_e32 v65, v3, v6
	v_mul_f32_e32 v3, v14, v22
	s_waitcnt lgkmcnt(2)
	s_delay_alu instid0(VALU_DEP_2)
	v_fmac_f32_e32 v65, v1, v8
	ds_bpermute_b32 v1, v2, v66 offset:28
	s_waitcnt lgkmcnt(2)
	v_fmac_f32_e32 v65, v3, v5
	v_mul_f32_e32 v3, v15, v23
	s_waitcnt lgkmcnt(1)
	s_delay_alu instid0(VALU_DEP_1) | instskip(NEXT) | instid1(VALU_DEP_1)
	v_fmac_f32_e32 v65, v3, v4
	v_mov_b32_e32 v3, v65
.LBB178_40:                             ;   in Loop: Header=BB178_3 Depth=1
	v_add_co_u32 v33, vcc_lo, v33, s8
	v_add_co_ci_u32_e32 v34, vcc_lo, s9, v34, vcc_lo
	v_add_co_u32 v35, vcc_lo, v35, s8
	v_add_co_ci_u32_e32 v36, vcc_lo, s9, v36, vcc_lo
	;; [unrolled: 2-line block ×14, first 2 shown]
	v_add_co_u32 v30, vcc_lo, v30, s36
	s_add_u32 s10, s10, s36
	v_add_co_ci_u32_e32 v32, vcc_lo, 0, v32, vcc_lo
	v_mul_f32_e32 v4, v24, v16
	s_addc_u32 s11, s11, 0
	v_add_co_u32 v61, vcc_lo, v61, s8
	v_add_co_ci_u32_e32 v62, vcc_lo, s9, v62, vcc_lo
	v_cmp_lt_i64_e64 s25, s[10:11], s[16:17]
	v_add_co_u32 v63, vcc_lo, v63, s8
	s_waitcnt lgkmcnt(0)
	v_fmac_f32_e32 v3, v4, v1
	v_add_co_ci_u32_e32 v64, vcc_lo, s9, v64, vcc_lo
	s_add_u32 s4, s4, s36
	s_addc_u32 s5, s5, 0
	s_and_b32 vcc_lo, exec_lo, s25
	s_cbranch_vccz .LBB178_50
; %bb.41:                               ;   in Loop: Header=BB178_3 Depth=1
	v_mov_b32_e32 v65, v3
	s_branch .LBB178_3
.LBB178_42:                             ;   in Loop: Header=BB178_3 Depth=1
	v_add_co_u32 v3, vcc_lo, v61, v25
	v_add_co_ci_u32_e32 v4, vcc_lo, v62, v26, vcc_lo
	v_add_co_u32 v5, vcc_lo, v63, v25
	v_add_co_ci_u32_e32 v6, vcc_lo, v64, v26, vcc_lo
	v_mov_b32_e32 v8, v2
	global_load_u16 v1, v[3:4], off
	global_load_u16 v9, v[5:6], off
	v_mov_b32_e32 v3, v2
	v_mov_b32_e32 v4, v2
	;; [unrolled: 1-line block ×6, first 2 shown]
	s_waitcnt vmcnt(1)
	v_cvt_f32_f16_e32 v1, v1
	v_dual_mov_b32 v11, v2 :: v_dual_mov_b32 v24, v8
	v_dual_mov_b32 v10, v2 :: v_dual_mov_b32 v23, v7
	s_waitcnt vmcnt(0)
	v_cvt_f32_f16_e32 v9, v9
	v_dual_mov_b32 v12, v2 :: v_dual_mov_b32 v21, v5
	v_dual_mov_b32 v13, v2 :: v_dual_mov_b32 v20, v4
	v_dual_mov_b32 v14, v2 :: v_dual_mov_b32 v19, v3
	v_dual_mov_b32 v16, v2 :: v_dual_mov_b32 v17, v1
	v_mov_b32_e32 v22, v6
	v_mov_b32_e32 v18, v2
	s_or_b32 exec_lo, exec_lo, s25
	s_and_saveexec_b32 s25, s3
	s_cbranch_execz .LBB178_32
.LBB178_43:                             ;   in Loop: Header=BB178_3 Depth=1
	v_add_co_u32 v3, vcc_lo, v57, v25
	v_add_co_ci_u32_e32 v4, vcc_lo, v58, v26, vcc_lo
	v_add_co_u32 v5, vcc_lo, v59, v25
	v_add_co_ci_u32_e32 v6, vcc_lo, v60, v26, vcc_lo
	global_load_u16 v1, v[3:4], off
	global_load_u16 v3, v[5:6], off
	s_waitcnt vmcnt(1)
	v_cvt_f32_f16_e32 v18, v1
	s_waitcnt vmcnt(0)
	v_cvt_f32_f16_e32 v10, v3
	s_or_b32 exec_lo, exec_lo, s25
	s_and_saveexec_b32 s25, s3
	s_cbranch_execz .LBB178_33
.LBB178_44:                             ;   in Loop: Header=BB178_3 Depth=1
	v_add_co_u32 v3, vcc_lo, v53, v25
	v_add_co_ci_u32_e32 v4, vcc_lo, v54, v26, vcc_lo
	v_add_co_u32 v5, vcc_lo, v55, v25
	v_add_co_ci_u32_e32 v6, vcc_lo, v56, v26, vcc_lo
	global_load_u16 v1, v[3:4], off
	global_load_u16 v3, v[5:6], off
	s_waitcnt vmcnt(1)
	v_cvt_f32_f16_e32 v19, v1
	s_waitcnt vmcnt(0)
	v_cvt_f32_f16_e32 v11, v3
	s_or_b32 exec_lo, exec_lo, s25
	s_and_saveexec_b32 s25, s3
	s_cbranch_execz .LBB178_34
.LBB178_45:                             ;   in Loop: Header=BB178_3 Depth=1
	v_add_co_u32 v3, vcc_lo, v49, v25
	v_add_co_ci_u32_e32 v4, vcc_lo, v50, v26, vcc_lo
	v_add_co_u32 v5, vcc_lo, v51, v25
	v_add_co_ci_u32_e32 v6, vcc_lo, v52, v26, vcc_lo
	global_load_u16 v1, v[3:4], off
	global_load_u16 v3, v[5:6], off
	s_waitcnt vmcnt(1)
	v_cvt_f32_f16_e32 v20, v1
	s_waitcnt vmcnt(0)
	v_cvt_f32_f16_e32 v12, v3
	s_or_b32 exec_lo, exec_lo, s25
	s_and_saveexec_b32 s25, s3
	s_cbranch_execz .LBB178_35
.LBB178_46:                             ;   in Loop: Header=BB178_3 Depth=1
	v_add_co_u32 v3, vcc_lo, v45, v25
	v_add_co_ci_u32_e32 v4, vcc_lo, v46, v26, vcc_lo
	v_add_co_u32 v5, vcc_lo, v47, v25
	v_add_co_ci_u32_e32 v6, vcc_lo, v48, v26, vcc_lo
	global_load_u16 v1, v[3:4], off
	global_load_u16 v3, v[5:6], off
	s_waitcnt vmcnt(1)
	v_cvt_f32_f16_e32 v21, v1
	s_waitcnt vmcnt(0)
	v_cvt_f32_f16_e32 v13, v3
	s_or_b32 exec_lo, exec_lo, s25
	s_and_saveexec_b32 s25, s3
	s_cbranch_execz .LBB178_36
.LBB178_47:                             ;   in Loop: Header=BB178_3 Depth=1
	v_add_co_u32 v3, vcc_lo, v41, v25
	v_add_co_ci_u32_e32 v4, vcc_lo, v42, v26, vcc_lo
	v_add_co_u32 v5, vcc_lo, v43, v25
	v_add_co_ci_u32_e32 v6, vcc_lo, v44, v26, vcc_lo
	global_load_u16 v1, v[3:4], off
	global_load_u16 v3, v[5:6], off
	s_waitcnt vmcnt(1)
	v_cvt_f32_f16_e32 v22, v1
	s_waitcnt vmcnt(0)
	v_cvt_f32_f16_e32 v14, v3
	s_or_b32 exec_lo, exec_lo, s25
	s_and_saveexec_b32 s25, s3
	s_cbranch_execz .LBB178_37
.LBB178_48:                             ;   in Loop: Header=BB178_3 Depth=1
	v_add_co_u32 v3, vcc_lo, v37, v25
	v_add_co_ci_u32_e32 v4, vcc_lo, v38, v26, vcc_lo
	v_add_co_u32 v5, vcc_lo, v39, v25
	v_add_co_ci_u32_e32 v6, vcc_lo, v40, v26, vcc_lo
	global_load_u16 v1, v[3:4], off
	global_load_u16 v3, v[5:6], off
	s_waitcnt vmcnt(1)
	v_cvt_f32_f16_e32 v23, v1
	s_waitcnt vmcnt(0)
	v_cvt_f32_f16_e32 v15, v3
	s_or_b32 exec_lo, exec_lo, s25
	s_and_saveexec_b32 s25, s3
	s_cbranch_execnz .LBB178_38
	s_branch .LBB178_39
.LBB178_49:
                                        ; implicit-def: $vgpr3
	s_load_b64 s[24:25], s[0:1], 0x30
	s_branch .LBB178_51
.LBB178_50:
	s_load_b64 s[24:25], s[0:1], 0x30
	s_cbranch_execnz .LBB178_83
.LBB178_51:
	v_mov_b32_e32 v3, 0
	s_and_not1_b32 vcc_lo, exec_lo, s33
	s_cbranch_vccnz .LBB178_83
; %bb.52:
	v_bfe_u32 v57, v0, 10, 10
	v_mov_b32_e32 v2, 0
	s_add_u32 s26, s0, 64
	s_addc_u32 s27, s1, 0
	s_lshl_b64 s[6:7], s[34:35], 1
	v_lshlrev_b32_e32 v3, 4, v57
	s_load_b32 s3, s[0:1], 0x44
	v_dual_mov_b32 v93, 0 :: v_dual_and_b32 v58, 0x3ff, v0
	v_mov_b32_e32 v60, v2
	s_delay_alu instid0(VALU_DEP_3) | instskip(NEXT) | instid1(VALU_DEP_1)
	v_add_co_u32 v3, s5, v3, s6
	v_add_co_ci_u32_e64 v4, null, 0, s7, s5
	s_delay_alu instid0(VALU_DEP_4) | instskip(NEXT) | instid1(VALU_DEP_3)
	v_add_nc_u32_e32 v1, s15, v58
	v_add_co_u32 v7, vcc_lo, v3, 2
	s_delay_alu instid0(VALU_DEP_3) | instskip(NEXT) | instid1(VALU_DEP_3)
	v_add_co_ci_u32_e32 v5, vcc_lo, 0, v4, vcc_lo
	v_lshlrev_b64 v[27:28], 1, v[1:2]
	v_add_co_u32 v1, vcc_lo, v3, 4
	s_delay_alu instid0(VALU_DEP_3) | instskip(SKIP_3) | instid1(VALU_DEP_3)
	v_mul_lo_u32 v8, s18, v5
	v_add_co_ci_u32_e32 v5, vcc_lo, 0, v4, vcc_lo
	v_add_co_u32 v11, vcc_lo, v3, 6
	v_lshlrev_b32_e32 v59, 3, v57
	v_mul_lo_u32 v10, s18, v5
	v_add_co_ci_u32_e32 v5, vcc_lo, 0, v4, vcc_lo
	v_add_co_u32 v13, vcc_lo, v3, 8
	s_waitcnt lgkmcnt(0)
	s_lshl_b32 s15, s3, 3
	v_add_co_ci_u32_e32 v6, vcc_lo, 0, v4, vcc_lo
	v_add_co_u32 v17, vcc_lo, v3, 10
	s_mul_i32 s3, s19, s15
	s_mul_hi_u32 s5, s18, s15
	v_mul_lo_u32 v14, s18, v5
	v_add_co_ci_u32_e32 v5, vcc_lo, 0, v4, vcc_lo
	s_add_i32 s7, s5, s3
	v_add_co_u32 v19, vcc_lo, v3, 12
	v_add_co_u32 v24, s3, v59, s34
	v_mul_lo_u32 v16, s18, v6
	v_add_co_ci_u32_e32 v6, vcc_lo, 0, v4, vcc_lo
	v_add_co_ci_u32_e64 v55, null, 0, 0, s3
	v_add_co_u32 v56, vcc_lo, v3, 14
	v_mul_lo_u32 v20, s18, v5
	s_delay_alu instid0(VALU_DEP_4) | instskip(SKIP_4) | instid1(VALU_DEP_4)
	v_mul_lo_u32 v22, s18, v6
	v_add_co_ci_u32_e32 v5, vcc_lo, 0, v4, vcc_lo
	v_mul_lo_u32 v6, s19, v24
	v_mul_lo_u32 v41, s18, v55
	v_mad_u64_u32 v[3:4], null, s18, v24, 0
	v_mul_lo_u32 v63, s18, v5
	v_mad_u64_u32 v[25:26], null, s18, v7, s[20:21]
	;; [unrolled: 2-line block ×3, first 2 shown]
	v_add3_u32 v4, v4, v41, v6
	v_mul_lo_u32 v12, s19, v1
	v_mad_u64_u32 v[41:42], null, s18, v7, s[22:23]
	v_mad_u64_u32 v[43:44], null, s18, v1, s[22:23]
	s_delay_alu instid0(VALU_DEP_4) | instskip(SKIP_3) | instid1(VALU_DEP_4)
	v_lshlrev_b64 v[5:6], 1, v[3:4]
	v_mad_u64_u32 v[31:32], null, s18, v11, s[20:21]
	v_mul_lo_u32 v15, s19, v11
	v_mad_u64_u32 v[45:46], null, s18, v11, s[22:23]
	v_add_co_u32 v61, vcc_lo, s20, v5
	v_add_co_ci_u32_e32 v62, vcc_lo, s21, v6, vcc_lo
	v_add_co_u32 v1, vcc_lo, v24, 7
	v_add_co_ci_u32_e32 v7, vcc_lo, 0, v55, vcc_lo
	v_mad_u64_u32 v[33:34], null, s18, v13, s[20:21]
	v_mul_lo_u32 v18, s19, v13
	v_mad_u64_u32 v[47:48], null, s18, v13, s[22:23]
	v_add_co_u32 v13, vcc_lo, v24, 6
	v_add3_u32 v26, v9, v26, v8
	v_add3_u32 v30, v12, v30, v10
	;; [unrolled: 1-line block ×4, first 2 shown]
	v_mul_lo_u32 v11, s19, v1
	v_mul_lo_u32 v12, s18, v7
	v_mad_u64_u32 v[7:8], null, s18, v1, 0
	v_add_co_ci_u32_e32 v9, vcc_lo, 0, v55, vcc_lo
	v_mad_u64_u32 v[39:40], null, s18, v56, s[20:21]
	v_mul_lo_u32 v64, s19, v56
	v_mad_u64_u32 v[53:54], null, s18, v56, s[22:23]
	v_add3_u32 v32, v15, v32, v14
	v_add3_u32 v46, v15, v46, v14
	v_mul_lo_u32 v1, s19, v13
	v_mul_lo_u32 v14, s18, v9
	v_mad_u64_u32 v[9:10], null, s18, v13, 0
	v_add3_u32 v8, v8, v12, v11
	v_add3_u32 v40, v64, v40, v63
	;; [unrolled: 1-line block ×3, first 2 shown]
	v_add_co_u32 v63, vcc_lo, s22, v5
	v_add_co_ci_u32_e32 v64, vcc_lo, s23, v6, vcc_lo
	v_lshlrev_b64 v[5:6], 1, v[7:8]
	v_add3_u32 v10, v10, v14, v1
	v_add_co_u32 v1, vcc_lo, v24, 5
	v_add_co_ci_u32_e32 v11, vcc_lo, 0, v55, vcc_lo
	s_delay_alu instid0(VALU_DEP_4) | instskip(NEXT) | instid1(VALU_DEP_4)
	v_add_co_u32 v65, vcc_lo, s20, v5
	v_lshlrev_b64 v[7:8], 1, v[9:10]
	v_add_co_ci_u32_e32 v66, vcc_lo, s21, v6, vcc_lo
	v_mul_lo_u32 v12, s19, v1
	v_mul_lo_u32 v11, s18, v11
	v_mad_u64_u32 v[9:10], null, s18, v1, 0
	v_add_co_u32 v67, vcc_lo, s22, v5
	v_add_co_ci_u32_e32 v68, vcc_lo, s23, v6, vcc_lo
	v_add_co_u32 v69, vcc_lo, s20, v7
	v_add_co_ci_u32_e32 v70, vcc_lo, s21, v8, vcc_lo
	v_add_co_u32 v1, vcc_lo, v24, 4
	v_add3_u32 v10, v10, v11, v12
	v_add_co_u32 v71, s3, s22, v7
	v_add_co_ci_u32_e32 v7, vcc_lo, 0, v55, vcc_lo
	v_add_co_u32 v12, vcc_lo, v24, 3
	s_delay_alu instid0(VALU_DEP_4)
	v_lshlrev_b64 v[5:6], 1, v[9:10]
	v_add_co_ci_u32_e32 v9, vcc_lo, 0, v55, vcc_lo
	v_add_co_ci_u32_e64 v72, s3, s23, v8, s3
	v_mul_lo_u32 v11, s19, v1
	v_mul_lo_u32 v13, s18, v7
	v_mad_u64_u32 v[7:8], null, s18, v1, 0
	v_mul_lo_u32 v1, s19, v12
	v_mul_lo_u32 v14, s18, v9
	v_mad_u64_u32 v[9:10], null, s18, v12, 0
	v_add_co_u32 v73, vcc_lo, s20, v5
	v_add_co_ci_u32_e32 v74, vcc_lo, s21, v6, vcc_lo
	v_add3_u32 v8, v8, v13, v11
	v_add_co_u32 v75, vcc_lo, s22, v5
	v_add_co_ci_u32_e32 v76, vcc_lo, s23, v6, vcc_lo
	v_add3_u32 v10, v10, v14, v1
	v_add_co_u32 v1, vcc_lo, v24, 2
	v_lshlrev_b64 v[5:6], 1, v[7:8]
	v_add_co_ci_u32_e32 v11, vcc_lo, 0, v55, vcc_lo
	s_delay_alu instid0(VALU_DEP_4) | instskip(NEXT) | instid1(VALU_DEP_4)
	v_lshlrev_b64 v[7:8], 1, v[9:10]
	v_mul_lo_u32 v12, s19, v1
	v_mad_u64_u32 v[9:10], null, s18, v1, 0
	v_add_co_u32 v77, vcc_lo, s20, v5
	v_mul_lo_u32 v11, s18, v11
	v_add_co_ci_u32_e32 v78, vcc_lo, s21, v6, vcc_lo
	v_add_co_u32 v79, vcc_lo, s22, v5
	v_add_co_ci_u32_e32 v80, vcc_lo, s23, v6, vcc_lo
	v_add_co_u32 v81, vcc_lo, s20, v7
	v_add_co_ci_u32_e32 v82, vcc_lo, s21, v8, vcc_lo
	v_add3_u32 v10, v10, v11, v12
	v_add_co_u32 v83, vcc_lo, s22, v7
	v_add_co_ci_u32_e32 v84, vcc_lo, s23, v8, vcc_lo
	v_add_co_u32 v3, vcc_lo, v3, s18
	s_delay_alu instid0(VALU_DEP_4) | instskip(SKIP_3) | instid1(VALU_DEP_4)
	v_lshlrev_b64 v[5:6], 1, v[9:10]
	v_add_co_ci_u32_e32 v4, vcc_lo, s19, v4, vcc_lo
	v_mad_u64_u32 v[35:36], null, s18, v17, s[20:21]
	v_mul_lo_u32 v21, s19, v17
	v_add_co_u32 v85, vcc_lo, s20, v5
	s_delay_alu instid0(VALU_DEP_4)
	v_lshlrev_b64 v[3:4], 1, v[3:4]
	v_add_co_ci_u32_e32 v86, vcc_lo, s21, v6, vcc_lo
	v_mad_u64_u32 v[37:38], null, s18, v19, s[20:21]
	v_mul_lo_u32 v23, s19, v19
	v_mad_u64_u32 v[49:50], null, s18, v17, s[22:23]
	v_mad_u64_u32 v[51:52], null, s18, v19, s[22:23]
	v_add_co_u32 v87, vcc_lo, s22, v5
	v_add_co_ci_u32_e32 v88, vcc_lo, s23, v6, vcc_lo
	v_add_co_u32 v89, vcc_lo, s20, v3
	v_add_co_ci_u32_e32 v90, vcc_lo, s21, v4, vcc_lo
	v_add_co_u32 v91, vcc_lo, s22, v3
	v_add3_u32 v34, v18, v34, v16
	v_add3_u32 v36, v21, v36, v20
	v_add3_u32 v38, v23, v38, v22
	v_add3_u32 v48, v18, v48, v16
	v_add3_u32 v50, v21, v50, v20
	v_add3_u32 v52, v23, v52, v22
	v_add_co_ci_u32_e32 v92, vcc_lo, s23, v4, vcc_lo
	s_mul_i32 s6, s18, s15
	s_mov_b32 s4, 0
	s_lshl_b64 s[20:21], s[6:7], 1
	s_mov_b64 s[22:23], 7
	s_mov_b64 s[28:29], s[34:35]
.LBB178_53:                             ; =>This Inner Loop Header: Depth=1
	s_add_u32 s6, s34, s22
	s_addc_u32 s7, 0, s23
	v_add_co_u32 v55, vcc_lo, s34, v59
	v_cmp_ge_i64_e64 s3, s[6:7], s[16:17]
	v_add_co_ci_u32_e32 v56, vcc_lo, 0, v60, vcc_lo
	s_delay_alu instid0(VALU_DEP_2)
	s_and_b32 vcc_lo, exec_lo, s3
	s_cbranch_vccz .LBB178_75
; %bb.54:                               ;   in Loop: Header=BB178_53 Depth=1
	s_load_b32 s3, s[26:27], 0xc
	v_mov_b32_e32 v94, 0
	s_waitcnt lgkmcnt(0)
	s_and_b32 s3, s3, 0xffff
	s_delay_alu instid0(SALU_CYCLE_1) | instskip(SKIP_1) | instid1(VALU_DEP_1)
	v_mad_u32_u24 v1, v57, s3, v58
	s_mov_b32 s3, exec_lo
	v_and_b32_e32 v1, 31, v1
	s_delay_alu instid0(VALU_DEP_1)
	v_cmpx_gt_u32_e32 8, v1
	s_cbranch_execz .LBB178_58
; %bb.55:                               ;   in Loop: Header=BB178_53 Depth=1
	v_add_co_u32 v3, vcc_lo, v55, v1
	v_add_co_ci_u32_e32 v4, vcc_lo, 0, v56, vcc_lo
	v_mov_b32_e32 v94, 0
	s_mov_b32 s5, exec_lo
	s_delay_alu instid0(VALU_DEP_2)
	v_cmpx_gt_i64_e64 s[16:17], v[3:4]
	s_cbranch_execz .LBB178_57
; %bb.56:                               ;   in Loop: Header=BB178_53 Depth=1
	v_lshlrev_b64 v[3:4], 2, v[3:4]
	s_delay_alu instid0(VALU_DEP_1) | instskip(NEXT) | instid1(VALU_DEP_2)
	v_add_co_u32 v3, vcc_lo, s12, v3
	v_add_co_ci_u32_e32 v4, vcc_lo, s13, v4, vcc_lo
	global_load_b32 v94, v[3:4], off
.LBB178_57:                             ;   in Loop: Header=BB178_53 Depth=1
	s_or_b32 exec_lo, exec_lo, s5
.LBB178_58:                             ;   in Loop: Header=BB178_53 Depth=1
	s_delay_alu instid0(SALU_CYCLE_1)
	s_or_b32 exec_lo, exec_lo, s3
	s_mov_b32 s11, s4
	s_mov_b32 s5, s4
	;; [unrolled: 1-line block ×7, first 2 shown]
	s_delay_alu instid0(SALU_CYCLE_1) | instskip(SKIP_3) | instid1(VALU_DEP_4)
	v_dual_mov_b32 v16, s11 :: v_dual_mov_b32 v15, s10
	v_dual_mov_b32 v14, s9 :: v_dual_mov_b32 v13, s8
	;; [unrolled: 1-line block ×5, first 2 shown]
	s_delay_alu instid0(VALU_DEP_4) | instskip(NEXT) | instid1(VALU_DEP_4)
	v_dual_mov_b32 v22, v14 :: v_dual_mov_b32 v21, v13
	v_dual_mov_b32 v20, v12 :: v_dual_mov_b32 v19, v11
	s_delay_alu instid0(VALU_DEP_4)
	v_dual_mov_b32 v18, v10 :: v_dual_mov_b32 v17, v9
	s_mov_b32 s3, exec_lo
	v_cmpx_gt_i64_e64 s[16:17], v[55:56]
	s_cbranch_execz .LBB178_60
; %bb.59:                               ;   in Loop: Header=BB178_53 Depth=1
	v_add_co_u32 v3, vcc_lo, v61, v27
	v_add_co_ci_u32_e32 v4, vcc_lo, v62, v28, vcc_lo
	v_add_co_u32 v5, vcc_lo, v63, v27
	v_add_co_ci_u32_e32 v6, vcc_lo, v64, v28, vcc_lo
	v_mov_b32_e32 v8, v2
	global_load_u16 v1, v[3:4], off
	global_load_u16 v9, v[5:6], off
	v_mov_b32_e32 v3, v2
	v_mov_b32_e32 v4, v2
	;; [unrolled: 1-line block ×6, first 2 shown]
	s_waitcnt vmcnt(1)
	v_cvt_f32_f16_e32 v1, v1
	v_dual_mov_b32 v11, v2 :: v_dual_mov_b32 v24, v8
	v_dual_mov_b32 v10, v2 :: v_dual_mov_b32 v23, v7
	s_waitcnt vmcnt(0)
	v_cvt_f32_f16_e32 v9, v9
	v_dual_mov_b32 v12, v2 :: v_dual_mov_b32 v21, v5
	v_dual_mov_b32 v13, v2 :: v_dual_mov_b32 v20, v4
	;; [unrolled: 1-line block ×4, first 2 shown]
	v_mov_b32_e32 v22, v6
	v_mov_b32_e32 v18, v2
.LBB178_60:                             ;   in Loop: Header=BB178_53 Depth=1
	s_or_b32 exec_lo, exec_lo, s3
	v_add_co_u32 v3, vcc_lo, v55, 1
	v_add_co_ci_u32_e32 v4, vcc_lo, 0, v56, vcc_lo
	s_mov_b32 s3, exec_lo
	s_delay_alu instid0(VALU_DEP_1)
	v_cmpx_gt_i64_e64 s[16:17], v[3:4]
	s_cbranch_execz .LBB178_62
; %bb.61:                               ;   in Loop: Header=BB178_53 Depth=1
	v_add_co_u32 v3, vcc_lo, v89, v27
	v_add_co_ci_u32_e32 v4, vcc_lo, v90, v28, vcc_lo
	v_add_co_u32 v5, vcc_lo, v91, v27
	v_add_co_ci_u32_e32 v6, vcc_lo, v92, v28, vcc_lo
	global_load_u16 v1, v[3:4], off
	global_load_u16 v3, v[5:6], off
	s_waitcnt vmcnt(1)
	v_cvt_f32_f16_e32 v18, v1
	s_waitcnt vmcnt(0)
	v_cvt_f32_f16_e32 v10, v3
.LBB178_62:                             ;   in Loop: Header=BB178_53 Depth=1
	s_or_b32 exec_lo, exec_lo, s3
	v_add_co_u32 v3, vcc_lo, v55, 2
	v_add_co_ci_u32_e32 v4, vcc_lo, 0, v56, vcc_lo
	s_mov_b32 s3, exec_lo
	s_delay_alu instid0(VALU_DEP_1)
	v_cmpx_gt_i64_e64 s[16:17], v[3:4]
	s_cbranch_execz .LBB178_64
; %bb.63:                               ;   in Loop: Header=BB178_53 Depth=1
	v_add_co_u32 v3, vcc_lo, v85, v27
	v_add_co_ci_u32_e32 v4, vcc_lo, v86, v28, vcc_lo
	v_add_co_u32 v5, vcc_lo, v87, v27
	v_add_co_ci_u32_e32 v6, vcc_lo, v88, v28, vcc_lo
	global_load_u16 v1, v[3:4], off
	global_load_u16 v3, v[5:6], off
	s_waitcnt vmcnt(1)
	v_cvt_f32_f16_e32 v19, v1
	s_waitcnt vmcnt(0)
	v_cvt_f32_f16_e32 v11, v3
.LBB178_64:                             ;   in Loop: Header=BB178_53 Depth=1
	;; [unrolled: 19-line block ×7, first 2 shown]
	s_or_b32 exec_lo, exec_lo, s3
	s_waitcnt vmcnt(0)
	ds_bpermute_b32 v1, v2, v94
	ds_bpermute_b32 v4, v2, v94 offset:4
	ds_bpermute_b32 v5, v2, v94 offset:8
	v_mul_f32_e32 v3, v9, v17
	ds_bpermute_b32 v6, v2, v94 offset:12
	v_mul_f32_e32 v7, v10, v18
	ds_bpermute_b32 v8, v2, v94 offset:16
	ds_bpermute_b32 v9, v2, v94 offset:20
	s_waitcnt lgkmcnt(5)
	v_fma_f32 v3, v3, v1, v93
	v_mul_f32_e32 v1, v11, v19
	s_waitcnt lgkmcnt(4)
	s_delay_alu instid0(VALU_DEP_2)
	v_fmac_f32_e32 v3, v7, v4
	v_mul_f32_e32 v4, v12, v20
	ds_bpermute_b32 v7, v2, v94 offset:24
	s_waitcnt lgkmcnt(4)
	v_fmac_f32_e32 v3, v1, v5
	v_mul_f32_e32 v1, v13, v21
	v_mul_f32_e32 v5, v14, v22
	s_waitcnt lgkmcnt(3)
	s_delay_alu instid0(VALU_DEP_3)
	v_fmac_f32_e32 v3, v4, v6
	ds_bpermute_b32 v4, v2, v94 offset:28
	s_waitcnt lgkmcnt(3)
	v_fmac_f32_e32 v3, v1, v8
	v_mul_f32_e32 v1, v15, v23
	s_waitcnt lgkmcnt(2)
	s_delay_alu instid0(VALU_DEP_2) | instskip(SKIP_1) | instid1(VALU_DEP_1)
	v_fmac_f32_e32 v3, v5, v9
	s_waitcnt lgkmcnt(1)
	v_fmac_f32_e32 v3, v1, v7
	v_mul_f32_e32 v1, v16, v24
	s_waitcnt lgkmcnt(0)
	s_delay_alu instid0(VALU_DEP_1)
	v_fmac_f32_e32 v3, v1, v4
	s_branch .LBB178_81
.LBB178_75:                             ;   in Loop: Header=BB178_53 Depth=1
                                        ; implicit-def: $vgpr3
	s_cbranch_execz .LBB178_81
; %bb.76:                               ;   in Loop: Header=BB178_53 Depth=1
	s_load_b32 s3, s[26:27], 0x0
	s_waitcnt lgkmcnt(0)
	s_cmp_lt_u32 s14, s3
	s_cselect_b32 s3, 12, 18
	s_delay_alu instid0(SALU_CYCLE_1)
	s_add_u32 s6, s26, s3
	s_addc_u32 s7, s27, 0
	s_mov_b32 s3, exec_lo
	global_load_u16 v1, v2, s[6:7]
	s_waitcnt vmcnt(0)
	v_mad_u32_u24 v1, v57, v1, v58
	s_delay_alu instid0(VALU_DEP_1) | instskip(SKIP_1) | instid1(VALU_DEP_2)
	v_and_b32_e32 v3, 31, v1
	v_mov_b32_e32 v1, 0
	v_cmpx_gt_u32_e32 8, v3
	s_cbranch_execz .LBB178_80
; %bb.77:                               ;   in Loop: Header=BB178_53 Depth=1
	v_add_co_u32 v3, vcc_lo, v55, v3
	v_add_co_ci_u32_e32 v4, vcc_lo, 0, v56, vcc_lo
	v_mov_b32_e32 v1, 0
	s_mov_b32 s5, exec_lo
	s_delay_alu instid0(VALU_DEP_2)
	v_cmpx_gt_i64_e64 s[16:17], v[3:4]
	s_cbranch_execz .LBB178_79
; %bb.78:                               ;   in Loop: Header=BB178_53 Depth=1
	v_lshlrev_b64 v[3:4], 2, v[3:4]
	s_delay_alu instid0(VALU_DEP_1) | instskip(NEXT) | instid1(VALU_DEP_2)
	v_add_co_u32 v3, vcc_lo, s12, v3
	v_add_co_ci_u32_e32 v4, vcc_lo, s13, v4, vcc_lo
	global_load_b32 v1, v[3:4], off
.LBB178_79:                             ;   in Loop: Header=BB178_53 Depth=1
	s_or_b32 exec_lo, exec_lo, s5
.LBB178_80:                             ;   in Loop: Header=BB178_53 Depth=1
	s_delay_alu instid0(SALU_CYCLE_1)
	s_or_b32 exec_lo, exec_lo, s3
	v_add_co_u32 v3, vcc_lo, v61, v27
	v_add_co_ci_u32_e32 v4, vcc_lo, v62, v28, vcc_lo
	v_add_co_u32 v5, vcc_lo, v63, v27
	v_add_co_ci_u32_e32 v6, vcc_lo, v64, v28, vcc_lo
	;; [unrolled: 2-line block ×5, first 2 shown]
	global_load_u16 v13, v[3:4], off
	global_load_u16 v14, v[5:6], off
	;; [unrolled: 1-line block ×5, first 2 shown]
	v_add_co_u32 v3, vcc_lo, v43, v27
	v_add_co_ci_u32_e32 v4, vcc_lo, v44, v28, vcc_lo
	v_add_co_u32 v5, vcc_lo, v31, v27
	v_add_co_ci_u32_e32 v6, vcc_lo, v32, v28, vcc_lo
	;; [unrolled: 2-line block ×5, first 2 shown]
	global_load_u16 v18, v[3:4], off
	global_load_u16 v19, v[5:6], off
	;; [unrolled: 1-line block ×5, first 2 shown]
	v_add_co_u32 v3, vcc_lo, v35, v27
	v_add_co_ci_u32_e32 v4, vcc_lo, v36, v28, vcc_lo
	v_add_co_u32 v5, vcc_lo, v49, v27
	v_add_co_ci_u32_e32 v6, vcc_lo, v50, v28, vcc_lo
	v_add_co_u32 v7, vcc_lo, v37, v27
	v_add_co_ci_u32_e32 v8, vcc_lo, v38, v28, vcc_lo
	v_add_co_u32 v9, vcc_lo, v51, v27
	v_add_co_ci_u32_e32 v10, vcc_lo, v52, v28, vcc_lo
	global_load_u16 v12, v[3:4], off
	global_load_u16 v22, v[5:6], off
	;; [unrolled: 1-line block ×4, first 2 shown]
	v_add_co_u32 v3, vcc_lo, v39, v27
	v_add_co_ci_u32_e32 v4, vcc_lo, v40, v28, vcc_lo
	v_add_co_u32 v5, vcc_lo, v53, v27
	v_add_co_ci_u32_e32 v6, vcc_lo, v54, v28, vcc_lo
	global_load_u16 v3, v[3:4], off
	global_load_u16 v4, v[5:6], off
	s_waitcnt vmcnt(16)
	ds_bpermute_b32 v5, v2, v1
	ds_bpermute_b32 v6, v2, v1 offset:4
	ds_bpermute_b32 v9, v2, v1 offset:8
	s_waitcnt vmcnt(15)
	v_cvt_f32_f16_e32 v10, v13
	s_waitcnt vmcnt(14)
	v_cvt_f32_f16_e32 v13, v14
	ds_bpermute_b32 v14, v2, v1 offset:12
	s_waitcnt vmcnt(13)
	v_cvt_f32_f16_e32 v15, v15
	s_waitcnt vmcnt(12)
	v_cvt_f32_f16_e32 v16, v16
	;; [unrolled: 2-line block ×3, first 2 shown]
	v_mul_f32_e32 v10, v10, v13
	ds_bpermute_b32 v13, v2, v1 offset:16
	v_mul_f32_e32 v15, v15, v16
	s_waitcnt lgkmcnt(4)
	v_fmac_f32_e32 v93, v10, v5
	ds_bpermute_b32 v5, v2, v1 offset:20
	s_waitcnt lgkmcnt(4)
	v_fmac_f32_e32 v93, v15, v6
	ds_bpermute_b32 v6, v2, v1 offset:24
	ds_bpermute_b32 v1, v2, v1 offset:28
	s_waitcnt vmcnt(10)
	v_cvt_f32_f16_e32 v18, v18
	s_waitcnt vmcnt(9)
	v_cvt_f32_f16_e32 v10, v19
	;; [unrolled: 2-line block ×5, first 2 shown]
	v_dual_mul_f32 v17, v17, v18 :: v_dual_mul_f32 v10, v10, v16
	s_delay_alu instid0(VALU_DEP_2) | instskip(SKIP_1) | instid1(VALU_DEP_2)
	v_mul_f32_e32 v11, v15, v11
	s_waitcnt lgkmcnt(5)
	v_fmac_f32_e32 v93, v17, v9
	s_waitcnt lgkmcnt(4)
	s_delay_alu instid0(VALU_DEP_1)
	v_fmac_f32_e32 v93, v10, v14
	s_waitcnt vmcnt(5)
	v_cvt_f32_f16_e32 v9, v12
	s_waitcnt vmcnt(4)
	v_cvt_f32_f16_e32 v12, v22
	;; [unrolled: 2-line block ×4, first 2 shown]
	s_waitcnt lgkmcnt(3)
	v_fmac_f32_e32 v93, v11, v13
	v_mul_f32_e32 v9, v9, v12
	s_delay_alu instid0(VALU_DEP_3) | instskip(SKIP_1) | instid1(VALU_DEP_2)
	v_mul_f32_e32 v7, v7, v8
	s_waitcnt lgkmcnt(2)
	v_fmac_f32_e32 v93, v9, v5
	s_waitcnt vmcnt(1)
	v_cvt_f32_f16_e32 v3, v3
	s_waitcnt vmcnt(0)
	v_cvt_f32_f16_e32 v4, v4
	s_waitcnt lgkmcnt(1)
	v_fmac_f32_e32 v93, v7, v6
	s_delay_alu instid0(VALU_DEP_2) | instskip(SKIP_1) | instid1(VALU_DEP_1)
	v_mul_f32_e32 v3, v3, v4
	s_waitcnt lgkmcnt(0)
	v_fmac_f32_e32 v93, v3, v1
	s_delay_alu instid0(VALU_DEP_1)
	v_mov_b32_e32 v3, v93
.LBB178_81:                             ;   in Loop: Header=BB178_53 Depth=1
	v_add_co_u32 v59, vcc_lo, v59, s15
	v_add_co_ci_u32_e32 v60, vcc_lo, 0, v60, vcc_lo
	v_add_co_u32 v25, vcc_lo, v25, s20
	v_add_co_ci_u32_e32 v26, vcc_lo, s21, v26, vcc_lo
	;; [unrolled: 2-line block ×28, first 2 shown]
	v_add_co_u32 v87, vcc_lo, v87, s20
	s_add_u32 s28, s28, s15
	v_add_co_ci_u32_e32 v88, vcc_lo, s21, v88, vcc_lo
	s_addc_u32 s29, s29, 0
	v_add_co_u32 v89, vcc_lo, v89, s20
	v_add_co_ci_u32_e32 v90, vcc_lo, s21, v90, vcc_lo
	v_cmp_ge_i64_e64 s3, s[28:29], s[16:17]
	v_add_co_u32 v91, vcc_lo, v91, s20
	v_add_co_ci_u32_e32 v92, vcc_lo, s21, v92, vcc_lo
	s_add_u32 s22, s22, s15
	s_addc_u32 s23, s23, 0
	s_delay_alu instid0(VALU_DEP_3)
	s_and_b32 vcc_lo, exec_lo, s3
	s_cbranch_vccnz .LBB178_83
; %bb.82:                               ;   in Loop: Header=BB178_53 Depth=1
	v_mov_b32_e32 v93, v3
	s_branch .LBB178_53
.LBB178_83:
	s_mov_b32 s15, 0
	s_delay_alu instid0(SALU_CYCLE_1) | instskip(NEXT) | instid1(SALU_CYCLE_1)
	s_lshl_b64 s[4:5], s[14:15], 5
	v_dual_mov_b32 v2, s5 :: v_dual_and_b32 v1, 0x3ff, v0
	s_waitcnt lgkmcnt(0)
	s_cmp_lg_u64 s[24:25], 0
	s_cselect_b32 s3, -1, 0
	s_delay_alu instid0(VALU_DEP_1) | instskip(NEXT) | instid1(VALU_DEP_1)
	v_or_b32_e32 v1, s4, v1
	v_cmp_gt_i64_e32 vcc_lo, s[18:19], v[1:2]
	s_and_b32 s3, vcc_lo, s3
	s_delay_alu instid0(SALU_CYCLE_1)
	s_and_saveexec_b32 s4, s3
	s_cbranch_execz .LBB178_85
; %bb.84:
	s_load_b32 s0, s[0:1], 0x4c
	v_bfe_u32 v4, v0, 10, 10
	v_mov_b32_e32 v5, 0
	v_cvt_f16_f32_e32 v3, v3
	s_waitcnt lgkmcnt(0)
	s_lshr_b32 s0, s0, 16
	s_delay_alu instid0(VALU_DEP_2) | instid1(SALU_CYCLE_1)
	v_mad_u64_u32 v[6:7], null, s0, s2, v[4:5]
	s_delay_alu instid0(VALU_DEP_1) | instskip(NEXT) | instid1(VALU_DEP_2)
	v_mul_lo_u32 v0, v7, s18
	v_mul_lo_u32 v7, v6, s19
	v_mad_u64_u32 v[4:5], null, v6, s18, 0
	s_delay_alu instid0(VALU_DEP_1) | instskip(SKIP_1) | instid1(VALU_DEP_2)
	v_add3_u32 v5, v5, v7, v0
	v_lshlrev_b64 v[0:1], 1, v[1:2]
	v_lshlrev_b64 v[4:5], 1, v[4:5]
	s_delay_alu instid0(VALU_DEP_1) | instskip(NEXT) | instid1(VALU_DEP_2)
	v_add_co_u32 v2, vcc_lo, s24, v4
	v_add_co_ci_u32_e32 v4, vcc_lo, s25, v5, vcc_lo
	s_delay_alu instid0(VALU_DEP_2) | instskip(NEXT) | instid1(VALU_DEP_2)
	v_add_co_u32 v0, vcc_lo, v2, v0
	v_add_co_ci_u32_e32 v1, vcc_lo, v4, v1, vcc_lo
	global_store_b16 v[0:1], v3, off
.LBB178_85:
	s_nop 0
	s_sendmsg sendmsg(MSG_DEALLOC_VGPRS)
	s_endpgm
	.section	.rodata,"a",@progbits
	.p2align	6, 0x0
	.amdhsa_kernel _ZN2at6native12_GLOBAL__N_135GammaBetaBackwardCUDAKernelTemplateIN3c104HalfEfLj32ELj1ELj8ELb1ELb0ELb1EEEvllPKT_S7_PKT0_SA_PS5_SB_
		.amdhsa_group_segment_fixed_size 0
		.amdhsa_private_segment_fixed_size 0
		.amdhsa_kernarg_size 320
		.amdhsa_user_sgpr_count 14
		.amdhsa_user_sgpr_dispatch_ptr 0
		.amdhsa_user_sgpr_queue_ptr 0
		.amdhsa_user_sgpr_kernarg_segment_ptr 1
		.amdhsa_user_sgpr_dispatch_id 0
		.amdhsa_user_sgpr_private_segment_size 0
		.amdhsa_wavefront_size32 1
		.amdhsa_uses_dynamic_stack 0
		.amdhsa_enable_private_segment 0
		.amdhsa_system_sgpr_workgroup_id_x 1
		.amdhsa_system_sgpr_workgroup_id_y 1
		.amdhsa_system_sgpr_workgroup_id_z 0
		.amdhsa_system_sgpr_workgroup_info 0
		.amdhsa_system_vgpr_workitem_id 1
		.amdhsa_next_free_vgpr 95
		.amdhsa_next_free_sgpr 37
		.amdhsa_reserve_vcc 1
		.amdhsa_float_round_mode_32 0
		.amdhsa_float_round_mode_16_64 0
		.amdhsa_float_denorm_mode_32 3
		.amdhsa_float_denorm_mode_16_64 3
		.amdhsa_dx10_clamp 1
		.amdhsa_ieee_mode 1
		.amdhsa_fp16_overflow 0
		.amdhsa_workgroup_processor_mode 1
		.amdhsa_memory_ordered 1
		.amdhsa_forward_progress 0
		.amdhsa_shared_vgpr_count 0
		.amdhsa_exception_fp_ieee_invalid_op 0
		.amdhsa_exception_fp_denorm_src 0
		.amdhsa_exception_fp_ieee_div_zero 0
		.amdhsa_exception_fp_ieee_overflow 0
		.amdhsa_exception_fp_ieee_underflow 0
		.amdhsa_exception_fp_ieee_inexact 0
		.amdhsa_exception_int_div_zero 0
	.end_amdhsa_kernel
	.section	.text._ZN2at6native12_GLOBAL__N_135GammaBetaBackwardCUDAKernelTemplateIN3c104HalfEfLj32ELj1ELj8ELb1ELb0ELb1EEEvllPKT_S7_PKT0_SA_PS5_SB_,"axG",@progbits,_ZN2at6native12_GLOBAL__N_135GammaBetaBackwardCUDAKernelTemplateIN3c104HalfEfLj32ELj1ELj8ELb1ELb0ELb1EEEvllPKT_S7_PKT0_SA_PS5_SB_,comdat
.Lfunc_end178:
	.size	_ZN2at6native12_GLOBAL__N_135GammaBetaBackwardCUDAKernelTemplateIN3c104HalfEfLj32ELj1ELj8ELb1ELb0ELb1EEEvllPKT_S7_PKT0_SA_PS5_SB_, .Lfunc_end178-_ZN2at6native12_GLOBAL__N_135GammaBetaBackwardCUDAKernelTemplateIN3c104HalfEfLj32ELj1ELj8ELb1ELb0ELb1EEEvllPKT_S7_PKT0_SA_PS5_SB_
                                        ; -- End function
	.section	.AMDGPU.csdata,"",@progbits
; Kernel info:
; codeLenInByte = 7420
; NumSgprs: 39
; NumVgprs: 95
; ScratchSize: 0
; MemoryBound: 0
; FloatMode: 240
; IeeeMode: 1
; LDSByteSize: 0 bytes/workgroup (compile time only)
; SGPRBlocks: 4
; VGPRBlocks: 11
; NumSGPRsForWavesPerEU: 39
; NumVGPRsForWavesPerEU: 95
; Occupancy: 16
; WaveLimiterHint : 0
; COMPUTE_PGM_RSRC2:SCRATCH_EN: 0
; COMPUTE_PGM_RSRC2:USER_SGPR: 14
; COMPUTE_PGM_RSRC2:TRAP_HANDLER: 0
; COMPUTE_PGM_RSRC2:TGID_X_EN: 1
; COMPUTE_PGM_RSRC2:TGID_Y_EN: 1
; COMPUTE_PGM_RSRC2:TGID_Z_EN: 0
; COMPUTE_PGM_RSRC2:TIDIG_COMP_CNT: 1
	.section	.text._ZN2at6native12_GLOBAL__N_135GammaBetaBackwardCUDAKernelTemplateIN3c104HalfEfLj32ELj8ELj64ELb0ELb1ELb1EEEvllPKT_S7_PKT0_SA_PS5_SB_,"axG",@progbits,_ZN2at6native12_GLOBAL__N_135GammaBetaBackwardCUDAKernelTemplateIN3c104HalfEfLj32ELj8ELj64ELb0ELb1ELb1EEEvllPKT_S7_PKT0_SA_PS5_SB_,comdat
	.globl	_ZN2at6native12_GLOBAL__N_135GammaBetaBackwardCUDAKernelTemplateIN3c104HalfEfLj32ELj8ELj64ELb0ELb1ELb1EEEvllPKT_S7_PKT0_SA_PS5_SB_ ; -- Begin function _ZN2at6native12_GLOBAL__N_135GammaBetaBackwardCUDAKernelTemplateIN3c104HalfEfLj32ELj8ELj64ELb0ELb1ELb1EEEvllPKT_S7_PKT0_SA_PS5_SB_
	.p2align	8
	.type	_ZN2at6native12_GLOBAL__N_135GammaBetaBackwardCUDAKernelTemplateIN3c104HalfEfLj32ELj8ELj64ELb0ELb1ELb1EEEvllPKT_S7_PKT0_SA_PS5_SB_,@function
_ZN2at6native12_GLOBAL__N_135GammaBetaBackwardCUDAKernelTemplateIN3c104HalfEfLj32ELj8ELj64ELb0ELb1ELb1EEEvllPKT_S7_PKT0_SA_PS5_SB_: ; @_ZN2at6native12_GLOBAL__N_135GammaBetaBackwardCUDAKernelTemplateIN3c104HalfEfLj32ELj8ELj64ELb0ELb1ELb1EEEvllPKT_S7_PKT0_SA_PS5_SB_
; %bb.0:
	s_load_b128 s[4:7], s[0:1], 0x0
	s_mov_b32 s13, 0
	s_lshl_b32 s12, s15, 6
	v_bfe_u32 v7, v0, 10, 10
	s_waitcnt lgkmcnt(0)
	v_cmp_lt_i64_e64 s2, s[12:13], s[4:5]
	s_delay_alu instid0(VALU_DEP_1)
	s_and_b32 vcc_lo, exec_lo, s2
	s_cbranch_vccnz .LBB179_2
; %bb.1:
	v_bfe_u32 v1, v0, 10, 10
	s_mov_b32 s8, 0
	s_mov_b32 s9, s13
	s_branch .LBB179_3
.LBB179_2:
	s_mov_b32 s9, -1
                                        ; implicit-def: $sgpr8
                                        ; implicit-def: $vgpr1
.LBB179_3:
	s_load_b64 s[2:3], s[0:1], 0x30
	v_and_b32_e32 v6, 0x3ff, v0
	v_mov_b32_e32 v0, s8
	s_and_not1_b32 vcc_lo, exec_lo, s9
	s_cbranch_vccnz .LBB179_11
; %bb.4:
	s_clause 0x3
	s_load_b32 s15, s[0:1], 0x4c
	s_load_b32 s16, s[0:1], 0x44
	s_load_b128 s[8:11], s[0:1], 0x10
	s_load_b64 s[18:19], s[0:1], 0x28
	v_dual_mov_b32 v9, 4 :: v_dual_lshlrev_b32 v2, 3, v7
	v_dual_mov_b32 v8, 8 :: v_dual_mov_b32 v1, 0
	v_lshl_add_u32 v0, s14, 5, v6
	s_delay_alu instid0(VALU_DEP_3) | instskip(NEXT) | instid1(VALU_DEP_1)
	v_add_co_u32 v2, s1, v2, s12
	v_add_co_ci_u32_e64 v3, null, 0, 0, s1
	s_delay_alu instid0(VALU_DEP_3) | instskip(NEXT) | instid1(VALU_DEP_3)
	v_lshlrev_b64 v[15:16], 1, v[0:1]
	v_mul_lo_u32 v17, s7, v2
	v_dual_mov_b32 v10, 12 :: v_dual_mov_b32 v11, 16
	s_delay_alu instid0(VALU_DEP_4)
	v_mul_lo_u32 v18, s6, v3
	v_dual_mov_b32 v13, 24 :: v_dual_mov_b32 v14, 28
	s_waitcnt lgkmcnt(0)
	s_and_b32 s0, s15, 0xffff
	s_lshl_b32 s16, s16, 6
	v_mad_u32_u24 v4, v7, s0, v6
	v_mov_b32_e32 v12, 20
	s_mul_i32 s1, s7, s16
	s_mul_hi_u32 s15, s6, s16
	s_delay_alu instid0(VALU_DEP_2) | instskip(SKIP_3) | instid1(VALU_DEP_2)
	v_dual_mov_b32 v0, 0 :: v_dual_and_b32 v21, 31, v4
	v_mad_u64_u32 v[4:5], null, s6, v2, 0
	s_mov_b32 s17, 0
	s_add_i32 s21, s15, s1
	v_add_co_u32 v2, vcc_lo, v2, v21
	v_add_co_ci_u32_e32 v3, vcc_lo, 0, v3, vcc_lo
	s_delay_alu instid0(VALU_DEP_3) | instskip(SKIP_2) | instid1(VALU_DEP_3)
	v_add3_u32 v5, v5, v18, v17
	v_cmp_gt_u32_e64 s0, 8, v21
	s_mul_i32 s20, s6, s16
	v_lshlrev_b64 v[17:18], 2, v[2:3]
	s_lshl_b64 s[20:21], s[20:21], 1
	v_lshlrev_b64 v[19:20], 1, v[4:5]
	s_lshl_b64 s[6:7], s[6:7], 1
	s_delay_alu instid0(VALU_DEP_2) | instskip(NEXT) | instid1(VALU_DEP_3)
	v_add_co_u32 v4, vcc_lo, s18, v17
	v_add_co_ci_u32_e32 v5, vcc_lo, s19, v18, vcc_lo
	s_delay_alu instid0(VALU_DEP_3) | instskip(NEXT) | instid1(VALU_DEP_4)
	v_add_co_u32 v15, vcc_lo, v19, v15
	v_add_co_ci_u32_e32 v16, vcc_lo, v20, v16, vcc_lo
	s_lshl_b64 s[18:19], s[16:17], 2
	s_branch .LBB179_7
.LBB179_5:                              ;   in Loop: Header=BB179_7 Depth=1
	s_or_b32 exec_lo, exec_lo, s15
.LBB179_6:                              ;   in Loop: Header=BB179_7 Depth=1
	s_delay_alu instid0(SALU_CYCLE_1) | instskip(SKIP_4) | instid1(VALU_DEP_4)
	s_or_b32 exec_lo, exec_lo, s1
	v_add_co_u32 v18, vcc_lo, s8, v15
	v_add_co_ci_u32_e32 v19, vcc_lo, s9, v16, vcc_lo
	v_add_co_u32 v20, vcc_lo, s10, v15
	v_add_co_ci_u32_e32 v21, vcc_lo, s11, v16, vcc_lo
	v_add_co_u32 v22, vcc_lo, v18, s6
	s_delay_alu instid0(VALU_DEP_4)
	v_add_co_ci_u32_e32 v23, vcc_lo, s7, v19, vcc_lo
	global_load_u16 v28, v[18:19], off
	global_load_u16 v29, v[20:21], off
	global_load_u16 v30, v[22:23], off
	v_add_co_u32 v18, vcc_lo, v20, s6
	v_add_co_ci_u32_e32 v19, vcc_lo, s7, v21, vcc_lo
	v_add_co_u32 v20, vcc_lo, v22, s6
	v_add_co_ci_u32_e32 v21, vcc_lo, s7, v23, vcc_lo
	s_delay_alu instid0(VALU_DEP_4) | instskip(NEXT) | instid1(VALU_DEP_4)
	v_add_co_u32 v22, vcc_lo, v18, s6
	v_add_co_ci_u32_e32 v23, vcc_lo, s7, v19, vcc_lo
	s_delay_alu instid0(VALU_DEP_4) | instskip(NEXT) | instid1(VALU_DEP_4)
	v_add_co_u32 v24, vcc_lo, v20, s6
	v_add_co_ci_u32_e32 v25, vcc_lo, s7, v21, vcc_lo
	s_delay_alu instid0(VALU_DEP_4) | instskip(NEXT) | instid1(VALU_DEP_4)
	v_add_co_u32 v26, vcc_lo, v22, s6
	v_add_co_ci_u32_e32 v27, vcc_lo, s7, v23, vcc_lo
	global_load_u16 v31, v[18:19], off
	global_load_u16 v32, v[20:21], off
	global_load_u16 v33, v[22:23], off
	global_load_u16 v34, v[24:25], off
	global_load_u16 v35, v[26:27], off
	v_add_co_u32 v18, vcc_lo, v24, s6
	v_add_co_ci_u32_e32 v19, vcc_lo, s7, v25, vcc_lo
	v_add_co_u32 v20, vcc_lo, v26, s6
	v_add_co_ci_u32_e32 v21, vcc_lo, s7, v27, vcc_lo
	s_delay_alu instid0(VALU_DEP_4) | instskip(NEXT) | instid1(VALU_DEP_4)
	v_add_co_u32 v22, vcc_lo, v18, s6
	v_add_co_ci_u32_e32 v23, vcc_lo, s7, v19, vcc_lo
	s_delay_alu instid0(VALU_DEP_4) | instskip(NEXT) | instid1(VALU_DEP_4)
	;; [unrolled: 3-line block ×3, first 2 shown]
	v_add_co_u32 v26, vcc_lo, v22, s6
	v_add_co_ci_u32_e32 v27, vcc_lo, s7, v23, vcc_lo
	global_load_u16 v36, v[18:19], off
	global_load_u16 v37, v[20:21], off
	;; [unrolled: 1-line block ×5, first 2 shown]
	v_add_co_u32 v18, vcc_lo, v24, s6
	v_add_co_ci_u32_e32 v19, vcc_lo, s7, v25, vcc_lo
	v_add_co_u32 v20, vcc_lo, v26, s6
	v_add_co_ci_u32_e32 v21, vcc_lo, s7, v27, vcc_lo
	s_delay_alu instid0(VALU_DEP_4) | instskip(NEXT) | instid1(VALU_DEP_4)
	v_add_co_u32 v22, vcc_lo, v18, s6
	v_add_co_ci_u32_e32 v23, vcc_lo, s7, v19, vcc_lo
	global_load_u16 v18, v[18:19], off
	global_load_u16 v19, v[20:21], off
	;; [unrolled: 1-line block ×3, first 2 shown]
	s_waitcnt vmcnt(16)
	ds_bpermute_b32 v21, v1, v17
	ds_bpermute_b32 v22, v9, v17
	;; [unrolled: 1-line block ×4, first 2 shown]
	v_add_co_u32 v4, vcc_lo, v4, s18
	s_add_u32 s12, s12, s16
	v_add_co_ci_u32_e32 v5, vcc_lo, s19, v5, vcc_lo
	s_addc_u32 s13, s13, 0
	v_add_co_u32 v2, vcc_lo, v2, s16
	v_add_co_ci_u32_e32 v3, vcc_lo, 0, v3, vcc_lo
	v_cmp_lt_i64_e64 s1, s[12:13], s[4:5]
	v_add_co_u32 v15, vcc_lo, v15, s20
	v_add_co_ci_u32_e32 v16, vcc_lo, s21, v16, vcc_lo
	s_delay_alu instid0(VALU_DEP_3)
	s_and_b32 vcc_lo, exec_lo, s1
	s_waitcnt vmcnt(15)
	v_cvt_f32_f16_e32 v23, v28
	s_waitcnt vmcnt(14)
	v_cvt_f32_f16_e32 v24, v29
	s_waitcnt vmcnt(13)
	v_cvt_f32_f16_e32 v26, v30
	s_delay_alu instid0(VALU_DEP_2)
	v_mul_f32_e32 v23, v23, v24
	s_waitcnt vmcnt(12)
	v_cvt_f32_f16_e32 v24, v31
	s_waitcnt vmcnt(11)
	v_cvt_f32_f16_e32 v28, v32
	s_waitcnt lgkmcnt(3)
	v_fmac_f32_e32 v0, v23, v21
	s_waitcnt vmcnt(10)
	v_cvt_f32_f16_e32 v23, v33
	s_waitcnt vmcnt(9)
	v_cvt_f32_f16_e32 v29, v34
	v_mul_f32_e32 v21, v26, v24
	ds_bpermute_b32 v24, v11, v17
	ds_bpermute_b32 v26, v12, v17
	s_waitcnt lgkmcnt(4)
	v_fmac_f32_e32 v0, v21, v22
	s_waitcnt vmcnt(8)
	v_cvt_f32_f16_e32 v22, v35
	s_waitcnt vmcnt(2)
	v_cvt_f32_f16_e32 v18, v18
	v_mul_f32_e32 v21, v28, v23
	ds_bpermute_b32 v23, v13, v17
	v_cvt_f32_f16_e32 v28, v36
	ds_bpermute_b32 v17, v14, v17
	s_waitcnt vmcnt(1)
	v_cvt_f32_f16_e32 v19, v19
	s_waitcnt lgkmcnt(5)
	v_fmac_f32_e32 v0, v21, v25
	v_mul_f32_e32 v21, v29, v22
	v_cvt_f32_f16_e32 v22, v37
	v_cvt_f32_f16_e32 v25, v38
	;; [unrolled: 1-line block ×3, first 2 shown]
	s_waitcnt vmcnt(0)
	v_cvt_f32_f16_e32 v20, v20
	s_waitcnt lgkmcnt(4)
	v_dual_fmac_f32 v0, v21, v27 :: v_dual_mul_f32 v21, v28, v22
	v_cvt_f32_f16_e32 v22, v40
	s_waitcnt lgkmcnt(3)
	s_delay_alu instid0(VALU_DEP_2) | instskip(NEXT) | instid1(VALU_DEP_2)
	v_fmac_f32_e32 v0, v21, v24
	v_dual_mul_f32 v21, v25, v29 :: v_dual_mul_f32 v18, v22, v18
	s_waitcnt lgkmcnt(2)
	s_delay_alu instid0(VALU_DEP_1) | instskip(SKIP_1) | instid1(VALU_DEP_1)
	v_fmac_f32_e32 v0, v21, v26
	s_waitcnt lgkmcnt(1)
	v_fmac_f32_e32 v0, v18, v23
	v_mul_f32_e32 v18, v19, v20
	s_waitcnt lgkmcnt(0)
	s_delay_alu instid0(VALU_DEP_1)
	v_fmac_f32_e32 v0, v18, v17
	s_cbranch_vccz .LBB179_10
.LBB179_7:                              ; =>This Inner Loop Header: Depth=1
	v_mov_b32_e32 v17, 0
	s_and_saveexec_b32 s1, s0
	s_cbranch_execz .LBB179_6
; %bb.8:                                ;   in Loop: Header=BB179_7 Depth=1
	v_mov_b32_e32 v17, 0
	s_mov_b32 s15, exec_lo
	v_cmpx_gt_i64_e64 s[4:5], v[2:3]
	s_cbranch_execz .LBB179_5
; %bb.9:                                ;   in Loop: Header=BB179_7 Depth=1
	global_load_b32 v17, v[4:5], off
	s_branch .LBB179_5
.LBB179_10:
	v_mov_b32_e32 v1, v7
.LBB179_11:
	s_delay_alu instid0(VALU_DEP_2) | instskip(NEXT) | instid1(VALU_DEP_2)
	v_lshrrev_b32_e32 v3, 5, v6
	v_mad_u32_u24 v2, v1, 33, v6
	s_mov_b32 s15, 0
	s_mov_b32 s0, exec_lo
	s_delay_alu instid0(VALU_DEP_2) | instskip(NEXT) | instid1(VALU_DEP_2)
	v_dual_mov_b32 v4, 0 :: v_dual_add_nc_u32 v7, v3, v1
	v_lshl_add_u32 v2, v2, 2, 0
	ds_store_b32 v2, v0
	ds_store_b32 v2, v4 offset:1056
	s_waitcnt lgkmcnt(0)
	s_barrier
	buffer_gl0_inv
	v_cmpx_gt_u32_e32 32, v7
	s_cbranch_execz .LBB179_18
; %bb.12:
	v_mbcnt_lo_u32_b32 v0, -1, 0
	v_cmp_eq_u32_e64 s0, 0, v6
	s_cmp_lg_u64 s[2:3], 0
	v_and_b32_e32 v2, 31, v6
	s_cselect_b32 s1, -1, 0
	v_xor_b32_e32 v4, 4, v0
	s_and_b32 s4, s0, s1
	v_xor_b32_e32 v5, 2, v0
	v_xor_b32_e32 v6, 1, v0
	v_cmp_gt_u32_e32 vcc_lo, 8, v2
	v_cmp_gt_i32_e64 s0, 32, v4
	v_mul_u32_u24_e32 v8, 0x84, v2
	s_delay_alu instid0(VALU_DEP_2) | instskip(SKIP_1) | instid1(VALU_DEP_2)
	v_cndmask_b32_e64 v4, v0, v4, s0
	v_cmp_gt_i32_e64 s0, 32, v5
	v_lshlrev_b32_e32 v2, 2, v4
	s_delay_alu instid0(VALU_DEP_2) | instskip(SKIP_1) | instid1(VALU_DEP_1)
	v_cndmask_b32_e64 v5, v0, v5, s0
	v_cmp_gt_i32_e64 s0, 32, v6
	v_cndmask_b32_e64 v4, v0, v6, s0
	v_add_co_u32 v0, s0, v3, v1
	s_delay_alu instid0(VALU_DEP_1) | instskip(SKIP_3) | instid1(VALU_DEP_2)
	v_add_co_ci_u32_e64 v1, null, 0, 0, s0
	s_lshl_b64 s[0:1], s[14:15], 6
	v_lshlrev_b32_e32 v6, 2, v7
	s_add_u32 s0, s2, s0
	v_lshlrev_b64 v[0:1], 1, v[0:1]
	s_addc_u32 s1, s3, s1
	v_lshlrev_b32_e32 v3, 2, v5
	v_lshlrev_b32_e32 v4, 2, v4
	v_add3_u32 v5, v8, v6, 0
	v_add_nc_u32_e32 v6, -8, v7
	v_add_co_u32 v0, s0, s0, v0
	s_delay_alu instid0(VALU_DEP_1)
	v_add_co_ci_u32_e64 v1, s0, s1, v1, s0
                                        ; implicit-def: $vgpr7
	s_set_inst_prefetch_distance 0x1
	s_branch .LBB179_14
	.p2align	6
.LBB179_13:                             ;   in Loop: Header=BB179_14 Depth=1
	s_or_b32 exec_lo, exec_lo, s0
	v_add_nc_u32_e32 v6, 8, v6
	v_add_co_u32 v0, s1, v0, 16
	v_add_nc_u32_e32 v5, 32, v5
	v_add_co_ci_u32_e64 v1, s1, 0, v1, s1
	s_delay_alu instid0(VALU_DEP_4) | instskip(NEXT) | instid1(VALU_DEP_1)
	v_cmp_lt_u32_e64 s0, 23, v6
	s_or_b32 s15, s0, s15
	s_delay_alu instid0(SALU_CYCLE_1)
	s_and_not1_b32 exec_lo, exec_lo, s15
	s_cbranch_execz .LBB179_18
.LBB179_14:                             ; =>This Inner Loop Header: Depth=1
	s_and_saveexec_b32 s0, vcc_lo
	s_cbranch_execz .LBB179_16
; %bb.15:                               ;   in Loop: Header=BB179_14 Depth=1
	ds_load_b32 v7, v5
.LBB179_16:                             ;   in Loop: Header=BB179_14 Depth=1
	s_or_b32 exec_lo, exec_lo, s0
	s_waitcnt lgkmcnt(0)
	ds_bpermute_b32 v8, v2, v7
	s_waitcnt lgkmcnt(0)
	v_add_f32_e32 v7, v7, v8
	ds_bpermute_b32 v8, v3, v7
	s_waitcnt lgkmcnt(0)
	v_add_f32_e32 v7, v7, v8
	ds_bpermute_b32 v8, v4, v7
	s_waitcnt lgkmcnt(0)
	v_add_f32_e32 v7, v7, v8
	s_and_saveexec_b32 s0, s4
	s_cbranch_execz .LBB179_13
; %bb.17:                               ;   in Loop: Header=BB179_14 Depth=1
	s_delay_alu instid0(VALU_DEP_1)
	v_cvt_f16_f32_e32 v8, v7
	global_store_b16 v[0:1], v8, off
	s_branch .LBB179_13
.LBB179_18:
	s_set_inst_prefetch_distance 0x2
	s_nop 0
	s_sendmsg sendmsg(MSG_DEALLOC_VGPRS)
	s_endpgm
	.section	.rodata,"a",@progbits
	.p2align	6, 0x0
	.amdhsa_kernel _ZN2at6native12_GLOBAL__N_135GammaBetaBackwardCUDAKernelTemplateIN3c104HalfEfLj32ELj8ELj64ELb0ELb1ELb1EEEvllPKT_S7_PKT0_SA_PS5_SB_
		.amdhsa_group_segment_fixed_size 0
		.amdhsa_private_segment_fixed_size 0
		.amdhsa_kernarg_size 320
		.amdhsa_user_sgpr_count 14
		.amdhsa_user_sgpr_dispatch_ptr 0
		.amdhsa_user_sgpr_queue_ptr 0
		.amdhsa_user_sgpr_kernarg_segment_ptr 1
		.amdhsa_user_sgpr_dispatch_id 0
		.amdhsa_user_sgpr_private_segment_size 0
		.amdhsa_wavefront_size32 1
		.amdhsa_uses_dynamic_stack 0
		.amdhsa_enable_private_segment 0
		.amdhsa_system_sgpr_workgroup_id_x 1
		.amdhsa_system_sgpr_workgroup_id_y 1
		.amdhsa_system_sgpr_workgroup_id_z 0
		.amdhsa_system_sgpr_workgroup_info 0
		.amdhsa_system_vgpr_workitem_id 1
		.amdhsa_next_free_vgpr 41
		.amdhsa_next_free_sgpr 22
		.amdhsa_reserve_vcc 1
		.amdhsa_float_round_mode_32 0
		.amdhsa_float_round_mode_16_64 0
		.amdhsa_float_denorm_mode_32 3
		.amdhsa_float_denorm_mode_16_64 3
		.amdhsa_dx10_clamp 1
		.amdhsa_ieee_mode 1
		.amdhsa_fp16_overflow 0
		.amdhsa_workgroup_processor_mode 1
		.amdhsa_memory_ordered 1
		.amdhsa_forward_progress 0
		.amdhsa_shared_vgpr_count 0
		.amdhsa_exception_fp_ieee_invalid_op 0
		.amdhsa_exception_fp_denorm_src 0
		.amdhsa_exception_fp_ieee_div_zero 0
		.amdhsa_exception_fp_ieee_overflow 0
		.amdhsa_exception_fp_ieee_underflow 0
		.amdhsa_exception_fp_ieee_inexact 0
		.amdhsa_exception_int_div_zero 0
	.end_amdhsa_kernel
	.section	.text._ZN2at6native12_GLOBAL__N_135GammaBetaBackwardCUDAKernelTemplateIN3c104HalfEfLj32ELj8ELj64ELb0ELb1ELb1EEEvllPKT_S7_PKT0_SA_PS5_SB_,"axG",@progbits,_ZN2at6native12_GLOBAL__N_135GammaBetaBackwardCUDAKernelTemplateIN3c104HalfEfLj32ELj8ELj64ELb0ELb1ELb1EEEvllPKT_S7_PKT0_SA_PS5_SB_,comdat
.Lfunc_end179:
	.size	_ZN2at6native12_GLOBAL__N_135GammaBetaBackwardCUDAKernelTemplateIN3c104HalfEfLj32ELj8ELj64ELb0ELb1ELb1EEEvllPKT_S7_PKT0_SA_PS5_SB_, .Lfunc_end179-_ZN2at6native12_GLOBAL__N_135GammaBetaBackwardCUDAKernelTemplateIN3c104HalfEfLj32ELj8ELj64ELb0ELb1ELb1EEEvllPKT_S7_PKT0_SA_PS5_SB_
                                        ; -- End function
	.section	.AMDGPU.csdata,"",@progbits
; Kernel info:
; codeLenInByte = 1620
; NumSgprs: 24
; NumVgprs: 41
; ScratchSize: 0
; MemoryBound: 0
; FloatMode: 240
; IeeeMode: 1
; LDSByteSize: 0 bytes/workgroup (compile time only)
; SGPRBlocks: 2
; VGPRBlocks: 5
; NumSGPRsForWavesPerEU: 24
; NumVGPRsForWavesPerEU: 41
; Occupancy: 16
; WaveLimiterHint : 0
; COMPUTE_PGM_RSRC2:SCRATCH_EN: 0
; COMPUTE_PGM_RSRC2:USER_SGPR: 14
; COMPUTE_PGM_RSRC2:TRAP_HANDLER: 0
; COMPUTE_PGM_RSRC2:TGID_X_EN: 1
; COMPUTE_PGM_RSRC2:TGID_Y_EN: 1
; COMPUTE_PGM_RSRC2:TGID_Z_EN: 0
; COMPUTE_PGM_RSRC2:TIDIG_COMP_CNT: 1
	.section	.text._ZN2at6native12_GLOBAL__N_135GammaBetaBackwardCUDAKernelTemplateIN3c104HalfEfLj32ELj8ELj64ELb0ELb0ELb1EEEvllPKT_S7_PKT0_SA_PS5_SB_,"axG",@progbits,_ZN2at6native12_GLOBAL__N_135GammaBetaBackwardCUDAKernelTemplateIN3c104HalfEfLj32ELj8ELj64ELb0ELb0ELb1EEEvllPKT_S7_PKT0_SA_PS5_SB_,comdat
	.globl	_ZN2at6native12_GLOBAL__N_135GammaBetaBackwardCUDAKernelTemplateIN3c104HalfEfLj32ELj8ELj64ELb0ELb0ELb1EEEvllPKT_S7_PKT0_SA_PS5_SB_ ; -- Begin function _ZN2at6native12_GLOBAL__N_135GammaBetaBackwardCUDAKernelTemplateIN3c104HalfEfLj32ELj8ELj64ELb0ELb0ELb1EEEvllPKT_S7_PKT0_SA_PS5_SB_
	.p2align	8
	.type	_ZN2at6native12_GLOBAL__N_135GammaBetaBackwardCUDAKernelTemplateIN3c104HalfEfLj32ELj8ELj64ELb0ELb0ELb1EEEvllPKT_S7_PKT0_SA_PS5_SB_,@function
_ZN2at6native12_GLOBAL__N_135GammaBetaBackwardCUDAKernelTemplateIN3c104HalfEfLj32ELj8ELj64ELb0ELb0ELb1EEEvllPKT_S7_PKT0_SA_PS5_SB_: ; @_ZN2at6native12_GLOBAL__N_135GammaBetaBackwardCUDAKernelTemplateIN3c104HalfEfLj32ELj8ELj64ELb0ELb0ELb1EEEvllPKT_S7_PKT0_SA_PS5_SB_
; %bb.0:
	s_clause 0x1
	s_load_b256 s[4:11], s[0:1], 0x0
	s_load_b64 s[12:13], s[0:1], 0x28
	s_lshl_b32 s33, s14, 5
	s_mov_b32 s25, 0
	s_or_b32 s24, s33, 31
	s_waitcnt lgkmcnt(0)
	v_cmp_ge_i64_e64 s2, s[24:25], s[6:7]
	s_lshl_b32 s24, s15, 6
	s_delay_alu instid0(SALU_CYCLE_1) | instskip(NEXT) | instid1(VALU_DEP_2)
	v_cmp_lt_i64_e64 s15, s[24:25], s[4:5]
	s_and_b32 vcc_lo, exec_lo, s2
	s_delay_alu instid0(VALU_DEP_1) | instskip(NEXT) | instid1(VALU_DEP_1)
	v_cndmask_b32_e64 v1, 0, 1, s15
	v_cmp_ne_u32_e64 s2, 1, v1
	s_cbranch_vccz .LBB180_49
; %bb.1:
	v_mov_b32_e32 v1, 0
	s_delay_alu instid0(VALU_DEP_2)
	s_and_b32 vcc_lo, exec_lo, s2
	s_cbranch_vccnz .LBB180_50
; %bb.2:
	v_bfe_u32 v27, v0, 10, 10
	s_load_b32 s3, s[0:1], 0x44
	v_dual_mov_b32 v2, 0 :: v_dual_and_b32 v29, 0x3ff, v0
	s_add_u32 s26, s0, 64
	s_delay_alu instid0(VALU_DEP_2) | instskip(NEXT) | instid1(VALU_DEP_2)
	v_lshlrev_b32_e32 v28, 3, v27
	v_dual_mov_b32 v62, 0 :: v_dual_add_nc_u32 v1, s33, v29
	s_addc_u32 s27, s1, 0
	s_mov_b32 s16, 0
	s_delay_alu instid0(VALU_DEP_2) | instskip(NEXT) | instid1(VALU_DEP_1)
	v_add_co_u32 v9, s2, v28, s24
	v_add_co_ci_u32_e64 v10, null, 0, 0, s2
	v_cmp_gt_i64_e64 s2, s[6:7], v[1:2]
	s_delay_alu instid0(VALU_DEP_3) | instskip(NEXT) | instid1(VALU_DEP_3)
	v_add_co_u32 v5, vcc_lo, v9, 7
	v_add_co_ci_u32_e32 v3, vcc_lo, 0, v10, vcc_lo
	v_add_co_u32 v8, vcc_lo, v9, 6
	s_delay_alu instid0(VALU_DEP_3) | instskip(NEXT) | instid1(VALU_DEP_3)
	v_mul_lo_u32 v6, s7, v5
	v_mul_lo_u32 v7, s6, v3
	v_mad_u64_u32 v[3:4], null, s6, v5, 0
	v_add_co_ci_u32_e32 v5, vcc_lo, 0, v10, vcc_lo
	v_lshlrev_b64 v[25:26], 1, v[1:2]
	v_mul_lo_u32 v1, s7, v8
	s_waitcnt lgkmcnt(0)
	s_lshl_b32 s36, s3, 6
	s_mov_b64 s[34:35], s[24:25]
	s_delay_alu instid0(VALU_DEP_4) | instskip(SKIP_3) | instid1(VALU_DEP_3)
	v_add3_u32 v4, v4, v7, v6
	v_mul_lo_u32 v7, s6, v5
	v_mad_u64_u32 v[5:6], null, s6, v8, 0
	s_mul_i32 s3, s7, s36
	v_lshlrev_b64 v[3:4], 1, v[3:4]
	s_mul_hi_u32 s17, s6, s36
	s_mul_i32 s18, s6, s36
	s_add_i32 s19, s17, s3
	s_delay_alu instid0(VALU_DEP_2) | instskip(NEXT) | instid1(VALU_DEP_2)
	v_add3_u32 v6, v6, v7, v1
	v_add_co_u32 v30, vcc_lo, s8, v3
	v_add_co_ci_u32_e32 v31, vcc_lo, s9, v4, vcc_lo
	v_add_co_u32 v1, vcc_lo, v9, 5
	v_add_co_u32 v32, s3, s10, v3
	s_delay_alu instid0(VALU_DEP_1) | instskip(SKIP_4) | instid1(VALU_DEP_3)
	v_add_co_ci_u32_e64 v33, s3, s11, v4, s3
	v_lshlrev_b64 v[3:4], 1, v[5:6]
	v_add_co_ci_u32_e32 v5, vcc_lo, 0, v10, vcc_lo
	v_add_co_u32 v12, vcc_lo, v9, 4
	v_mul_lo_u32 v11, s7, v1
	v_mul_lo_u32 v13, s6, v5
	v_mad_u64_u32 v[5:6], null, s6, v1, 0
	v_add_co_ci_u32_e32 v7, vcc_lo, 0, v10, vcc_lo
	v_mul_lo_u32 v1, s7, v12
	v_add_co_u32 v34, vcc_lo, s8, v3
	s_delay_alu instid0(VALU_DEP_3)
	v_mul_lo_u32 v14, s6, v7
	v_mad_u64_u32 v[7:8], null, s6, v12, 0
	v_add3_u32 v6, v6, v13, v11
	v_add_co_ci_u32_e32 v35, vcc_lo, s9, v4, vcc_lo
	v_add_co_u32 v36, vcc_lo, s10, v3
	v_add_co_ci_u32_e32 v37, vcc_lo, s11, v4, vcc_lo
	s_delay_alu instid0(VALU_DEP_4) | instskip(SKIP_3) | instid1(VALU_DEP_4)
	v_lshlrev_b64 v[3:4], 1, v[5:6]
	v_add3_u32 v8, v8, v14, v1
	v_add_co_u32 v1, vcc_lo, v9, 3
	v_add_co_ci_u32_e32 v11, vcc_lo, 0, v10, vcc_lo
	v_add_co_u32 v38, vcc_lo, s8, v3
	s_delay_alu instid0(VALU_DEP_4)
	v_lshlrev_b64 v[5:6], 1, v[7:8]
	v_add_co_ci_u32_e32 v39, vcc_lo, s9, v4, vcc_lo
	v_mul_lo_u32 v12, s7, v1
	v_mul_lo_u32 v11, s6, v11
	v_mad_u64_u32 v[7:8], null, s6, v1, 0
	v_add_co_u32 v40, vcc_lo, s10, v3
	v_add_co_ci_u32_e32 v41, vcc_lo, s11, v4, vcc_lo
	v_add_co_u32 v42, vcc_lo, s8, v5
	v_add_co_ci_u32_e32 v43, vcc_lo, s9, v6, vcc_lo
	v_add_co_u32 v1, vcc_lo, v9, 2
	v_add3_u32 v8, v8, v11, v12
	v_add_co_ci_u32_e32 v11, vcc_lo, 0, v10, vcc_lo
	v_add_co_u32 v44, vcc_lo, s10, v5
	v_add_co_ci_u32_e32 v45, vcc_lo, s11, v6, vcc_lo
	v_mul_lo_u32 v12, s7, v1
	s_delay_alu instid0(VALU_DEP_4)
	v_mul_lo_u32 v11, s6, v11
	v_mad_u64_u32 v[5:6], null, s6, v1, 0
	v_lshlrev_b64 v[3:4], 1, v[7:8]
	v_mul_lo_u32 v1, s7, v9
	v_mul_lo_u32 v10, s6, v10
	v_mad_u64_u32 v[7:8], null, s6, v9, 0
	s_lshl_b64 s[28:29], s[18:19], 1
	s_delay_alu instid0(VALU_DEP_4)
	v_add_co_u32 v46, vcc_lo, s8, v3
	v_add3_u32 v6, v6, v11, v12
	v_add_co_ci_u32_e32 v47, vcc_lo, s9, v4, vcc_lo
	v_add_co_u32 v48, vcc_lo, s10, v3
	v_add3_u32 v8, v8, v10, v1
	v_add_co_ci_u32_e32 v49, vcc_lo, s11, v4, vcc_lo
	v_lshlrev_b64 v[3:4], 1, v[5:6]
	v_add_co_u32 v5, vcc_lo, v7, s6
	s_delay_alu instid0(VALU_DEP_4) | instskip(SKIP_1) | instid1(VALU_DEP_3)
	v_add_co_ci_u32_e32 v6, vcc_lo, s7, v8, vcc_lo
	s_add_u32 s30, s24, 63
	v_add_co_u32 v50, vcc_lo, s8, v3
	s_delay_alu instid0(VALU_DEP_2) | instskip(SKIP_3) | instid1(VALU_DEP_4)
	v_lshlrev_b64 v[5:6], 1, v[5:6]
	v_add_co_ci_u32_e32 v51, vcc_lo, s9, v4, vcc_lo
	v_add_co_u32 v52, vcc_lo, s10, v3
	v_add_co_ci_u32_e32 v53, vcc_lo, s11, v4, vcc_lo
	v_add_co_u32 v54, vcc_lo, s8, v5
	v_lshlrev_b64 v[3:4], 1, v[7:8]
	v_add_co_ci_u32_e32 v55, vcc_lo, s9, v6, vcc_lo
	v_add_co_u32 v56, vcc_lo, s10, v5
	v_add_co_ci_u32_e32 v57, vcc_lo, s11, v6, vcc_lo
	s_delay_alu instid0(VALU_DEP_4)
	v_add_co_u32 v58, vcc_lo, s8, v3
	v_add_co_ci_u32_e32 v59, vcc_lo, s9, v4, vcc_lo
	v_add_co_u32 v60, vcc_lo, s10, v3
	v_add_co_ci_u32_e32 v61, vcc_lo, s11, v4, vcc_lo
	s_addc_u32 s31, 0, 0
.LBB180_3:                              ; =>This Inner Loop Header: Depth=1
	s_delay_alu instid0(SALU_CYCLE_1) | instskip(SKIP_1) | instid1(VALU_DEP_1)
	v_cmp_ge_i64_e64 s3, s[30:31], s[4:5]
	v_add_co_u32 v63, s17, v28, s30
	v_add_co_ci_u32_e64 v64, null, 0, s31, s17
	s_delay_alu instid0(VALU_DEP_3)
	s_and_b32 vcc_lo, exec_lo, s3
	s_cbranch_vccz .LBB180_25
; %bb.4:                                ;   in Loop: Header=BB180_3 Depth=1
	s_load_b32 s3, s[26:27], 0xc
	v_mov_b32_e32 v65, 0
	s_waitcnt lgkmcnt(0)
	s_and_b32 s3, s3, 0xffff
	s_delay_alu instid0(SALU_CYCLE_1) | instskip(SKIP_1) | instid1(VALU_DEP_1)
	v_mad_u32_u24 v1, v27, s3, v29
	s_mov_b32 s3, exec_lo
	v_and_b32_e32 v1, 31, v1
	s_delay_alu instid0(VALU_DEP_1)
	v_cmpx_gt_u32_e32 8, v1
	s_cbranch_execz .LBB180_8
; %bb.5:                                ;   in Loop: Header=BB180_3 Depth=1
	v_add_co_u32 v1, vcc_lo, v63, v1
	v_add_co_ci_u32_e32 v4, vcc_lo, 0, v64, vcc_lo
	v_mov_b32_e32 v65, 0
	s_delay_alu instid0(VALU_DEP_3) | instskip(NEXT) | instid1(VALU_DEP_3)
	v_add_co_u32 v3, vcc_lo, 0xffffffc1, v1
	v_add_co_ci_u32_e32 v4, vcc_lo, -1, v4, vcc_lo
	s_mov_b32 s17, exec_lo
	s_delay_alu instid0(VALU_DEP_1)
	v_cmpx_gt_i64_e64 s[4:5], v[3:4]
	s_cbranch_execz .LBB180_7
; %bb.6:                                ;   in Loop: Header=BB180_3 Depth=1
	v_lshlrev_b64 v[3:4], 2, v[3:4]
	s_delay_alu instid0(VALU_DEP_1) | instskip(NEXT) | instid1(VALU_DEP_2)
	v_add_co_u32 v3, vcc_lo, s12, v3
	v_add_co_ci_u32_e32 v4, vcc_lo, s13, v4, vcc_lo
	global_load_b32 v65, v[3:4], off
.LBB180_7:                              ;   in Loop: Header=BB180_3 Depth=1
	s_or_b32 exec_lo, exec_lo, s17
.LBB180_8:                              ;   in Loop: Header=BB180_3 Depth=1
	s_delay_alu instid0(SALU_CYCLE_1)
	s_or_b32 exec_lo, exec_lo, s3
	v_add_co_u32 v3, vcc_lo, 0xffffffc1, v63
	v_add_co_ci_u32_e32 v4, vcc_lo, -1, v64, vcc_lo
	s_mov_b32 s22, s16
	s_mov_b32 s23, s16
	;; [unrolled: 1-line block ×7, first 2 shown]
	v_dual_mov_b32 v9, s16 :: v_dual_mov_b32 v10, s17
	v_dual_mov_b32 v15, s22 :: v_dual_mov_b32 v16, s23
	;; [unrolled: 1-line block ×4, first 2 shown]
	v_cmp_gt_i64_e32 vcc_lo, s[4:5], v[3:4]
	s_delay_alu instid0(VALU_DEP_4) | instskip(NEXT) | instid1(VALU_DEP_3)
	v_dual_mov_b32 v24, v16 :: v_dual_mov_b32 v23, v15
	v_dual_mov_b32 v21, v13 :: v_dual_mov_b32 v22, v14
	;; [unrolled: 1-line block ×4, first 2 shown]
	s_and_b32 s17, s2, vcc_lo
	s_delay_alu instid0(SALU_CYCLE_1)
	s_and_saveexec_b32 s3, s17
	s_cbranch_execz .LBB180_10
; %bb.9:                                ;   in Loop: Header=BB180_3 Depth=1
	v_add_co_u32 v3, vcc_lo, v58, v25
	v_add_co_ci_u32_e32 v4, vcc_lo, v59, v26, vcc_lo
	v_add_co_u32 v5, vcc_lo, v60, v25
	v_add_co_ci_u32_e32 v6, vcc_lo, v61, v26, vcc_lo
	v_mov_b32_e32 v8, v2
	global_load_u16 v1, v[3:4], off
	global_load_u16 v9, v[5:6], off
	v_mov_b32_e32 v3, v2
	v_mov_b32_e32 v4, v2
	;; [unrolled: 1-line block ×6, first 2 shown]
	s_waitcnt vmcnt(1)
	v_cvt_f32_f16_e32 v1, v1
	v_dual_mov_b32 v11, v2 :: v_dual_mov_b32 v24, v8
	v_dual_mov_b32 v10, v2 :: v_dual_mov_b32 v23, v7
	s_waitcnt vmcnt(0)
	v_cvt_f32_f16_e32 v9, v9
	v_dual_mov_b32 v12, v2 :: v_dual_mov_b32 v21, v5
	v_dual_mov_b32 v13, v2 :: v_dual_mov_b32 v20, v4
	;; [unrolled: 1-line block ×4, first 2 shown]
	v_mov_b32_e32 v22, v6
	v_mov_b32_e32 v18, v2
.LBB180_10:                             ;   in Loop: Header=BB180_3 Depth=1
	s_or_b32 exec_lo, exec_lo, s3
	v_add_co_u32 v3, vcc_lo, 0xffffffc2, v63
	v_add_co_ci_u32_e32 v4, vcc_lo, -1, v64, vcc_lo
	s_delay_alu instid0(VALU_DEP_1) | instskip(SKIP_1) | instid1(SALU_CYCLE_1)
	v_cmp_gt_i64_e32 vcc_lo, s[4:5], v[3:4]
	s_and_b32 s17, s2, vcc_lo
	s_and_saveexec_b32 s3, s17
	s_cbranch_execz .LBB180_12
; %bb.11:                               ;   in Loop: Header=BB180_3 Depth=1
	v_add_co_u32 v3, vcc_lo, v54, v25
	v_add_co_ci_u32_e32 v4, vcc_lo, v55, v26, vcc_lo
	v_add_co_u32 v5, vcc_lo, v56, v25
	v_add_co_ci_u32_e32 v6, vcc_lo, v57, v26, vcc_lo
	global_load_u16 v1, v[3:4], off
	global_load_u16 v3, v[5:6], off
	s_waitcnt vmcnt(1)
	v_cvt_f32_f16_e32 v18, v1
	s_waitcnt vmcnt(0)
	v_cvt_f32_f16_e32 v10, v3
.LBB180_12:                             ;   in Loop: Header=BB180_3 Depth=1
	s_or_b32 exec_lo, exec_lo, s3
	v_add_co_u32 v3, vcc_lo, 0xffffffc3, v63
	v_add_co_ci_u32_e32 v4, vcc_lo, -1, v64, vcc_lo
	s_delay_alu instid0(VALU_DEP_1) | instskip(SKIP_1) | instid1(SALU_CYCLE_1)
	v_cmp_gt_i64_e32 vcc_lo, s[4:5], v[3:4]
	s_and_b32 s17, s2, vcc_lo
	s_and_saveexec_b32 s3, s17
	s_cbranch_execz .LBB180_14
; %bb.13:                               ;   in Loop: Header=BB180_3 Depth=1
	v_add_co_u32 v3, vcc_lo, v50, v25
	v_add_co_ci_u32_e32 v4, vcc_lo, v51, v26, vcc_lo
	v_add_co_u32 v5, vcc_lo, v52, v25
	v_add_co_ci_u32_e32 v6, vcc_lo, v53, v26, vcc_lo
	global_load_u16 v1, v[3:4], off
	global_load_u16 v3, v[5:6], off
	s_waitcnt vmcnt(1)
	v_cvt_f32_f16_e32 v19, v1
	s_waitcnt vmcnt(0)
	v_cvt_f32_f16_e32 v11, v3
.LBB180_14:                             ;   in Loop: Header=BB180_3 Depth=1
	;; [unrolled: 20-line block ×7, first 2 shown]
	s_or_b32 exec_lo, exec_lo, s3
	s_waitcnt vmcnt(0)
	ds_bpermute_b32 v1, v2, v65
	ds_bpermute_b32 v3, v2, v65 offset:4
	ds_bpermute_b32 v4, v2, v65 offset:8
	v_mul_f32_e32 v5, v9, v17
	ds_bpermute_b32 v6, v2, v65 offset:12
	v_mul_f32_e32 v7, v10, v18
	ds_bpermute_b32 v8, v2, v65 offset:16
	ds_bpermute_b32 v9, v2, v65 offset:20
	s_waitcnt lgkmcnt(5)
	v_fma_f32 v1, v5, v1, v62
	v_mul_f32_e32 v5, v11, v19
	s_waitcnt lgkmcnt(4)
	s_delay_alu instid0(VALU_DEP_2) | instskip(SKIP_2) | instid1(VALU_DEP_2)
	v_fmac_f32_e32 v1, v7, v3
	v_mul_f32_e32 v3, v12, v20
	s_waitcnt lgkmcnt(3)
	v_fmac_f32_e32 v1, v5, v4
	ds_bpermute_b32 v4, v2, v65 offset:24
	v_mul_f32_e32 v5, v13, v21
	s_waitcnt lgkmcnt(3)
	v_fmac_f32_e32 v1, v3, v6
	v_mul_f32_e32 v6, v14, v22
	ds_bpermute_b32 v3, v2, v65 offset:28
	s_waitcnt lgkmcnt(3)
	v_fmac_f32_e32 v1, v5, v8
	v_mul_f32_e32 v5, v15, v23
	s_waitcnt lgkmcnt(2)
	s_delay_alu instid0(VALU_DEP_2) | instskip(SKIP_1) | instid1(VALU_DEP_1)
	v_fmac_f32_e32 v1, v6, v9
	s_waitcnt lgkmcnt(1)
	v_fmac_f32_e32 v1, v5, v4
	s_branch .LBB180_40
.LBB180_25:                             ;   in Loop: Header=BB180_3 Depth=1
                                        ; implicit-def: $vgpr1
                                        ; implicit-def: $vgpr9_vgpr10_vgpr11_vgpr12_vgpr13_vgpr14_vgpr15_vgpr16
                                        ; implicit-def: $vgpr17_vgpr18_vgpr19_vgpr20_vgpr21_vgpr22_vgpr23_vgpr24
                                        ; implicit-def: $vgpr3
	s_cbranch_execz .LBB180_40
; %bb.26:                               ;   in Loop: Header=BB180_3 Depth=1
	s_load_b32 s3, s[26:27], 0x0
	v_mov_b32_e32 v65, 0
	s_waitcnt lgkmcnt(0)
	s_cmp_lt_u32 s14, s3
	s_cselect_b32 s3, 12, 18
	s_delay_alu instid0(SALU_CYCLE_1)
	s_add_u32 s18, s26, s3
	s_addc_u32 s19, s27, 0
	s_mov_b32 s3, exec_lo
	global_load_u16 v1, v2, s[18:19]
	s_waitcnt vmcnt(0)
	v_mad_u32_u24 v1, v27, v1, v29
	s_delay_alu instid0(VALU_DEP_1) | instskip(NEXT) | instid1(VALU_DEP_1)
	v_and_b32_e32 v1, 31, v1
	v_cmpx_gt_u32_e32 8, v1
	s_cbranch_execz .LBB180_30
; %bb.27:                               ;   in Loop: Header=BB180_3 Depth=1
	v_add_co_u32 v1, vcc_lo, v63, v1
	v_add_co_ci_u32_e32 v4, vcc_lo, 0, v64, vcc_lo
	v_mov_b32_e32 v65, 0
	s_delay_alu instid0(VALU_DEP_3) | instskip(NEXT) | instid1(VALU_DEP_3)
	v_add_co_u32 v3, vcc_lo, 0xffffffc1, v1
	v_add_co_ci_u32_e32 v4, vcc_lo, -1, v4, vcc_lo
	s_mov_b32 s17, exec_lo
	s_delay_alu instid0(VALU_DEP_1)
	v_cmpx_gt_i64_e64 s[4:5], v[3:4]
	s_cbranch_execz .LBB180_29
; %bb.28:                               ;   in Loop: Header=BB180_3 Depth=1
	v_lshlrev_b64 v[3:4], 2, v[3:4]
	s_delay_alu instid0(VALU_DEP_1) | instskip(NEXT) | instid1(VALU_DEP_2)
	v_add_co_u32 v3, vcc_lo, s12, v3
	v_add_co_ci_u32_e32 v4, vcc_lo, s13, v4, vcc_lo
	global_load_b32 v65, v[3:4], off
.LBB180_29:                             ;   in Loop: Header=BB180_3 Depth=1
	s_or_b32 exec_lo, exec_lo, s17
.LBB180_30:                             ;   in Loop: Header=BB180_3 Depth=1
	s_delay_alu instid0(SALU_CYCLE_1)
	s_or_b32 exec_lo, exec_lo, s3
	s_mov_b32 s22, s16
	s_mov_b32 s23, s16
	;; [unrolled: 1-line block ×7, first 2 shown]
	v_dual_mov_b32 v9, s16 :: v_dual_mov_b32 v10, s17
	v_dual_mov_b32 v15, s22 :: v_dual_mov_b32 v16, s23
	;; [unrolled: 1-line block ×4, first 2 shown]
	s_delay_alu instid0(VALU_DEP_3) | instskip(NEXT) | instid1(VALU_DEP_3)
	v_dual_mov_b32 v24, v16 :: v_dual_mov_b32 v23, v15
	v_dual_mov_b32 v20, v12 :: v_dual_mov_b32 v19, v11
	s_delay_alu instid0(VALU_DEP_3)
	v_dual_mov_b32 v22, v14 :: v_dual_mov_b32 v21, v13
	v_dual_mov_b32 v18, v10 :: v_dual_mov_b32 v17, v9
	s_and_saveexec_b32 s3, s2
	s_cbranch_execnz .LBB180_42
; %bb.31:                               ;   in Loop: Header=BB180_3 Depth=1
	s_or_b32 exec_lo, exec_lo, s3
	s_and_saveexec_b32 s3, s2
	s_cbranch_execnz .LBB180_43
.LBB180_32:                             ;   in Loop: Header=BB180_3 Depth=1
	s_or_b32 exec_lo, exec_lo, s3
	s_and_saveexec_b32 s3, s2
	s_cbranch_execnz .LBB180_44
.LBB180_33:                             ;   in Loop: Header=BB180_3 Depth=1
	s_or_b32 exec_lo, exec_lo, s3
	s_and_saveexec_b32 s3, s2
	s_cbranch_execnz .LBB180_45
.LBB180_34:                             ;   in Loop: Header=BB180_3 Depth=1
	s_or_b32 exec_lo, exec_lo, s3
	s_and_saveexec_b32 s3, s2
	s_cbranch_execnz .LBB180_46
.LBB180_35:                             ;   in Loop: Header=BB180_3 Depth=1
	s_or_b32 exec_lo, exec_lo, s3
	s_and_saveexec_b32 s3, s2
	s_cbranch_execnz .LBB180_47
.LBB180_36:                             ;   in Loop: Header=BB180_3 Depth=1
	s_or_b32 exec_lo, exec_lo, s3
	s_and_saveexec_b32 s3, s2
	s_cbranch_execnz .LBB180_48
.LBB180_37:                             ;   in Loop: Header=BB180_3 Depth=1
	s_or_b32 exec_lo, exec_lo, s3
	s_and_saveexec_b32 s3, s2
	s_cbranch_execz .LBB180_39
.LBB180_38:                             ;   in Loop: Header=BB180_3 Depth=1
	v_add_co_u32 v3, vcc_lo, v30, v25
	v_add_co_ci_u32_e32 v4, vcc_lo, v31, v26, vcc_lo
	v_add_co_u32 v5, vcc_lo, v32, v25
	v_add_co_ci_u32_e32 v6, vcc_lo, v33, v26, vcc_lo
	global_load_u16 v1, v[3:4], off
	global_load_u16 v3, v[5:6], off
	s_waitcnt vmcnt(1)
	v_cvt_f32_f16_e32 v24, v1
	s_waitcnt vmcnt(0)
	v_cvt_f32_f16_e32 v16, v3
.LBB180_39:                             ;   in Loop: Header=BB180_3 Depth=1
	s_or_b32 exec_lo, exec_lo, s3
	s_waitcnt vmcnt(0)
	ds_bpermute_b32 v1, v2, v65
	ds_bpermute_b32 v3, v2, v65 offset:4
	ds_bpermute_b32 v4, v2, v65 offset:8
	;; [unrolled: 1-line block ×3, first 2 shown]
	v_mul_f32_e32 v7, v10, v18
	v_mul_f32_e32 v5, v9, v17
	ds_bpermute_b32 v8, v2, v65 offset:16
	s_waitcnt lgkmcnt(4)
	v_dual_fmac_f32 v62, v5, v1 :: v_dual_mul_f32 v1, v11, v19
	ds_bpermute_b32 v5, v2, v65 offset:20
	s_waitcnt lgkmcnt(4)
	v_dual_fmac_f32 v62, v7, v3 :: v_dual_mul_f32 v3, v12, v20
	s_waitcnt lgkmcnt(3)
	s_delay_alu instid0(VALU_DEP_1)
	v_fmac_f32_e32 v62, v1, v4
	ds_bpermute_b32 v1, v2, v65 offset:24
	v_mul_f32_e32 v4, v13, v21
	s_waitcnt lgkmcnt(3)
	v_fmac_f32_e32 v62, v3, v6
	v_mul_f32_e32 v6, v14, v22
	ds_bpermute_b32 v3, v2, v65 offset:28
	s_waitcnt lgkmcnt(3)
	v_fmac_f32_e32 v62, v4, v8
	v_mul_f32_e32 v4, v15, v23
	s_waitcnt lgkmcnt(2)
	s_delay_alu instid0(VALU_DEP_2) | instskip(SKIP_1) | instid1(VALU_DEP_1)
	v_fmac_f32_e32 v62, v6, v5
	s_waitcnt lgkmcnt(1)
	v_fmac_f32_e32 v62, v4, v1
	s_delay_alu instid0(VALU_DEP_1)
	v_mov_b32_e32 v1, v62
.LBB180_40:                             ;   in Loop: Header=BB180_3 Depth=1
	v_add_co_u32 v30, vcc_lo, v30, s28
	v_add_co_ci_u32_e32 v31, vcc_lo, s29, v31, vcc_lo
	v_add_co_u32 v32, vcc_lo, v32, s28
	v_add_co_ci_u32_e32 v33, vcc_lo, s29, v33, vcc_lo
	v_add_co_u32 v34, vcc_lo, v34, s28
	v_add_co_ci_u32_e32 v35, vcc_lo, s29, v35, vcc_lo
	v_add_co_u32 v36, vcc_lo, v36, s28
	v_add_co_ci_u32_e32 v37, vcc_lo, s29, v37, vcc_lo
	v_add_co_u32 v38, vcc_lo, v38, s28
	v_add_co_ci_u32_e32 v39, vcc_lo, s29, v39, vcc_lo
	v_add_co_u32 v40, vcc_lo, v40, s28
	v_add_co_ci_u32_e32 v41, vcc_lo, s29, v41, vcc_lo
	v_add_co_u32 v42, vcc_lo, v42, s28
	v_add_co_ci_u32_e32 v43, vcc_lo, s29, v43, vcc_lo
	v_add_co_u32 v44, vcc_lo, v44, s28
	v_add_co_ci_u32_e32 v45, vcc_lo, s29, v45, vcc_lo
	v_add_co_u32 v46, vcc_lo, v46, s28
	v_add_co_ci_u32_e32 v47, vcc_lo, s29, v47, vcc_lo
	v_add_co_u32 v48, vcc_lo, v48, s28
	v_add_co_ci_u32_e32 v49, vcc_lo, s29, v49, vcc_lo
	v_add_co_u32 v50, vcc_lo, v50, s28
	v_add_co_ci_u32_e32 v51, vcc_lo, s29, v51, vcc_lo
	v_add_co_u32 v52, vcc_lo, v52, s28
	v_add_co_ci_u32_e32 v53, vcc_lo, s29, v53, vcc_lo
	v_add_co_u32 v54, vcc_lo, v54, s28
	v_add_co_ci_u32_e32 v55, vcc_lo, s29, v55, vcc_lo
	v_add_co_u32 v56, vcc_lo, v56, s28
	s_add_u32 s34, s34, s36
	v_add_co_ci_u32_e32 v57, vcc_lo, s29, v57, vcc_lo
	v_mul_f32_e32 v4, v24, v16
	s_addc_u32 s35, s35, 0
	v_add_co_u32 v58, vcc_lo, v58, s28
	v_cmp_lt_i64_e64 s3, s[34:35], s[4:5]
	v_add_co_ci_u32_e32 v59, vcc_lo, s29, v59, vcc_lo
	v_add_co_u32 v60, vcc_lo, v60, s28
	s_waitcnt lgkmcnt(0)
	v_fmac_f32_e32 v1, v4, v3
	v_add_co_ci_u32_e32 v61, vcc_lo, s29, v61, vcc_lo
	s_add_u32 s30, s30, s36
	s_addc_u32 s31, s31, 0
	s_and_b32 vcc_lo, exec_lo, s3
	s_cbranch_vccz .LBB180_50
; %bb.41:                               ;   in Loop: Header=BB180_3 Depth=1
	v_mov_b32_e32 v62, v1
	s_branch .LBB180_3
.LBB180_42:                             ;   in Loop: Header=BB180_3 Depth=1
	v_add_co_u32 v3, vcc_lo, v58, v25
	v_add_co_ci_u32_e32 v4, vcc_lo, v59, v26, vcc_lo
	v_add_co_u32 v5, vcc_lo, v60, v25
	v_add_co_ci_u32_e32 v6, vcc_lo, v61, v26, vcc_lo
	v_mov_b32_e32 v8, v2
	global_load_u16 v1, v[3:4], off
	global_load_u16 v9, v[5:6], off
	v_mov_b32_e32 v3, v2
	v_mov_b32_e32 v4, v2
	;; [unrolled: 1-line block ×6, first 2 shown]
	s_waitcnt vmcnt(1)
	v_cvt_f32_f16_e32 v1, v1
	v_dual_mov_b32 v11, v2 :: v_dual_mov_b32 v24, v8
	v_dual_mov_b32 v10, v2 :: v_dual_mov_b32 v23, v7
	s_waitcnt vmcnt(0)
	v_cvt_f32_f16_e32 v9, v9
	v_dual_mov_b32 v12, v2 :: v_dual_mov_b32 v21, v5
	v_dual_mov_b32 v13, v2 :: v_dual_mov_b32 v20, v4
	;; [unrolled: 1-line block ×4, first 2 shown]
	v_mov_b32_e32 v22, v6
	v_mov_b32_e32 v18, v2
	s_or_b32 exec_lo, exec_lo, s3
	s_and_saveexec_b32 s3, s2
	s_cbranch_execz .LBB180_32
.LBB180_43:                             ;   in Loop: Header=BB180_3 Depth=1
	v_add_co_u32 v3, vcc_lo, v54, v25
	v_add_co_ci_u32_e32 v4, vcc_lo, v55, v26, vcc_lo
	v_add_co_u32 v5, vcc_lo, v56, v25
	v_add_co_ci_u32_e32 v6, vcc_lo, v57, v26, vcc_lo
	global_load_u16 v1, v[3:4], off
	global_load_u16 v3, v[5:6], off
	s_waitcnt vmcnt(1)
	v_cvt_f32_f16_e32 v18, v1
	s_waitcnt vmcnt(0)
	v_cvt_f32_f16_e32 v10, v3
	s_or_b32 exec_lo, exec_lo, s3
	s_and_saveexec_b32 s3, s2
	s_cbranch_execz .LBB180_33
.LBB180_44:                             ;   in Loop: Header=BB180_3 Depth=1
	v_add_co_u32 v3, vcc_lo, v50, v25
	v_add_co_ci_u32_e32 v4, vcc_lo, v51, v26, vcc_lo
	v_add_co_u32 v5, vcc_lo, v52, v25
	v_add_co_ci_u32_e32 v6, vcc_lo, v53, v26, vcc_lo
	global_load_u16 v1, v[3:4], off
	global_load_u16 v3, v[5:6], off
	s_waitcnt vmcnt(1)
	v_cvt_f32_f16_e32 v19, v1
	s_waitcnt vmcnt(0)
	v_cvt_f32_f16_e32 v11, v3
	s_or_b32 exec_lo, exec_lo, s3
	s_and_saveexec_b32 s3, s2
	s_cbranch_execz .LBB180_34
.LBB180_45:                             ;   in Loop: Header=BB180_3 Depth=1
	v_add_co_u32 v3, vcc_lo, v46, v25
	v_add_co_ci_u32_e32 v4, vcc_lo, v47, v26, vcc_lo
	v_add_co_u32 v5, vcc_lo, v48, v25
	v_add_co_ci_u32_e32 v6, vcc_lo, v49, v26, vcc_lo
	global_load_u16 v1, v[3:4], off
	global_load_u16 v3, v[5:6], off
	s_waitcnt vmcnt(1)
	v_cvt_f32_f16_e32 v20, v1
	s_waitcnt vmcnt(0)
	v_cvt_f32_f16_e32 v12, v3
	s_or_b32 exec_lo, exec_lo, s3
	s_and_saveexec_b32 s3, s2
	s_cbranch_execz .LBB180_35
.LBB180_46:                             ;   in Loop: Header=BB180_3 Depth=1
	v_add_co_u32 v3, vcc_lo, v42, v25
	v_add_co_ci_u32_e32 v4, vcc_lo, v43, v26, vcc_lo
	v_add_co_u32 v5, vcc_lo, v44, v25
	v_add_co_ci_u32_e32 v6, vcc_lo, v45, v26, vcc_lo
	global_load_u16 v1, v[3:4], off
	global_load_u16 v3, v[5:6], off
	s_waitcnt vmcnt(1)
	v_cvt_f32_f16_e32 v21, v1
	s_waitcnt vmcnt(0)
	v_cvt_f32_f16_e32 v13, v3
	s_or_b32 exec_lo, exec_lo, s3
	s_and_saveexec_b32 s3, s2
	s_cbranch_execz .LBB180_36
.LBB180_47:                             ;   in Loop: Header=BB180_3 Depth=1
	v_add_co_u32 v3, vcc_lo, v38, v25
	v_add_co_ci_u32_e32 v4, vcc_lo, v39, v26, vcc_lo
	v_add_co_u32 v5, vcc_lo, v40, v25
	v_add_co_ci_u32_e32 v6, vcc_lo, v41, v26, vcc_lo
	global_load_u16 v1, v[3:4], off
	global_load_u16 v3, v[5:6], off
	s_waitcnt vmcnt(1)
	v_cvt_f32_f16_e32 v22, v1
	s_waitcnt vmcnt(0)
	v_cvt_f32_f16_e32 v14, v3
	s_or_b32 exec_lo, exec_lo, s3
	s_and_saveexec_b32 s3, s2
	s_cbranch_execz .LBB180_37
.LBB180_48:                             ;   in Loop: Header=BB180_3 Depth=1
	v_add_co_u32 v3, vcc_lo, v34, v25
	v_add_co_ci_u32_e32 v4, vcc_lo, v35, v26, vcc_lo
	v_add_co_u32 v5, vcc_lo, v36, v25
	v_add_co_ci_u32_e32 v6, vcc_lo, v37, v26, vcc_lo
	global_load_u16 v1, v[3:4], off
	global_load_u16 v3, v[5:6], off
	s_waitcnt vmcnt(1)
	v_cvt_f32_f16_e32 v23, v1
	s_waitcnt vmcnt(0)
	v_cvt_f32_f16_e32 v15, v3
	s_or_b32 exec_lo, exec_lo, s3
	s_and_saveexec_b32 s3, s2
	s_cbranch_execnz .LBB180_38
	s_branch .LBB180_39
.LBB180_49:
                                        ; implicit-def: $vgpr1
	s_branch .LBB180_51
.LBB180_50:
	s_cbranch_execnz .LBB180_83
.LBB180_51:
	v_mov_b32_e32 v1, 0
	s_and_not1_b32 vcc_lo, exec_lo, s15
	s_cbranch_vccnz .LBB180_83
; %bb.52:
	s_load_b32 s2, s[0:1], 0x44
	v_dual_mov_b32 v2, 0 :: v_dual_and_b32 v55, 0x3ff, v0
	v_bfe_u32 v56, v0, 10, 10
	s_add_u32 s26, s0, 64
	s_addc_u32 s27, s1, 0
	s_delay_alu instid0(VALU_DEP_2) | instskip(NEXT) | instid1(VALU_DEP_2)
	v_dual_mov_b32 v90, 0 :: v_dual_add_nc_u32 v1, s33, v55
	v_lshlrev_b32_e32 v3, 4, v56
	v_lshlrev_b32_e32 v57, 3, v56
	s_delay_alu instid0(VALU_DEP_3)
	v_lshlrev_b64 v[25:26], 1, v[1:2]
	s_waitcnt lgkmcnt(0)
	s_lshl_b32 s15, s2, 6
	s_add_u32 s28, s24, 63
	s_addc_u32 s29, 0, 0
	s_lshl_b64 s[2:3], s[24:25], 1
	s_mul_i32 s16, s7, s15
	v_add_co_u32 v1, s2, v3, s2
	s_delay_alu instid0(VALU_DEP_1) | instskip(SKIP_1) | instid1(VALU_DEP_3)
	v_add_co_ci_u32_e64 v3, null, 0, s3, s2
	v_add_co_u32 v74, s3, v57, s24
	v_add_co_u32 v7, vcc_lo, v1, 2
	s_delay_alu instid0(VALU_DEP_3) | instskip(SKIP_3) | instid1(VALU_DEP_4)
	v_add_co_ci_u32_e32 v4, vcc_lo, 0, v3, vcc_lo
	v_add_co_u32 v8, vcc_lo, v1, 4
	v_add_co_ci_u32_e32 v5, vcc_lo, 0, v3, vcc_lo
	v_add_co_u32 v11, vcc_lo, v1, 6
	v_mul_lo_u32 v9, s6, v4
	v_add_co_ci_u32_e32 v4, vcc_lo, 0, v3, vcc_lo
	v_add_co_u32 v14, vcc_lo, v1, 8
	v_mul_lo_u32 v12, s6, v5
	;; [unrolled: 3-line block ×4, first 2 shown]
	v_add_co_ci_u32_e32 v5, vcc_lo, 0, v3, vcc_lo
	v_add_co_ci_u32_e64 v75, null, 0, 0, s3
	v_add_co_u32 v1, vcc_lo, v1, 14
	v_mul_lo_u32 v21, s6, v4
	s_delay_alu instid0(VALU_DEP_4) | instskip(SKIP_4) | instid1(VALU_DEP_4)
	v_mul_lo_u32 v23, s6, v5
	v_add_co_ci_u32_e32 v5, vcc_lo, 0, v3, vcc_lo
	v_mul_lo_u32 v6, s7, v74
	v_mul_lo_u32 v41, s6, v75
	v_mad_u64_u32 v[3:4], null, s6, v74, 0
	v_mul_lo_u32 v60, s6, v5
	v_mad_u64_u32 v[27:28], null, s6, v7, s[8:9]
	;; [unrolled: 2-line block ×3, first 2 shown]
	v_add3_u32 v4, v4, v41, v6
	v_mad_u64_u32 v[41:42], null, s6, v7, s[10:11]
	v_mul_lo_u32 v13, s7, v8
	v_mad_u64_u32 v[43:44], null, s6, v8, s[10:11]
	s_delay_alu instid0(VALU_DEP_4)
	v_lshlrev_b64 v[5:6], 1, v[3:4]
	v_add3_u32 v28, v10, v28, v9
	v_mad_u64_u32 v[31:32], null, s6, v11, s[8:9]
	v_add3_u32 v42, v10, v42, v9
	v_add3_u32 v30, v13, v30, v12
	v_add_co_u32 v58, vcc_lo, s8, v5
	v_add_co_ci_u32_e32 v59, vcc_lo, s9, v6, vcc_lo
	v_add_co_u32 v9, vcc_lo, v74, 7
	v_add_co_ci_u32_e32 v7, vcc_lo, 0, v75, vcc_lo
	v_add3_u32 v44, v13, v44, v12
	v_add_co_u32 v12, vcc_lo, v74, 6
	v_mul_lo_u32 v16, s7, v11
	v_mad_u64_u32 v[39:40], null, s6, v1, s[8:9]
	v_mul_lo_u32 v61, s7, v1
	v_mad_u64_u32 v[45:46], null, s6, v11, s[10:11]
	v_mad_u64_u32 v[53:54], null, s6, v1, s[10:11]
	v_mul_lo_u32 v1, s7, v9
	v_mul_lo_u32 v11, s6, v7
	v_mad_u64_u32 v[7:8], null, s6, v9, 0
	v_add_co_ci_u32_e32 v10, vcc_lo, 0, v75, vcc_lo
	v_mad_u64_u32 v[33:34], null, s6, v14, s[8:9]
	v_mul_lo_u32 v19, s7, v14
	v_mad_u64_u32 v[47:48], null, s6, v14, s[10:11]
	v_mul_lo_u32 v13, s7, v12
	v_mul_lo_u32 v14, s6, v10
	v_mad_u64_u32 v[9:10], null, s6, v12, 0
	v_add3_u32 v8, v8, v11, v1
	v_add3_u32 v40, v61, v40, v60
	v_add3_u32 v54, v61, v54, v60
	v_add_co_u32 v60, vcc_lo, s10, v5
	v_add_co_ci_u32_e32 v61, vcc_lo, s11, v6, vcc_lo
	v_lshlrev_b64 v[5:6], 1, v[7:8]
	v_add3_u32 v10, v10, v14, v13
	v_add_co_u32 v1, vcc_lo, v74, 5
	v_add_co_ci_u32_e32 v11, vcc_lo, 0, v75, vcc_lo
	s_delay_alu instid0(VALU_DEP_4) | instskip(NEXT) | instid1(VALU_DEP_4)
	v_add_co_u32 v62, vcc_lo, s8, v5
	v_lshlrev_b64 v[7:8], 1, v[9:10]
	v_add_co_ci_u32_e32 v63, vcc_lo, s9, v6, vcc_lo
	v_mul_lo_u32 v12, s7, v1
	v_mul_lo_u32 v11, s6, v11
	v_mad_u64_u32 v[9:10], null, s6, v1, 0
	v_add_co_u32 v64, vcc_lo, s10, v5
	v_add_co_ci_u32_e32 v65, vcc_lo, s11, v6, vcc_lo
	v_add_co_u32 v66, vcc_lo, s8, v7
	v_add_co_ci_u32_e32 v67, vcc_lo, s9, v8, vcc_lo
	s_mul_hi_u32 s2, s6, s15
	v_add_co_u32 v1, vcc_lo, v74, 4
	v_add3_u32 v10, v10, v11, v12
	s_add_i32 s3, s2, s16
	v_add_co_u32 v68, s2, s10, v7
	v_add_co_ci_u32_e32 v7, vcc_lo, 0, v75, vcc_lo
	v_add_co_u32 v12, vcc_lo, v74, 3
	v_lshlrev_b64 v[5:6], 1, v[9:10]
	v_add_co_ci_u32_e32 v9, vcc_lo, 0, v75, vcc_lo
	v_add_co_ci_u32_e64 v69, s2, s11, v8, s2
	v_mul_lo_u32 v11, s7, v1
	v_mul_lo_u32 v13, s6, v7
	v_mad_u64_u32 v[7:8], null, s6, v1, 0
	v_mul_lo_u32 v1, s7, v12
	v_mul_lo_u32 v14, s6, v9
	v_mad_u64_u32 v[9:10], null, s6, v12, 0
	v_add_co_u32 v70, vcc_lo, s8, v5
	v_add_co_ci_u32_e32 v71, vcc_lo, s9, v6, vcc_lo
	v_add3_u32 v8, v8, v13, v11
	v_add_co_u32 v72, vcc_lo, s10, v5
	v_add_co_ci_u32_e32 v73, vcc_lo, s11, v6, vcc_lo
	v_add3_u32 v10, v10, v14, v1
	v_add_co_u32 v1, vcc_lo, v74, 2
	v_lshlrev_b64 v[5:6], 1, v[7:8]
	v_add_co_ci_u32_e32 v11, vcc_lo, 0, v75, vcc_lo
	s_delay_alu instid0(VALU_DEP_4) | instskip(NEXT) | instid1(VALU_DEP_4)
	v_lshlrev_b64 v[7:8], 1, v[9:10]
	v_mul_lo_u32 v12, s7, v1
	v_mad_u64_u32 v[9:10], null, s6, v1, 0
	v_add_co_u32 v74, vcc_lo, s8, v5
	v_mul_lo_u32 v11, s6, v11
	v_add_co_ci_u32_e32 v75, vcc_lo, s9, v6, vcc_lo
	v_add_co_u32 v76, vcc_lo, s10, v5
	v_add_co_ci_u32_e32 v77, vcc_lo, s11, v6, vcc_lo
	v_add_co_u32 v78, vcc_lo, s8, v7
	v_add_co_ci_u32_e32 v79, vcc_lo, s9, v8, vcc_lo
	v_add3_u32 v10, v10, v11, v12
	v_add_co_u32 v80, vcc_lo, s10, v7
	v_add_co_ci_u32_e32 v81, vcc_lo, s11, v8, vcc_lo
	v_add_co_u32 v3, vcc_lo, v3, s6
	s_delay_alu instid0(VALU_DEP_4) | instskip(SKIP_3) | instid1(VALU_DEP_4)
	v_lshlrev_b64 v[5:6], 1, v[9:10]
	v_add_co_ci_u32_e32 v4, vcc_lo, s7, v4, vcc_lo
	v_mad_u64_u32 v[35:36], null, s6, v18, s[8:9]
	v_mul_lo_u32 v22, s7, v18
	v_add_co_u32 v82, vcc_lo, s8, v5
	s_delay_alu instid0(VALU_DEP_4)
	v_lshlrev_b64 v[3:4], 1, v[3:4]
	v_add_co_ci_u32_e32 v83, vcc_lo, s9, v6, vcc_lo
	v_mad_u64_u32 v[37:38], null, s6, v20, s[8:9]
	v_mul_lo_u32 v24, s7, v20
	v_mad_u64_u32 v[49:50], null, s6, v18, s[10:11]
	v_mad_u64_u32 v[51:52], null, s6, v20, s[10:11]
	v_add_co_u32 v84, vcc_lo, s10, v5
	v_add_co_ci_u32_e32 v85, vcc_lo, s11, v6, vcc_lo
	v_add_co_u32 v86, vcc_lo, s8, v3
	v_add_co_ci_u32_e32 v87, vcc_lo, s9, v4, vcc_lo
	v_add_co_u32 v88, vcc_lo, s10, v3
	v_add3_u32 v32, v16, v32, v15
	v_add3_u32 v34, v19, v34, v17
	;; [unrolled: 1-line block ×8, first 2 shown]
	v_add_co_ci_u32_e32 v89, vcc_lo, s11, v4, vcc_lo
	s_mul_i32 s2, s6, s15
	s_mov_b32 s16, 0
	s_lshl_b64 s[2:3], s[2:3], 1
.LBB180_53:                             ; =>This Inner Loop Header: Depth=1
	v_cmp_ge_i64_e64 s8, s[28:29], s[4:5]
	v_add_co_u32 v91, s9, v57, s28
	s_delay_alu instid0(VALU_DEP_1) | instskip(NEXT) | instid1(VALU_DEP_3)
	v_add_co_ci_u32_e64 v92, null, 0, s29, s9
	s_and_b32 vcc_lo, exec_lo, s8
	s_cbranch_vccz .LBB180_75
; %bb.54:                               ;   in Loop: Header=BB180_53 Depth=1
	s_load_b32 s8, s[26:27], 0xc
	v_mov_b32_e32 v93, 0
	s_waitcnt lgkmcnt(0)
	s_and_b32 s8, s8, 0xffff
	s_delay_alu instid0(SALU_CYCLE_1) | instskip(SKIP_1) | instid1(VALU_DEP_1)
	v_mad_u32_u24 v1, v56, s8, v55
	s_mov_b32 s8, exec_lo
	v_and_b32_e32 v1, 31, v1
	s_delay_alu instid0(VALU_DEP_1)
	v_cmpx_gt_u32_e32 8, v1
	s_cbranch_execz .LBB180_58
; %bb.55:                               ;   in Loop: Header=BB180_53 Depth=1
	v_add_co_u32 v1, vcc_lo, v91, v1
	v_add_co_ci_u32_e32 v4, vcc_lo, 0, v92, vcc_lo
	v_mov_b32_e32 v93, 0
	s_delay_alu instid0(VALU_DEP_3) | instskip(NEXT) | instid1(VALU_DEP_3)
	v_add_co_u32 v3, vcc_lo, 0xffffffc1, v1
	v_add_co_ci_u32_e32 v4, vcc_lo, -1, v4, vcc_lo
	s_mov_b32 s9, exec_lo
	s_delay_alu instid0(VALU_DEP_1)
	v_cmpx_gt_i64_e64 s[4:5], v[3:4]
	s_cbranch_execz .LBB180_57
; %bb.56:                               ;   in Loop: Header=BB180_53 Depth=1
	v_lshlrev_b64 v[3:4], 2, v[3:4]
	s_delay_alu instid0(VALU_DEP_1) | instskip(NEXT) | instid1(VALU_DEP_2)
	v_add_co_u32 v3, vcc_lo, s12, v3
	v_add_co_ci_u32_e32 v4, vcc_lo, s13, v4, vcc_lo
	global_load_b32 v93, v[3:4], off
.LBB180_57:                             ;   in Loop: Header=BB180_53 Depth=1
	s_or_b32 exec_lo, exec_lo, s9
.LBB180_58:                             ;   in Loop: Header=BB180_53 Depth=1
	s_delay_alu instid0(SALU_CYCLE_1)
	s_or_b32 exec_lo, exec_lo, s8
	s_mov_b32 s22, s16
	s_mov_b32 s23, s16
	;; [unrolled: 1-line block ×7, first 2 shown]
	v_dual_mov_b32 v9, s16 :: v_dual_mov_b32 v10, s17
	v_dual_mov_b32 v15, s22 :: v_dual_mov_b32 v16, s23
	;; [unrolled: 1-line block ×4, first 2 shown]
	v_add_co_u32 v3, vcc_lo, 0xffffffc1, v91
	s_delay_alu instid0(VALU_DEP_4) | instskip(SKIP_1) | instid1(VALU_DEP_4)
	v_dual_mov_b32 v24, v16 :: v_dual_mov_b32 v23, v15
	v_add_co_ci_u32_e32 v4, vcc_lo, -1, v92, vcc_lo
	v_dual_mov_b32 v22, v14 :: v_dual_mov_b32 v21, v13
	v_dual_mov_b32 v20, v12 :: v_dual_mov_b32 v19, v11
	v_dual_mov_b32 v18, v10 :: v_dual_mov_b32 v17, v9
	s_mov_b32 s8, exec_lo
	v_cmpx_gt_i64_e64 s[4:5], v[3:4]
	s_cbranch_execz .LBB180_60
; %bb.59:                               ;   in Loop: Header=BB180_53 Depth=1
	v_add_co_u32 v3, vcc_lo, v58, v25
	v_add_co_ci_u32_e32 v4, vcc_lo, v59, v26, vcc_lo
	v_add_co_u32 v5, vcc_lo, v60, v25
	v_add_co_ci_u32_e32 v6, vcc_lo, v61, v26, vcc_lo
	v_mov_b32_e32 v8, v2
	global_load_u16 v1, v[3:4], off
	global_load_u16 v9, v[5:6], off
	v_mov_b32_e32 v3, v2
	v_mov_b32_e32 v4, v2
	;; [unrolled: 1-line block ×6, first 2 shown]
	s_waitcnt vmcnt(1)
	v_cvt_f32_f16_e32 v1, v1
	v_dual_mov_b32 v11, v2 :: v_dual_mov_b32 v24, v8
	v_dual_mov_b32 v10, v2 :: v_dual_mov_b32 v23, v7
	s_waitcnt vmcnt(0)
	v_cvt_f32_f16_e32 v9, v9
	v_dual_mov_b32 v12, v2 :: v_dual_mov_b32 v21, v5
	v_dual_mov_b32 v13, v2 :: v_dual_mov_b32 v20, v4
	;; [unrolled: 1-line block ×4, first 2 shown]
	v_mov_b32_e32 v22, v6
	v_mov_b32_e32 v18, v2
.LBB180_60:                             ;   in Loop: Header=BB180_53 Depth=1
	s_or_b32 exec_lo, exec_lo, s8
	v_add_co_u32 v3, vcc_lo, 0xffffffc2, v91
	v_add_co_ci_u32_e32 v4, vcc_lo, -1, v92, vcc_lo
	s_mov_b32 s8, exec_lo
	s_delay_alu instid0(VALU_DEP_1)
	v_cmpx_gt_i64_e64 s[4:5], v[3:4]
	s_cbranch_execz .LBB180_62
; %bb.61:                               ;   in Loop: Header=BB180_53 Depth=1
	v_add_co_u32 v3, vcc_lo, v86, v25
	v_add_co_ci_u32_e32 v4, vcc_lo, v87, v26, vcc_lo
	v_add_co_u32 v5, vcc_lo, v88, v25
	v_add_co_ci_u32_e32 v6, vcc_lo, v89, v26, vcc_lo
	global_load_u16 v1, v[3:4], off
	global_load_u16 v3, v[5:6], off
	s_waitcnt vmcnt(1)
	v_cvt_f32_f16_e32 v18, v1
	s_waitcnt vmcnt(0)
	v_cvt_f32_f16_e32 v10, v3
.LBB180_62:                             ;   in Loop: Header=BB180_53 Depth=1
	s_or_b32 exec_lo, exec_lo, s8
	v_add_co_u32 v3, vcc_lo, 0xffffffc3, v91
	v_add_co_ci_u32_e32 v4, vcc_lo, -1, v92, vcc_lo
	s_mov_b32 s8, exec_lo
	s_delay_alu instid0(VALU_DEP_1)
	v_cmpx_gt_i64_e64 s[4:5], v[3:4]
	s_cbranch_execz .LBB180_64
; %bb.63:                               ;   in Loop: Header=BB180_53 Depth=1
	v_add_co_u32 v3, vcc_lo, v82, v25
	v_add_co_ci_u32_e32 v4, vcc_lo, v83, v26, vcc_lo
	v_add_co_u32 v5, vcc_lo, v84, v25
	v_add_co_ci_u32_e32 v6, vcc_lo, v85, v26, vcc_lo
	global_load_u16 v1, v[3:4], off
	global_load_u16 v3, v[5:6], off
	s_waitcnt vmcnt(1)
	v_cvt_f32_f16_e32 v19, v1
	s_waitcnt vmcnt(0)
	v_cvt_f32_f16_e32 v11, v3
.LBB180_64:                             ;   in Loop: Header=BB180_53 Depth=1
	;; [unrolled: 19-line block ×7, first 2 shown]
	s_or_b32 exec_lo, exec_lo, s8
	s_waitcnt vmcnt(0)
	ds_bpermute_b32 v1, v2, v93
	ds_bpermute_b32 v3, v2, v93 offset:4
	ds_bpermute_b32 v4, v2, v93 offset:8
	v_mul_f32_e32 v5, v9, v17
	ds_bpermute_b32 v6, v2, v93 offset:12
	v_mul_f32_e32 v7, v10, v18
	ds_bpermute_b32 v8, v2, v93 offset:16
	ds_bpermute_b32 v9, v2, v93 offset:20
	s_waitcnt lgkmcnt(5)
	v_fma_f32 v1, v5, v1, v90
	v_mul_f32_e32 v5, v11, v19
	s_waitcnt lgkmcnt(4)
	s_delay_alu instid0(VALU_DEP_2)
	v_fmac_f32_e32 v1, v7, v3
	v_mul_f32_e32 v3, v12, v20
	ds_bpermute_b32 v7, v2, v93 offset:24
	s_waitcnt lgkmcnt(4)
	v_fmac_f32_e32 v1, v5, v4
	v_dual_mul_f32 v4, v13, v21 :: v_dual_mul_f32 v5, v14, v22
	s_waitcnt lgkmcnt(3)
	s_delay_alu instid0(VALU_DEP_2) | instskip(SKIP_4) | instid1(VALU_DEP_1)
	v_fmac_f32_e32 v1, v3, v6
	ds_bpermute_b32 v3, v2, v93 offset:28
	s_waitcnt lgkmcnt(3)
	v_dual_fmac_f32 v1, v4, v8 :: v_dual_mul_f32 v4, v15, v23
	s_waitcnt lgkmcnt(2)
	v_fmac_f32_e32 v1, v5, v9
	s_waitcnt lgkmcnt(1)
	s_delay_alu instid0(VALU_DEP_1) | instskip(SKIP_2) | instid1(VALU_DEP_1)
	v_fmac_f32_e32 v1, v4, v7
	v_mul_f32_e32 v4, v16, v24
	s_waitcnt lgkmcnt(0)
	v_fmac_f32_e32 v1, v4, v3
	s_branch .LBB180_81
.LBB180_75:                             ;   in Loop: Header=BB180_53 Depth=1
                                        ; implicit-def: $vgpr1
	s_cbranch_execz .LBB180_81
; %bb.76:                               ;   in Loop: Header=BB180_53 Depth=1
	s_load_b32 s8, s[26:27], 0x0
	s_waitcnt lgkmcnt(0)
	s_cmp_lt_u32 s14, s8
	s_cselect_b32 s8, 12, 18
	s_delay_alu instid0(SALU_CYCLE_1)
	s_add_u32 s8, s26, s8
	s_addc_u32 s9, s27, 0
	global_load_u16 v1, v2, s[8:9]
	s_mov_b32 s8, exec_lo
	s_waitcnt vmcnt(0)
	v_mad_u32_u24 v1, v56, v1, v55
	s_delay_alu instid0(VALU_DEP_1) | instskip(SKIP_1) | instid1(VALU_DEP_2)
	v_and_b32_e32 v3, 31, v1
	v_mov_b32_e32 v1, 0
	v_cmpx_gt_u32_e32 8, v3
	s_cbranch_execz .LBB180_80
; %bb.77:                               ;   in Loop: Header=BB180_53 Depth=1
	v_add_co_u32 v1, vcc_lo, v91, v3
	v_add_co_ci_u32_e32 v4, vcc_lo, 0, v92, vcc_lo
	s_mov_b32 s9, exec_lo
	s_delay_alu instid0(VALU_DEP_2) | instskip(NEXT) | instid1(VALU_DEP_2)
	v_add_co_u32 v3, vcc_lo, 0xffffffc1, v1
	v_add_co_ci_u32_e32 v4, vcc_lo, -1, v4, vcc_lo
	v_mov_b32_e32 v1, 0
	s_delay_alu instid0(VALU_DEP_2)
	v_cmpx_gt_i64_e64 s[4:5], v[3:4]
	s_cbranch_execz .LBB180_79
; %bb.78:                               ;   in Loop: Header=BB180_53 Depth=1
	v_lshlrev_b64 v[3:4], 2, v[3:4]
	s_delay_alu instid0(VALU_DEP_1) | instskip(NEXT) | instid1(VALU_DEP_2)
	v_add_co_u32 v3, vcc_lo, s12, v3
	v_add_co_ci_u32_e32 v4, vcc_lo, s13, v4, vcc_lo
	global_load_b32 v1, v[3:4], off
.LBB180_79:                             ;   in Loop: Header=BB180_53 Depth=1
	s_or_b32 exec_lo, exec_lo, s9
.LBB180_80:                             ;   in Loop: Header=BB180_53 Depth=1
	s_delay_alu instid0(SALU_CYCLE_1)
	s_or_b32 exec_lo, exec_lo, s8
	v_add_co_u32 v3, vcc_lo, v58, v25
	v_add_co_ci_u32_e32 v4, vcc_lo, v59, v26, vcc_lo
	v_add_co_u32 v5, vcc_lo, v60, v25
	v_add_co_ci_u32_e32 v6, vcc_lo, v61, v26, vcc_lo
	;; [unrolled: 2-line block ×5, first 2 shown]
	global_load_u16 v13, v[3:4], off
	global_load_u16 v14, v[5:6], off
	global_load_u16 v15, v[7:8], off
	global_load_u16 v16, v[9:10], off
	global_load_u16 v17, v[11:12], off
	v_add_co_u32 v3, vcc_lo, v43, v25
	v_add_co_ci_u32_e32 v4, vcc_lo, v44, v26, vcc_lo
	v_add_co_u32 v5, vcc_lo, v31, v25
	v_add_co_ci_u32_e32 v6, vcc_lo, v32, v26, vcc_lo
	;; [unrolled: 2-line block ×5, first 2 shown]
	global_load_u16 v18, v[3:4], off
	global_load_u16 v19, v[5:6], off
	;; [unrolled: 1-line block ×5, first 2 shown]
	v_add_co_u32 v3, vcc_lo, v35, v25
	v_add_co_ci_u32_e32 v4, vcc_lo, v36, v26, vcc_lo
	v_add_co_u32 v5, vcc_lo, v49, v25
	v_add_co_ci_u32_e32 v6, vcc_lo, v50, v26, vcc_lo
	;; [unrolled: 2-line block ×4, first 2 shown]
	global_load_u16 v12, v[3:4], off
	global_load_u16 v22, v[5:6], off
	;; [unrolled: 1-line block ×4, first 2 shown]
	v_add_co_u32 v3, vcc_lo, v39, v25
	v_add_co_ci_u32_e32 v4, vcc_lo, v40, v26, vcc_lo
	v_add_co_u32 v5, vcc_lo, v53, v25
	v_add_co_ci_u32_e32 v6, vcc_lo, v54, v26, vcc_lo
	global_load_u16 v3, v[3:4], off
	global_load_u16 v4, v[5:6], off
	s_waitcnt vmcnt(16)
	ds_bpermute_b32 v5, v2, v1
	ds_bpermute_b32 v6, v2, v1 offset:4
	ds_bpermute_b32 v9, v2, v1 offset:8
	s_waitcnt vmcnt(15)
	v_cvt_f32_f16_e32 v10, v13
	s_waitcnt vmcnt(14)
	v_cvt_f32_f16_e32 v13, v14
	ds_bpermute_b32 v14, v2, v1 offset:12
	s_waitcnt vmcnt(13)
	v_cvt_f32_f16_e32 v15, v15
	s_waitcnt vmcnt(12)
	v_cvt_f32_f16_e32 v16, v16
	;; [unrolled: 2-line block ×3, first 2 shown]
	v_mul_f32_e32 v10, v10, v13
	ds_bpermute_b32 v13, v2, v1 offset:16
	v_mul_f32_e32 v15, v15, v16
	s_waitcnt vmcnt(10)
	v_cvt_f32_f16_e32 v18, v18
	s_waitcnt lgkmcnt(4)
	v_fmac_f32_e32 v90, v10, v5
	ds_bpermute_b32 v5, v2, v1 offset:20
	s_waitcnt vmcnt(9)
	v_cvt_f32_f16_e32 v10, v19
	s_waitcnt vmcnt(8)
	v_cvt_f32_f16_e32 v16, v20
	v_mul_f32_e32 v17, v17, v18
	s_waitcnt lgkmcnt(4)
	v_fmac_f32_e32 v90, v15, v6
	ds_bpermute_b32 v6, v2, v1 offset:24
	s_waitcnt vmcnt(7)
	v_cvt_f32_f16_e32 v15, v21
	s_waitcnt vmcnt(6)
	v_cvt_f32_f16_e32 v11, v11
	v_mul_f32_e32 v10, v10, v16
	ds_bpermute_b32 v1, v2, v1 offset:28
	v_mul_f32_e32 v11, v15, v11
	s_waitcnt vmcnt(3)
	v_cvt_f32_f16_e32 v7, v7
	s_waitcnt vmcnt(2)
	v_cvt_f32_f16_e32 v8, v8
	s_waitcnt lgkmcnt(5)
	v_fmac_f32_e32 v90, v17, v9
	v_cvt_f32_f16_e32 v9, v12
	v_cvt_f32_f16_e32 v12, v22
	v_mul_f32_e32 v7, v7, v8
	s_delay_alu instid0(VALU_DEP_2)
	v_mul_f32_e32 v9, v9, v12
	s_waitcnt vmcnt(1)
	v_cvt_f32_f16_e32 v3, v3
	s_waitcnt vmcnt(0)
	v_cvt_f32_f16_e32 v4, v4
	s_waitcnt lgkmcnt(4)
	s_delay_alu instid0(VALU_DEP_1) | instskip(SKIP_1) | instid1(VALU_DEP_1)
	v_dual_fmac_f32 v90, v10, v14 :: v_dual_mul_f32 v3, v3, v4
	s_waitcnt lgkmcnt(3)
	v_fmac_f32_e32 v90, v11, v13
	s_waitcnt lgkmcnt(2)
	s_delay_alu instid0(VALU_DEP_1) | instskip(SKIP_1) | instid1(VALU_DEP_1)
	v_fmac_f32_e32 v90, v9, v5
	s_waitcnt lgkmcnt(1)
	v_fmac_f32_e32 v90, v7, v6
	s_waitcnt lgkmcnt(0)
	s_delay_alu instid0(VALU_DEP_1) | instskip(NEXT) | instid1(VALU_DEP_1)
	v_fmac_f32_e32 v90, v3, v1
	v_mov_b32_e32 v1, v90
.LBB180_81:                             ;   in Loop: Header=BB180_53 Depth=1
	v_add_co_u32 v27, vcc_lo, v27, s2
	v_add_co_ci_u32_e32 v28, vcc_lo, s3, v28, vcc_lo
	v_add_co_u32 v29, vcc_lo, v29, s2
	v_add_co_ci_u32_e32 v30, vcc_lo, s3, v30, vcc_lo
	;; [unrolled: 2-line block ×27, first 2 shown]
	v_add_co_u32 v84, vcc_lo, v84, s2
	s_add_u32 s24, s24, s15
	v_add_co_ci_u32_e32 v85, vcc_lo, s3, v85, vcc_lo
	s_addc_u32 s25, s25, 0
	v_add_co_u32 v86, vcc_lo, v86, s2
	v_cmp_ge_i64_e64 s8, s[24:25], s[4:5]
	v_add_co_ci_u32_e32 v87, vcc_lo, s3, v87, vcc_lo
	v_add_co_u32 v88, vcc_lo, v88, s2
	v_add_co_ci_u32_e32 v89, vcc_lo, s3, v89, vcc_lo
	s_add_u32 s28, s28, s15
	s_addc_u32 s29, s29, 0
	s_and_b32 vcc_lo, exec_lo, s8
	s_cbranch_vccnz .LBB180_83
; %bb.82:                               ;   in Loop: Header=BB180_53 Depth=1
	v_mov_b32_e32 v90, v1
	s_branch .LBB180_53
.LBB180_83:
	v_dual_mov_b32 v6, 0 :: v_dual_and_b32 v3, 0x3ff, v0
	v_bfe_u32 v0, v0, 10, 10
	s_mov_b32 s15, 0
	s_mov_b32 s2, exec_lo
	s_delay_alu instid0(VALU_DEP_2) | instskip(NEXT) | instid1(VALU_DEP_2)
	v_lshrrev_b32_e32 v2, 5, v3
	v_mad_u32_u24 v5, v0, 33, v3
	s_delay_alu instid0(VALU_DEP_2) | instskip(NEXT) | instid1(VALU_DEP_2)
	v_add_nc_u32_e32 v4, v2, v0
	v_lshl_add_u32 v5, v5, 2, 0
	ds_store_b32 v5, v1
	ds_store_b32 v5, v6 offset:1056
	s_waitcnt lgkmcnt(0)
	s_barrier
	buffer_gl0_inv
	v_cmpx_gt_u32_e32 32, v4
	s_cbranch_execz .LBB180_90
; %bb.84:
	v_mbcnt_lo_u32_b32 v5, -1, 0
	s_load_b64 s[2:3], s[0:1], 0x30
	v_and_b32_e32 v1, 31, v3
	v_cmp_ne_u32_e32 vcc_lo, 0, v3
	s_lshl_b64 s[4:5], s[14:15], 5
	v_xor_b32_e32 v6, 4, v5
	v_xor_b32_e32 v8, 2, v5
	v_cmp_gt_u32_e64 s0, 8, v1
	v_mul_u32_u24_e32 v7, 0x84, v1
	v_xor_b32_e32 v9, 1, v5
	v_cmp_gt_i32_e64 s1, 32, v6
	v_lshlrev_b32_e32 v10, 2, v4
	s_delay_alu instid0(VALU_DEP_2) | instskip(SKIP_1) | instid1(VALU_DEP_1)
	v_cndmask_b32_e64 v6, v5, v6, s1
	v_add_co_u32 v2, s1, v2, v0
	v_add_co_ci_u32_e64 v3, null, 0, 0, s1
	s_delay_alu instid0(VALU_DEP_3) | instskip(NEXT) | instid1(VALU_DEP_3)
	v_lshlrev_b32_e32 v4, 2, v6
	v_add_co_u32 v0, s1, v2, s4
	s_delay_alu instid0(VALU_DEP_1)
	v_add_co_ci_u32_e64 v1, s1, s5, v3, s1
	v_cmp_gt_i32_e64 s1, 32, v8
	v_add3_u32 v7, v7, v10, 0
	s_waitcnt lgkmcnt(0)
	s_cmp_eq_u64 s[2:3], 0
	v_lshlrev_b64 v[0:1], 1, v[0:1]
	v_cndmask_b32_e64 v8, v5, v8, s1
	v_cmp_gt_i32_e64 s1, 32, v9
	s_delay_alu instid0(VALU_DEP_1) | instskip(NEXT) | instid1(VALU_DEP_4)
	v_cndmask_b32_e64 v9, v5, v9, s1
	v_add_co_u32 v0, s1, s2, v0
	s_delay_alu instid0(VALU_DEP_4) | instskip(SKIP_1) | instid1(VALU_DEP_4)
	v_lshlrev_b32_e32 v5, 2, v8
	v_add_co_ci_u32_e64 v1, s1, s3, v1, s1
	v_lshlrev_b32_e32 v6, 2, v9
	s_cselect_b32 s3, -1, 0
                                        ; implicit-def: $vgpr8
	s_set_inst_prefetch_distance 0x1
	s_branch .LBB180_86
	.p2align	6
.LBB180_85:                             ;   in Loop: Header=BB180_86 Depth=1
	s_or_b32 exec_lo, exec_lo, s1
	v_add_co_u32 v2, s1, v2, 8
	s_delay_alu instid0(VALU_DEP_1) | instskip(SKIP_1) | instid1(VALU_DEP_3)
	v_add_co_ci_u32_e64 v3, s1, 0, v3, s1
	v_add_co_u32 v0, s2, v0, 16
	v_add_nc_u32_e32 v9, -8, v2
	v_add_nc_u32_e32 v7, 32, v7
	v_add_co_ci_u32_e64 v1, s2, 0, v1, s2
	s_delay_alu instid0(VALU_DEP_3) | instskip(NEXT) | instid1(VALU_DEP_1)
	v_cmp_lt_u32_e64 s1, 23, v9
	s_or_b32 s15, s1, s15
	s_delay_alu instid0(SALU_CYCLE_1)
	s_and_not1_b32 exec_lo, exec_lo, s15
	s_cbranch_execz .LBB180_90
.LBB180_86:                             ; =>This Inner Loop Header: Depth=1
	s_and_saveexec_b32 s1, s0
	s_cbranch_execz .LBB180_88
; %bb.87:                               ;   in Loop: Header=BB180_86 Depth=1
	ds_load_b32 v8, v7
.LBB180_88:                             ;   in Loop: Header=BB180_86 Depth=1
	s_or_b32 exec_lo, exec_lo, s1
	s_waitcnt lgkmcnt(0)
	ds_bpermute_b32 v9, v4, v8
	s_waitcnt lgkmcnt(0)
	v_add_f32_e32 v8, v8, v9
	ds_bpermute_b32 v9, v5, v8
	s_waitcnt lgkmcnt(0)
	v_add_f32_e32 v10, v8, v9
	v_add_co_u32 v8, s1, s4, v2
	s_delay_alu instid0(VALU_DEP_1) | instskip(SKIP_2) | instid1(VALU_DEP_1)
	v_add_co_ci_u32_e64 v9, s1, s5, v3, s1
	ds_bpermute_b32 v11, v6, v10
	v_cmp_le_i64_e64 s1, s[6:7], v[8:9]
	s_or_b32 s1, vcc_lo, s1
	s_delay_alu instid0(SALU_CYCLE_1) | instskip(NEXT) | instid1(SALU_CYCLE_1)
	s_or_b32 s1, s3, s1
	s_xor_b32 s2, s1, -1
	s_waitcnt lgkmcnt(0)
	v_add_f32_e32 v8, v10, v11
	s_and_saveexec_b32 s1, s2
	s_cbranch_execz .LBB180_85
; %bb.89:                               ;   in Loop: Header=BB180_86 Depth=1
	s_delay_alu instid0(VALU_DEP_1)
	v_cvt_f16_f32_e32 v9, v8
	global_store_b16 v[0:1], v9, off
	s_branch .LBB180_85
.LBB180_90:
	s_set_inst_prefetch_distance 0x2
	s_nop 0
	s_sendmsg sendmsg(MSG_DEALLOC_VGPRS)
	s_endpgm
	.section	.rodata,"a",@progbits
	.p2align	6, 0x0
	.amdhsa_kernel _ZN2at6native12_GLOBAL__N_135GammaBetaBackwardCUDAKernelTemplateIN3c104HalfEfLj32ELj8ELj64ELb0ELb0ELb1EEEvllPKT_S7_PKT0_SA_PS5_SB_
		.amdhsa_group_segment_fixed_size 0
		.amdhsa_private_segment_fixed_size 0
		.amdhsa_kernarg_size 320
		.amdhsa_user_sgpr_count 14
		.amdhsa_user_sgpr_dispatch_ptr 0
		.amdhsa_user_sgpr_queue_ptr 0
		.amdhsa_user_sgpr_kernarg_segment_ptr 1
		.amdhsa_user_sgpr_dispatch_id 0
		.amdhsa_user_sgpr_private_segment_size 0
		.amdhsa_wavefront_size32 1
		.amdhsa_uses_dynamic_stack 0
		.amdhsa_enable_private_segment 0
		.amdhsa_system_sgpr_workgroup_id_x 1
		.amdhsa_system_sgpr_workgroup_id_y 1
		.amdhsa_system_sgpr_workgroup_id_z 0
		.amdhsa_system_sgpr_workgroup_info 0
		.amdhsa_system_vgpr_workitem_id 1
		.amdhsa_next_free_vgpr 94
		.amdhsa_next_free_sgpr 37
		.amdhsa_reserve_vcc 1
		.amdhsa_float_round_mode_32 0
		.amdhsa_float_round_mode_16_64 0
		.amdhsa_float_denorm_mode_32 3
		.amdhsa_float_denorm_mode_16_64 3
		.amdhsa_dx10_clamp 1
		.amdhsa_ieee_mode 1
		.amdhsa_fp16_overflow 0
		.amdhsa_workgroup_processor_mode 1
		.amdhsa_memory_ordered 1
		.amdhsa_forward_progress 0
		.amdhsa_shared_vgpr_count 0
		.amdhsa_exception_fp_ieee_invalid_op 0
		.amdhsa_exception_fp_denorm_src 0
		.amdhsa_exception_fp_ieee_div_zero 0
		.amdhsa_exception_fp_ieee_overflow 0
		.amdhsa_exception_fp_ieee_underflow 0
		.amdhsa_exception_fp_ieee_inexact 0
		.amdhsa_exception_int_div_zero 0
	.end_amdhsa_kernel
	.section	.text._ZN2at6native12_GLOBAL__N_135GammaBetaBackwardCUDAKernelTemplateIN3c104HalfEfLj32ELj8ELj64ELb0ELb0ELb1EEEvllPKT_S7_PKT0_SA_PS5_SB_,"axG",@progbits,_ZN2at6native12_GLOBAL__N_135GammaBetaBackwardCUDAKernelTemplateIN3c104HalfEfLj32ELj8ELj64ELb0ELb0ELb1EEEvllPKT_S7_PKT0_SA_PS5_SB_,comdat
.Lfunc_end180:
	.size	_ZN2at6native12_GLOBAL__N_135GammaBetaBackwardCUDAKernelTemplateIN3c104HalfEfLj32ELj8ELj64ELb0ELb0ELb1EEEvllPKT_S7_PKT0_SA_PS5_SB_, .Lfunc_end180-_ZN2at6native12_GLOBAL__N_135GammaBetaBackwardCUDAKernelTemplateIN3c104HalfEfLj32ELj8ELj64ELb0ELb0ELb1EEEvllPKT_S7_PKT0_SA_PS5_SB_
                                        ; -- End function
	.section	.AMDGPU.csdata,"",@progbits
; Kernel info:
; codeLenInByte = 7844
; NumSgprs: 39
; NumVgprs: 94
; ScratchSize: 0
; MemoryBound: 0
; FloatMode: 240
; IeeeMode: 1
; LDSByteSize: 0 bytes/workgroup (compile time only)
; SGPRBlocks: 4
; VGPRBlocks: 11
; NumSGPRsForWavesPerEU: 39
; NumVGPRsForWavesPerEU: 94
; Occupancy: 16
; WaveLimiterHint : 0
; COMPUTE_PGM_RSRC2:SCRATCH_EN: 0
; COMPUTE_PGM_RSRC2:USER_SGPR: 14
; COMPUTE_PGM_RSRC2:TRAP_HANDLER: 0
; COMPUTE_PGM_RSRC2:TGID_X_EN: 1
; COMPUTE_PGM_RSRC2:TGID_Y_EN: 1
; COMPUTE_PGM_RSRC2:TGID_Z_EN: 0
; COMPUTE_PGM_RSRC2:TIDIG_COMP_CNT: 1
	.section	.text._ZN2at6native12_GLOBAL__N_135GammaBetaBackwardCUDAKernelTemplateIN3c104HalfEfLj32ELj16ELj128ELb0ELb1ELb1EEEvllPKT_S7_PKT0_SA_PS5_SB_,"axG",@progbits,_ZN2at6native12_GLOBAL__N_135GammaBetaBackwardCUDAKernelTemplateIN3c104HalfEfLj32ELj16ELj128ELb0ELb1ELb1EEEvllPKT_S7_PKT0_SA_PS5_SB_,comdat
	.globl	_ZN2at6native12_GLOBAL__N_135GammaBetaBackwardCUDAKernelTemplateIN3c104HalfEfLj32ELj16ELj128ELb0ELb1ELb1EEEvllPKT_S7_PKT0_SA_PS5_SB_ ; -- Begin function _ZN2at6native12_GLOBAL__N_135GammaBetaBackwardCUDAKernelTemplateIN3c104HalfEfLj32ELj16ELj128ELb0ELb1ELb1EEEvllPKT_S7_PKT0_SA_PS5_SB_
	.p2align	8
	.type	_ZN2at6native12_GLOBAL__N_135GammaBetaBackwardCUDAKernelTemplateIN3c104HalfEfLj32ELj16ELj128ELb0ELb1ELb1EEEvllPKT_S7_PKT0_SA_PS5_SB_,@function
_ZN2at6native12_GLOBAL__N_135GammaBetaBackwardCUDAKernelTemplateIN3c104HalfEfLj32ELj16ELj128ELb0ELb1ELb1EEEvllPKT_S7_PKT0_SA_PS5_SB_: ; @_ZN2at6native12_GLOBAL__N_135GammaBetaBackwardCUDAKernelTemplateIN3c104HalfEfLj32ELj16ELj128ELb0ELb1ELb1EEEvllPKT_S7_PKT0_SA_PS5_SB_
; %bb.0:
	s_load_b128 s[4:7], s[0:1], 0x0
	s_mov_b32 s13, 0
	s_lshl_b32 s12, s15, 7
	v_bfe_u32 v7, v0, 10, 10
	s_waitcnt lgkmcnt(0)
	v_cmp_lt_i64_e64 s2, s[12:13], s[4:5]
	s_delay_alu instid0(VALU_DEP_1)
	s_and_b32 vcc_lo, exec_lo, s2
	s_cbranch_vccnz .LBB181_2
; %bb.1:
	v_bfe_u32 v1, v0, 10, 10
	s_mov_b32 s8, 0
	s_mov_b32 s9, s13
	s_branch .LBB181_3
.LBB181_2:
	s_mov_b32 s9, -1
                                        ; implicit-def: $sgpr8
                                        ; implicit-def: $vgpr1
.LBB181_3:
	s_load_b64 s[2:3], s[0:1], 0x30
	v_and_b32_e32 v6, 0x3ff, v0
	v_mov_b32_e32 v0, s8
	s_and_not1_b32 vcc_lo, exec_lo, s9
	s_cbranch_vccnz .LBB181_11
; %bb.4:
	s_clause 0x3
	s_load_b32 s15, s[0:1], 0x4c
	s_load_b32 s16, s[0:1], 0x44
	s_load_b128 s[8:11], s[0:1], 0x10
	s_load_b64 s[18:19], s[0:1], 0x28
	v_dual_mov_b32 v9, 4 :: v_dual_lshlrev_b32 v2, 3, v7
	v_dual_mov_b32 v8, 8 :: v_dual_mov_b32 v1, 0
	v_lshl_add_u32 v0, s14, 5, v6
	s_delay_alu instid0(VALU_DEP_3) | instskip(NEXT) | instid1(VALU_DEP_1)
	v_add_co_u32 v2, s1, v2, s12
	v_add_co_ci_u32_e64 v3, null, 0, 0, s1
	s_delay_alu instid0(VALU_DEP_3) | instskip(NEXT) | instid1(VALU_DEP_3)
	v_lshlrev_b64 v[15:16], 1, v[0:1]
	v_mul_lo_u32 v17, s7, v2
	v_dual_mov_b32 v10, 12 :: v_dual_mov_b32 v11, 16
	s_delay_alu instid0(VALU_DEP_4)
	v_mul_lo_u32 v18, s6, v3
	v_dual_mov_b32 v13, 24 :: v_dual_mov_b32 v14, 28
	s_waitcnt lgkmcnt(0)
	s_and_b32 s0, s15, 0xffff
	s_lshl_b32 s16, s16, 7
	v_mad_u32_u24 v4, v7, s0, v6
	v_mov_b32_e32 v12, 20
	s_mul_i32 s1, s7, s16
	s_mul_hi_u32 s15, s6, s16
	s_delay_alu instid0(VALU_DEP_2) | instskip(SKIP_3) | instid1(VALU_DEP_2)
	v_dual_mov_b32 v0, 0 :: v_dual_and_b32 v21, 31, v4
	v_mad_u64_u32 v[4:5], null, s6, v2, 0
	s_mov_b32 s17, 0
	s_add_i32 s21, s15, s1
	v_add_co_u32 v2, vcc_lo, v2, v21
	v_add_co_ci_u32_e32 v3, vcc_lo, 0, v3, vcc_lo
	s_delay_alu instid0(VALU_DEP_3) | instskip(SKIP_2) | instid1(VALU_DEP_3)
	v_add3_u32 v5, v5, v18, v17
	v_cmp_gt_u32_e64 s0, 8, v21
	s_mul_i32 s20, s6, s16
	v_lshlrev_b64 v[17:18], 2, v[2:3]
	s_lshl_b64 s[20:21], s[20:21], 1
	v_lshlrev_b64 v[19:20], 1, v[4:5]
	s_lshl_b64 s[6:7], s[6:7], 1
	s_delay_alu instid0(VALU_DEP_2) | instskip(NEXT) | instid1(VALU_DEP_3)
	v_add_co_u32 v4, vcc_lo, s18, v17
	v_add_co_ci_u32_e32 v5, vcc_lo, s19, v18, vcc_lo
	s_delay_alu instid0(VALU_DEP_3) | instskip(NEXT) | instid1(VALU_DEP_4)
	v_add_co_u32 v15, vcc_lo, v19, v15
	v_add_co_ci_u32_e32 v16, vcc_lo, v20, v16, vcc_lo
	s_lshl_b64 s[18:19], s[16:17], 2
	s_branch .LBB181_7
.LBB181_5:                              ;   in Loop: Header=BB181_7 Depth=1
	s_or_b32 exec_lo, exec_lo, s15
.LBB181_6:                              ;   in Loop: Header=BB181_7 Depth=1
	s_delay_alu instid0(SALU_CYCLE_1) | instskip(SKIP_4) | instid1(VALU_DEP_4)
	s_or_b32 exec_lo, exec_lo, s1
	v_add_co_u32 v18, vcc_lo, s8, v15
	v_add_co_ci_u32_e32 v19, vcc_lo, s9, v16, vcc_lo
	v_add_co_u32 v20, vcc_lo, s10, v15
	v_add_co_ci_u32_e32 v21, vcc_lo, s11, v16, vcc_lo
	v_add_co_u32 v22, vcc_lo, v18, s6
	s_delay_alu instid0(VALU_DEP_4)
	v_add_co_ci_u32_e32 v23, vcc_lo, s7, v19, vcc_lo
	global_load_u16 v28, v[18:19], off
	global_load_u16 v29, v[20:21], off
	;; [unrolled: 1-line block ×3, first 2 shown]
	v_add_co_u32 v18, vcc_lo, v20, s6
	v_add_co_ci_u32_e32 v19, vcc_lo, s7, v21, vcc_lo
	v_add_co_u32 v20, vcc_lo, v22, s6
	v_add_co_ci_u32_e32 v21, vcc_lo, s7, v23, vcc_lo
	s_delay_alu instid0(VALU_DEP_4) | instskip(NEXT) | instid1(VALU_DEP_4)
	v_add_co_u32 v22, vcc_lo, v18, s6
	v_add_co_ci_u32_e32 v23, vcc_lo, s7, v19, vcc_lo
	s_delay_alu instid0(VALU_DEP_4) | instskip(NEXT) | instid1(VALU_DEP_4)
	;; [unrolled: 3-line block ×3, first 2 shown]
	v_add_co_u32 v26, vcc_lo, v22, s6
	v_add_co_ci_u32_e32 v27, vcc_lo, s7, v23, vcc_lo
	global_load_u16 v31, v[18:19], off
	global_load_u16 v32, v[20:21], off
	global_load_u16 v33, v[22:23], off
	global_load_u16 v34, v[24:25], off
	global_load_u16 v35, v[26:27], off
	v_add_co_u32 v18, vcc_lo, v24, s6
	v_add_co_ci_u32_e32 v19, vcc_lo, s7, v25, vcc_lo
	v_add_co_u32 v20, vcc_lo, v26, s6
	v_add_co_ci_u32_e32 v21, vcc_lo, s7, v27, vcc_lo
	s_delay_alu instid0(VALU_DEP_4) | instskip(NEXT) | instid1(VALU_DEP_4)
	v_add_co_u32 v22, vcc_lo, v18, s6
	v_add_co_ci_u32_e32 v23, vcc_lo, s7, v19, vcc_lo
	s_delay_alu instid0(VALU_DEP_4) | instskip(NEXT) | instid1(VALU_DEP_4)
	v_add_co_u32 v24, vcc_lo, v20, s6
	v_add_co_ci_u32_e32 v25, vcc_lo, s7, v21, vcc_lo
	s_delay_alu instid0(VALU_DEP_4) | instskip(NEXT) | instid1(VALU_DEP_4)
	v_add_co_u32 v26, vcc_lo, v22, s6
	v_add_co_ci_u32_e32 v27, vcc_lo, s7, v23, vcc_lo
	global_load_u16 v36, v[18:19], off
	global_load_u16 v37, v[20:21], off
	;; [unrolled: 1-line block ×5, first 2 shown]
	v_add_co_u32 v18, vcc_lo, v24, s6
	v_add_co_ci_u32_e32 v19, vcc_lo, s7, v25, vcc_lo
	v_add_co_u32 v20, vcc_lo, v26, s6
	v_add_co_ci_u32_e32 v21, vcc_lo, s7, v27, vcc_lo
	s_delay_alu instid0(VALU_DEP_4) | instskip(NEXT) | instid1(VALU_DEP_4)
	v_add_co_u32 v22, vcc_lo, v18, s6
	v_add_co_ci_u32_e32 v23, vcc_lo, s7, v19, vcc_lo
	global_load_u16 v18, v[18:19], off
	global_load_u16 v19, v[20:21], off
	;; [unrolled: 1-line block ×3, first 2 shown]
	s_waitcnt vmcnt(16)
	ds_bpermute_b32 v21, v1, v17
	ds_bpermute_b32 v22, v9, v17
	;; [unrolled: 1-line block ×4, first 2 shown]
	v_add_co_u32 v4, vcc_lo, v4, s18
	s_add_u32 s12, s12, s16
	v_add_co_ci_u32_e32 v5, vcc_lo, s19, v5, vcc_lo
	s_addc_u32 s13, s13, 0
	v_add_co_u32 v2, vcc_lo, v2, s16
	v_add_co_ci_u32_e32 v3, vcc_lo, 0, v3, vcc_lo
	v_cmp_lt_i64_e64 s1, s[12:13], s[4:5]
	v_add_co_u32 v15, vcc_lo, v15, s20
	v_add_co_ci_u32_e32 v16, vcc_lo, s21, v16, vcc_lo
	s_delay_alu instid0(VALU_DEP_3)
	s_and_b32 vcc_lo, exec_lo, s1
	s_waitcnt vmcnt(15)
	v_cvt_f32_f16_e32 v23, v28
	s_waitcnt vmcnt(14)
	v_cvt_f32_f16_e32 v24, v29
	;; [unrolled: 2-line block ×3, first 2 shown]
	s_delay_alu instid0(VALU_DEP_2)
	v_mul_f32_e32 v23, v23, v24
	s_waitcnt vmcnt(12)
	v_cvt_f32_f16_e32 v24, v31
	s_waitcnt vmcnt(11)
	v_cvt_f32_f16_e32 v28, v32
	s_waitcnt lgkmcnt(3)
	v_fmac_f32_e32 v0, v23, v21
	s_waitcnt vmcnt(10)
	v_cvt_f32_f16_e32 v23, v33
	s_waitcnt vmcnt(9)
	v_cvt_f32_f16_e32 v29, v34
	v_mul_f32_e32 v21, v26, v24
	ds_bpermute_b32 v24, v11, v17
	ds_bpermute_b32 v26, v12, v17
	s_waitcnt lgkmcnt(4)
	v_fmac_f32_e32 v0, v21, v22
	s_waitcnt vmcnt(8)
	v_cvt_f32_f16_e32 v22, v35
	s_waitcnt vmcnt(2)
	v_cvt_f32_f16_e32 v18, v18
	v_mul_f32_e32 v21, v28, v23
	ds_bpermute_b32 v23, v13, v17
	v_cvt_f32_f16_e32 v28, v36
	ds_bpermute_b32 v17, v14, v17
	s_waitcnt vmcnt(1)
	v_cvt_f32_f16_e32 v19, v19
	s_waitcnt lgkmcnt(5)
	v_fmac_f32_e32 v0, v21, v25
	v_mul_f32_e32 v21, v29, v22
	v_cvt_f32_f16_e32 v22, v37
	v_cvt_f32_f16_e32 v25, v38
	;; [unrolled: 1-line block ×3, first 2 shown]
	s_waitcnt vmcnt(0)
	v_cvt_f32_f16_e32 v20, v20
	s_waitcnt lgkmcnt(4)
	v_dual_fmac_f32 v0, v21, v27 :: v_dual_mul_f32 v21, v28, v22
	v_cvt_f32_f16_e32 v22, v40
	s_waitcnt lgkmcnt(3)
	s_delay_alu instid0(VALU_DEP_2) | instskip(NEXT) | instid1(VALU_DEP_2)
	v_fmac_f32_e32 v0, v21, v24
	v_dual_mul_f32 v21, v25, v29 :: v_dual_mul_f32 v18, v22, v18
	s_waitcnt lgkmcnt(2)
	s_delay_alu instid0(VALU_DEP_1) | instskip(SKIP_1) | instid1(VALU_DEP_1)
	v_fmac_f32_e32 v0, v21, v26
	s_waitcnt lgkmcnt(1)
	v_fmac_f32_e32 v0, v18, v23
	v_mul_f32_e32 v18, v19, v20
	s_waitcnt lgkmcnt(0)
	s_delay_alu instid0(VALU_DEP_1)
	v_fmac_f32_e32 v0, v18, v17
	s_cbranch_vccz .LBB181_10
.LBB181_7:                              ; =>This Inner Loop Header: Depth=1
	v_mov_b32_e32 v17, 0
	s_and_saveexec_b32 s1, s0
	s_cbranch_execz .LBB181_6
; %bb.8:                                ;   in Loop: Header=BB181_7 Depth=1
	v_mov_b32_e32 v17, 0
	s_mov_b32 s15, exec_lo
	v_cmpx_gt_i64_e64 s[4:5], v[2:3]
	s_cbranch_execz .LBB181_5
; %bb.9:                                ;   in Loop: Header=BB181_7 Depth=1
	global_load_b32 v17, v[4:5], off
	s_branch .LBB181_5
.LBB181_10:
	v_mov_b32_e32 v1, v7
.LBB181_11:
	s_delay_alu instid0(VALU_DEP_2) | instskip(NEXT) | instid1(VALU_DEP_2)
	v_lshrrev_b32_e32 v4, 5, v6
	v_mad_u32_u24 v2, v1, 33, v6
	v_mov_b32_e32 v3, 0
	s_mov_b32 s15, 0
	s_mov_b32 s0, exec_lo
	v_add_nc_u32_e32 v7, v4, v1
	v_lshl_add_u32 v2, v2, 2, 0
	ds_store_b32 v2, v0
	ds_store_b32 v2, v3 offset:2112
	s_waitcnt lgkmcnt(0)
	s_barrier
	buffer_gl0_inv
	v_cmpx_gt_u32_e32 32, v7
	s_cbranch_execz .LBB181_18
; %bb.12:
	v_mbcnt_lo_u32_b32 v0, -1, 0
	v_cmp_eq_u32_e64 s0, 0, v6
	s_cmp_lg_u64 s[2:3], 0
	v_and_b32_e32 v2, 31, v6
	s_cselect_b32 s1, -1, 0
	v_xor_b32_e32 v3, 8, v0
	v_xor_b32_e32 v5, 4, v0
	s_and_b32 s1, s0, s1
	v_xor_b32_e32 v6, 2, v0
	v_xor_b32_e32 v9, 1, v0
	v_cmp_gt_i32_e64 s0, 32, v3
	v_cmp_gt_u32_e32 vcc_lo, 16, v2
	v_mul_u32_u24_e32 v8, 0x84, v2
	s_lshl_b64 s[4:5], s[14:15], 6
	s_delay_alu instid0(VALU_DEP_3) | instskip(SKIP_1) | instid1(VALU_DEP_2)
	v_cndmask_b32_e64 v3, v0, v3, s0
	v_cmp_gt_i32_e64 s0, 32, v5
	v_lshlrev_b32_e32 v2, 2, v3
	s_delay_alu instid0(VALU_DEP_2) | instskip(SKIP_1) | instid1(VALU_DEP_2)
	v_cndmask_b32_e64 v5, v0, v5, s0
	v_cmp_gt_i32_e64 s0, 32, v6
	v_lshlrev_b32_e32 v3, 2, v5
	s_delay_alu instid0(VALU_DEP_2) | instskip(SKIP_1) | instid1(VALU_DEP_1)
	v_cndmask_b32_e64 v5, v0, v6, s0
	v_cmp_gt_i32_e64 s0, 32, v9
	v_cndmask_b32_e64 v6, v0, v9, s0
	v_add_co_u32 v0, s0, v4, v1
	s_delay_alu instid0(VALU_DEP_1) | instskip(SKIP_3) | instid1(VALU_DEP_2)
	v_add_co_ci_u32_e64 v1, null, 0, 0, s0
	v_lshlrev_b32_e32 v9, 2, v7
	s_add_u32 s0, s2, s4
	s_addc_u32 s2, s3, s5
	v_lshlrev_b64 v[0:1], 1, v[0:1]
	v_lshlrev_b32_e32 v4, 2, v5
	v_lshlrev_b32_e32 v5, 2, v6
	v_add3_u32 v6, v8, v9, 0
	v_add_nc_u32_e32 v7, -16, v7
                                        ; implicit-def: $vgpr8
	v_add_co_u32 v0, s0, s0, v0
	s_delay_alu instid0(VALU_DEP_1)
	v_add_co_ci_u32_e64 v1, s0, s2, v1, s0
	s_set_inst_prefetch_distance 0x1
	s_branch .LBB181_14
	.p2align	6
.LBB181_13:                             ;   in Loop: Header=BB181_14 Depth=1
	s_or_b32 exec_lo, exec_lo, s0
	v_add_co_u32 v7, s0, v7, 16
	s_delay_alu instid0(VALU_DEP_1) | instskip(SKIP_4) | instid1(SALU_CYCLE_1)
	s_xor_b32 s2, s0, -1
	v_add_co_u32 v0, s0, v0, 32
	v_add_nc_u32_e32 v6, 64, v6
	v_add_co_ci_u32_e64 v1, s0, 0, v1, s0
	s_and_b32 s0, exec_lo, s2
	s_or_b32 s15, s0, s15
	s_delay_alu instid0(SALU_CYCLE_1)
	s_and_not1_b32 exec_lo, exec_lo, s15
	s_cbranch_execz .LBB181_18
.LBB181_14:                             ; =>This Inner Loop Header: Depth=1
	s_and_saveexec_b32 s0, vcc_lo
	s_cbranch_execz .LBB181_16
; %bb.15:                               ;   in Loop: Header=BB181_14 Depth=1
	ds_load_b32 v8, v6
.LBB181_16:                             ;   in Loop: Header=BB181_14 Depth=1
	s_or_b32 exec_lo, exec_lo, s0
	s_waitcnt lgkmcnt(0)
	ds_bpermute_b32 v9, v2, v8
	s_waitcnt lgkmcnt(0)
	v_add_f32_e32 v8, v8, v9
	ds_bpermute_b32 v9, v3, v8
	s_waitcnt lgkmcnt(0)
	v_add_f32_e32 v8, v8, v9
	;; [unrolled: 3-line block ×4, first 2 shown]
	s_and_saveexec_b32 s0, s1
	s_cbranch_execz .LBB181_13
; %bb.17:                               ;   in Loop: Header=BB181_14 Depth=1
	s_delay_alu instid0(VALU_DEP_1)
	v_cvt_f16_f32_e32 v9, v8
	global_store_b16 v[0:1], v9, off
	s_branch .LBB181_13
.LBB181_18:
	s_set_inst_prefetch_distance 0x2
	s_nop 0
	s_sendmsg sendmsg(MSG_DEALLOC_VGPRS)
	s_endpgm
	.section	.rodata,"a",@progbits
	.p2align	6, 0x0
	.amdhsa_kernel _ZN2at6native12_GLOBAL__N_135GammaBetaBackwardCUDAKernelTemplateIN3c104HalfEfLj32ELj16ELj128ELb0ELb1ELb1EEEvllPKT_S7_PKT0_SA_PS5_SB_
		.amdhsa_group_segment_fixed_size 0
		.amdhsa_private_segment_fixed_size 0
		.amdhsa_kernarg_size 320
		.amdhsa_user_sgpr_count 14
		.amdhsa_user_sgpr_dispatch_ptr 0
		.amdhsa_user_sgpr_queue_ptr 0
		.amdhsa_user_sgpr_kernarg_segment_ptr 1
		.amdhsa_user_sgpr_dispatch_id 0
		.amdhsa_user_sgpr_private_segment_size 0
		.amdhsa_wavefront_size32 1
		.amdhsa_uses_dynamic_stack 0
		.amdhsa_enable_private_segment 0
		.amdhsa_system_sgpr_workgroup_id_x 1
		.amdhsa_system_sgpr_workgroup_id_y 1
		.amdhsa_system_sgpr_workgroup_id_z 0
		.amdhsa_system_sgpr_workgroup_info 0
		.amdhsa_system_vgpr_workitem_id 1
		.amdhsa_next_free_vgpr 41
		.amdhsa_next_free_sgpr 22
		.amdhsa_reserve_vcc 1
		.amdhsa_float_round_mode_32 0
		.amdhsa_float_round_mode_16_64 0
		.amdhsa_float_denorm_mode_32 3
		.amdhsa_float_denorm_mode_16_64 3
		.amdhsa_dx10_clamp 1
		.amdhsa_ieee_mode 1
		.amdhsa_fp16_overflow 0
		.amdhsa_workgroup_processor_mode 1
		.amdhsa_memory_ordered 1
		.amdhsa_forward_progress 0
		.amdhsa_shared_vgpr_count 0
		.amdhsa_exception_fp_ieee_invalid_op 0
		.amdhsa_exception_fp_denorm_src 0
		.amdhsa_exception_fp_ieee_div_zero 0
		.amdhsa_exception_fp_ieee_overflow 0
		.amdhsa_exception_fp_ieee_underflow 0
		.amdhsa_exception_fp_ieee_inexact 0
		.amdhsa_exception_int_div_zero 0
	.end_amdhsa_kernel
	.section	.text._ZN2at6native12_GLOBAL__N_135GammaBetaBackwardCUDAKernelTemplateIN3c104HalfEfLj32ELj16ELj128ELb0ELb1ELb1EEEvllPKT_S7_PKT0_SA_PS5_SB_,"axG",@progbits,_ZN2at6native12_GLOBAL__N_135GammaBetaBackwardCUDAKernelTemplateIN3c104HalfEfLj32ELj16ELj128ELb0ELb1ELb1EEEvllPKT_S7_PKT0_SA_PS5_SB_,comdat
.Lfunc_end181:
	.size	_ZN2at6native12_GLOBAL__N_135GammaBetaBackwardCUDAKernelTemplateIN3c104HalfEfLj32ELj16ELj128ELb0ELb1ELb1EEEvllPKT_S7_PKT0_SA_PS5_SB_, .Lfunc_end181-_ZN2at6native12_GLOBAL__N_135GammaBetaBackwardCUDAKernelTemplateIN3c104HalfEfLj32ELj16ELj128ELb0ELb1ELb1EEEvllPKT_S7_PKT0_SA_PS5_SB_
                                        ; -- End function
	.section	.AMDGPU.csdata,"",@progbits
; Kernel info:
; codeLenInByte = 1664
; NumSgprs: 24
; NumVgprs: 41
; ScratchSize: 0
; MemoryBound: 0
; FloatMode: 240
; IeeeMode: 1
; LDSByteSize: 0 bytes/workgroup (compile time only)
; SGPRBlocks: 2
; VGPRBlocks: 5
; NumSGPRsForWavesPerEU: 24
; NumVGPRsForWavesPerEU: 41
; Occupancy: 16
; WaveLimiterHint : 0
; COMPUTE_PGM_RSRC2:SCRATCH_EN: 0
; COMPUTE_PGM_RSRC2:USER_SGPR: 14
; COMPUTE_PGM_RSRC2:TRAP_HANDLER: 0
; COMPUTE_PGM_RSRC2:TGID_X_EN: 1
; COMPUTE_PGM_RSRC2:TGID_Y_EN: 1
; COMPUTE_PGM_RSRC2:TGID_Z_EN: 0
; COMPUTE_PGM_RSRC2:TIDIG_COMP_CNT: 1
	.section	.text._ZN2at6native12_GLOBAL__N_135GammaBetaBackwardCUDAKernelTemplateIN3c104HalfEfLj32ELj16ELj128ELb0ELb0ELb1EEEvllPKT_S7_PKT0_SA_PS5_SB_,"axG",@progbits,_ZN2at6native12_GLOBAL__N_135GammaBetaBackwardCUDAKernelTemplateIN3c104HalfEfLj32ELj16ELj128ELb0ELb0ELb1EEEvllPKT_S7_PKT0_SA_PS5_SB_,comdat
	.globl	_ZN2at6native12_GLOBAL__N_135GammaBetaBackwardCUDAKernelTemplateIN3c104HalfEfLj32ELj16ELj128ELb0ELb0ELb1EEEvllPKT_S7_PKT0_SA_PS5_SB_ ; -- Begin function _ZN2at6native12_GLOBAL__N_135GammaBetaBackwardCUDAKernelTemplateIN3c104HalfEfLj32ELj16ELj128ELb0ELb0ELb1EEEvllPKT_S7_PKT0_SA_PS5_SB_
	.p2align	8
	.type	_ZN2at6native12_GLOBAL__N_135GammaBetaBackwardCUDAKernelTemplateIN3c104HalfEfLj32ELj16ELj128ELb0ELb0ELb1EEEvllPKT_S7_PKT0_SA_PS5_SB_,@function
_ZN2at6native12_GLOBAL__N_135GammaBetaBackwardCUDAKernelTemplateIN3c104HalfEfLj32ELj16ELj128ELb0ELb0ELb1EEEvllPKT_S7_PKT0_SA_PS5_SB_: ; @_ZN2at6native12_GLOBAL__N_135GammaBetaBackwardCUDAKernelTemplateIN3c104HalfEfLj32ELj16ELj128ELb0ELb0ELb1EEEvllPKT_S7_PKT0_SA_PS5_SB_
; %bb.0:
	s_clause 0x1
	s_load_b256 s[4:11], s[0:1], 0x0
	s_load_b64 s[12:13], s[0:1], 0x28
	s_lshl_b32 s33, s14, 5
	s_mov_b32 s25, 0
	s_or_b32 s24, s33, 31
	s_waitcnt lgkmcnt(0)
	v_cmp_ge_i64_e64 s2, s[24:25], s[6:7]
	s_lshl_b32 s24, s15, 7
	s_delay_alu instid0(SALU_CYCLE_1) | instskip(NEXT) | instid1(VALU_DEP_2)
	v_cmp_lt_i64_e64 s15, s[24:25], s[4:5]
	s_and_b32 vcc_lo, exec_lo, s2
	s_delay_alu instid0(VALU_DEP_1) | instskip(NEXT) | instid1(VALU_DEP_1)
	v_cndmask_b32_e64 v1, 0, 1, s15
	v_cmp_ne_u32_e64 s2, 1, v1
	s_cbranch_vccz .LBB182_49
; %bb.1:
	v_mov_b32_e32 v1, 0
	s_delay_alu instid0(VALU_DEP_2)
	s_and_b32 vcc_lo, exec_lo, s2
	s_cbranch_vccnz .LBB182_50
; %bb.2:
	v_bfe_u32 v27, v0, 10, 10
	s_load_b32 s3, s[0:1], 0x44
	v_dual_mov_b32 v2, 0 :: v_dual_and_b32 v29, 0x3ff, v0
	s_add_u32 s26, s0, 64
	s_delay_alu instid0(VALU_DEP_2) | instskip(NEXT) | instid1(VALU_DEP_2)
	v_lshlrev_b32_e32 v28, 3, v27
	v_dual_mov_b32 v62, 0 :: v_dual_add_nc_u32 v1, s33, v29
	s_addc_u32 s27, s1, 0
	s_mov_b32 s16, 0
	s_delay_alu instid0(VALU_DEP_2) | instskip(NEXT) | instid1(VALU_DEP_1)
	v_add_co_u32 v9, s2, v28, s24
	v_add_co_ci_u32_e64 v10, null, 0, 0, s2
	v_cmp_gt_i64_e64 s2, s[6:7], v[1:2]
	s_delay_alu instid0(VALU_DEP_3) | instskip(NEXT) | instid1(VALU_DEP_3)
	v_add_co_u32 v5, vcc_lo, v9, 7
	v_add_co_ci_u32_e32 v3, vcc_lo, 0, v10, vcc_lo
	v_add_co_u32 v8, vcc_lo, v9, 6
	s_delay_alu instid0(VALU_DEP_3) | instskip(NEXT) | instid1(VALU_DEP_3)
	v_mul_lo_u32 v6, s7, v5
	v_mul_lo_u32 v7, s6, v3
	v_mad_u64_u32 v[3:4], null, s6, v5, 0
	v_add_co_ci_u32_e32 v5, vcc_lo, 0, v10, vcc_lo
	v_lshlrev_b64 v[25:26], 1, v[1:2]
	v_mul_lo_u32 v1, s7, v8
	s_waitcnt lgkmcnt(0)
	s_lshl_b32 s36, s3, 7
	s_mov_b64 s[34:35], s[24:25]
	s_delay_alu instid0(VALU_DEP_4) | instskip(SKIP_3) | instid1(VALU_DEP_3)
	v_add3_u32 v4, v4, v7, v6
	v_mul_lo_u32 v7, s6, v5
	v_mad_u64_u32 v[5:6], null, s6, v8, 0
	s_mul_i32 s3, s7, s36
	v_lshlrev_b64 v[3:4], 1, v[3:4]
	s_mul_hi_u32 s17, s6, s36
	s_mul_i32 s18, s6, s36
	s_add_i32 s19, s17, s3
	s_delay_alu instid0(VALU_DEP_2) | instskip(NEXT) | instid1(VALU_DEP_2)
	v_add3_u32 v6, v6, v7, v1
	v_add_co_u32 v30, vcc_lo, s8, v3
	v_add_co_ci_u32_e32 v31, vcc_lo, s9, v4, vcc_lo
	v_add_co_u32 v1, vcc_lo, v9, 5
	v_add_co_u32 v32, s3, s10, v3
	s_delay_alu instid0(VALU_DEP_1) | instskip(SKIP_4) | instid1(VALU_DEP_3)
	v_add_co_ci_u32_e64 v33, s3, s11, v4, s3
	v_lshlrev_b64 v[3:4], 1, v[5:6]
	v_add_co_ci_u32_e32 v5, vcc_lo, 0, v10, vcc_lo
	v_add_co_u32 v12, vcc_lo, v9, 4
	v_mul_lo_u32 v11, s7, v1
	v_mul_lo_u32 v13, s6, v5
	v_mad_u64_u32 v[5:6], null, s6, v1, 0
	v_add_co_ci_u32_e32 v7, vcc_lo, 0, v10, vcc_lo
	v_mul_lo_u32 v1, s7, v12
	v_add_co_u32 v34, vcc_lo, s8, v3
	s_delay_alu instid0(VALU_DEP_3)
	v_mul_lo_u32 v14, s6, v7
	v_mad_u64_u32 v[7:8], null, s6, v12, 0
	v_add3_u32 v6, v6, v13, v11
	v_add_co_ci_u32_e32 v35, vcc_lo, s9, v4, vcc_lo
	v_add_co_u32 v36, vcc_lo, s10, v3
	v_add_co_ci_u32_e32 v37, vcc_lo, s11, v4, vcc_lo
	s_delay_alu instid0(VALU_DEP_4) | instskip(SKIP_3) | instid1(VALU_DEP_4)
	v_lshlrev_b64 v[3:4], 1, v[5:6]
	v_add3_u32 v8, v8, v14, v1
	v_add_co_u32 v1, vcc_lo, v9, 3
	v_add_co_ci_u32_e32 v11, vcc_lo, 0, v10, vcc_lo
	v_add_co_u32 v38, vcc_lo, s8, v3
	s_delay_alu instid0(VALU_DEP_4)
	v_lshlrev_b64 v[5:6], 1, v[7:8]
	v_add_co_ci_u32_e32 v39, vcc_lo, s9, v4, vcc_lo
	v_mul_lo_u32 v12, s7, v1
	v_mul_lo_u32 v11, s6, v11
	v_mad_u64_u32 v[7:8], null, s6, v1, 0
	v_add_co_u32 v40, vcc_lo, s10, v3
	v_add_co_ci_u32_e32 v41, vcc_lo, s11, v4, vcc_lo
	v_add_co_u32 v42, vcc_lo, s8, v5
	v_add_co_ci_u32_e32 v43, vcc_lo, s9, v6, vcc_lo
	v_add_co_u32 v1, vcc_lo, v9, 2
	v_add3_u32 v8, v8, v11, v12
	v_add_co_ci_u32_e32 v11, vcc_lo, 0, v10, vcc_lo
	v_add_co_u32 v44, vcc_lo, s10, v5
	v_add_co_ci_u32_e32 v45, vcc_lo, s11, v6, vcc_lo
	v_mul_lo_u32 v12, s7, v1
	s_delay_alu instid0(VALU_DEP_4)
	v_mul_lo_u32 v11, s6, v11
	v_mad_u64_u32 v[5:6], null, s6, v1, 0
	v_lshlrev_b64 v[3:4], 1, v[7:8]
	v_mul_lo_u32 v1, s7, v9
	v_mul_lo_u32 v10, s6, v10
	v_mad_u64_u32 v[7:8], null, s6, v9, 0
	s_lshl_b64 s[28:29], s[18:19], 1
	s_delay_alu instid0(VALU_DEP_4)
	v_add_co_u32 v46, vcc_lo, s8, v3
	v_add3_u32 v6, v6, v11, v12
	v_add_co_ci_u32_e32 v47, vcc_lo, s9, v4, vcc_lo
	v_add_co_u32 v48, vcc_lo, s10, v3
	v_add3_u32 v8, v8, v10, v1
	v_add_co_ci_u32_e32 v49, vcc_lo, s11, v4, vcc_lo
	v_lshlrev_b64 v[3:4], 1, v[5:6]
	v_add_co_u32 v5, vcc_lo, v7, s6
	s_delay_alu instid0(VALU_DEP_4) | instskip(SKIP_1) | instid1(VALU_DEP_3)
	v_add_co_ci_u32_e32 v6, vcc_lo, s7, v8, vcc_lo
	s_add_u32 s30, s24, 0x7f
	v_add_co_u32 v50, vcc_lo, s8, v3
	s_delay_alu instid0(VALU_DEP_2) | instskip(SKIP_3) | instid1(VALU_DEP_4)
	v_lshlrev_b64 v[5:6], 1, v[5:6]
	v_add_co_ci_u32_e32 v51, vcc_lo, s9, v4, vcc_lo
	v_add_co_u32 v52, vcc_lo, s10, v3
	v_add_co_ci_u32_e32 v53, vcc_lo, s11, v4, vcc_lo
	v_add_co_u32 v54, vcc_lo, s8, v5
	v_lshlrev_b64 v[3:4], 1, v[7:8]
	v_add_co_ci_u32_e32 v55, vcc_lo, s9, v6, vcc_lo
	v_add_co_u32 v56, vcc_lo, s10, v5
	v_add_co_ci_u32_e32 v57, vcc_lo, s11, v6, vcc_lo
	s_delay_alu instid0(VALU_DEP_4)
	v_add_co_u32 v58, vcc_lo, s8, v3
	v_add_co_ci_u32_e32 v59, vcc_lo, s9, v4, vcc_lo
	v_add_co_u32 v60, vcc_lo, s10, v3
	v_add_co_ci_u32_e32 v61, vcc_lo, s11, v4, vcc_lo
	s_addc_u32 s31, 0, 0
.LBB182_3:                              ; =>This Inner Loop Header: Depth=1
	s_delay_alu instid0(SALU_CYCLE_1) | instskip(SKIP_1) | instid1(VALU_DEP_1)
	v_cmp_ge_i64_e64 s3, s[30:31], s[4:5]
	v_add_co_u32 v63, s17, v28, s30
	v_add_co_ci_u32_e64 v64, null, 0, s31, s17
	s_delay_alu instid0(VALU_DEP_3)
	s_and_b32 vcc_lo, exec_lo, s3
	s_cbranch_vccz .LBB182_25
; %bb.4:                                ;   in Loop: Header=BB182_3 Depth=1
	s_load_b32 s3, s[26:27], 0xc
	v_mov_b32_e32 v65, 0
	s_waitcnt lgkmcnt(0)
	s_and_b32 s3, s3, 0xffff
	s_delay_alu instid0(SALU_CYCLE_1) | instskip(SKIP_1) | instid1(VALU_DEP_1)
	v_mad_u32_u24 v1, v27, s3, v29
	s_mov_b32 s3, exec_lo
	v_and_b32_e32 v1, 31, v1
	s_delay_alu instid0(VALU_DEP_1)
	v_cmpx_gt_u32_e32 8, v1
	s_cbranch_execz .LBB182_8
; %bb.5:                                ;   in Loop: Header=BB182_3 Depth=1
	v_add_co_u32 v1, vcc_lo, v63, v1
	v_add_co_ci_u32_e32 v4, vcc_lo, 0, v64, vcc_lo
	v_mov_b32_e32 v65, 0
	s_delay_alu instid0(VALU_DEP_3) | instskip(NEXT) | instid1(VALU_DEP_3)
	v_add_co_u32 v3, vcc_lo, 0xffffff81, v1
	v_add_co_ci_u32_e32 v4, vcc_lo, -1, v4, vcc_lo
	s_mov_b32 s17, exec_lo
	s_delay_alu instid0(VALU_DEP_1)
	v_cmpx_gt_i64_e64 s[4:5], v[3:4]
	s_cbranch_execz .LBB182_7
; %bb.6:                                ;   in Loop: Header=BB182_3 Depth=1
	v_lshlrev_b64 v[3:4], 2, v[3:4]
	s_delay_alu instid0(VALU_DEP_1) | instskip(NEXT) | instid1(VALU_DEP_2)
	v_add_co_u32 v3, vcc_lo, s12, v3
	v_add_co_ci_u32_e32 v4, vcc_lo, s13, v4, vcc_lo
	global_load_b32 v65, v[3:4], off
.LBB182_7:                              ;   in Loop: Header=BB182_3 Depth=1
	s_or_b32 exec_lo, exec_lo, s17
.LBB182_8:                              ;   in Loop: Header=BB182_3 Depth=1
	s_delay_alu instid0(SALU_CYCLE_1)
	s_or_b32 exec_lo, exec_lo, s3
	v_add_co_u32 v3, vcc_lo, 0xffffff81, v63
	v_add_co_ci_u32_e32 v4, vcc_lo, -1, v64, vcc_lo
	s_mov_b32 s22, s16
	s_mov_b32 s23, s16
	s_mov_b32 s17, s16
	s_mov_b32 s18, s16
	s_mov_b32 s19, s16
	s_mov_b32 s20, s16
	s_mov_b32 s21, s16
	v_dual_mov_b32 v9, s16 :: v_dual_mov_b32 v10, s17
	v_dual_mov_b32 v15, s22 :: v_dual_mov_b32 v16, s23
	;; [unrolled: 1-line block ×4, first 2 shown]
	v_cmp_gt_i64_e32 vcc_lo, s[4:5], v[3:4]
	s_delay_alu instid0(VALU_DEP_4) | instskip(NEXT) | instid1(VALU_DEP_3)
	v_dual_mov_b32 v24, v16 :: v_dual_mov_b32 v23, v15
	v_dual_mov_b32 v21, v13 :: v_dual_mov_b32 v22, v14
	;; [unrolled: 1-line block ×4, first 2 shown]
	s_and_b32 s17, s2, vcc_lo
	s_delay_alu instid0(SALU_CYCLE_1)
	s_and_saveexec_b32 s3, s17
	s_cbranch_execz .LBB182_10
; %bb.9:                                ;   in Loop: Header=BB182_3 Depth=1
	v_add_co_u32 v3, vcc_lo, v58, v25
	v_add_co_ci_u32_e32 v4, vcc_lo, v59, v26, vcc_lo
	v_add_co_u32 v5, vcc_lo, v60, v25
	v_add_co_ci_u32_e32 v6, vcc_lo, v61, v26, vcc_lo
	v_mov_b32_e32 v8, v2
	global_load_u16 v1, v[3:4], off
	global_load_u16 v9, v[5:6], off
	v_mov_b32_e32 v3, v2
	v_mov_b32_e32 v4, v2
	;; [unrolled: 1-line block ×6, first 2 shown]
	s_waitcnt vmcnt(1)
	v_cvt_f32_f16_e32 v1, v1
	v_dual_mov_b32 v11, v2 :: v_dual_mov_b32 v24, v8
	v_dual_mov_b32 v10, v2 :: v_dual_mov_b32 v23, v7
	s_waitcnt vmcnt(0)
	v_cvt_f32_f16_e32 v9, v9
	v_dual_mov_b32 v12, v2 :: v_dual_mov_b32 v21, v5
	v_dual_mov_b32 v13, v2 :: v_dual_mov_b32 v20, v4
	;; [unrolled: 1-line block ×4, first 2 shown]
	v_mov_b32_e32 v22, v6
	v_mov_b32_e32 v18, v2
.LBB182_10:                             ;   in Loop: Header=BB182_3 Depth=1
	s_or_b32 exec_lo, exec_lo, s3
	v_add_co_u32 v3, vcc_lo, 0xffffff82, v63
	v_add_co_ci_u32_e32 v4, vcc_lo, -1, v64, vcc_lo
	s_delay_alu instid0(VALU_DEP_1) | instskip(SKIP_1) | instid1(SALU_CYCLE_1)
	v_cmp_gt_i64_e32 vcc_lo, s[4:5], v[3:4]
	s_and_b32 s17, s2, vcc_lo
	s_and_saveexec_b32 s3, s17
	s_cbranch_execz .LBB182_12
; %bb.11:                               ;   in Loop: Header=BB182_3 Depth=1
	v_add_co_u32 v3, vcc_lo, v54, v25
	v_add_co_ci_u32_e32 v4, vcc_lo, v55, v26, vcc_lo
	v_add_co_u32 v5, vcc_lo, v56, v25
	v_add_co_ci_u32_e32 v6, vcc_lo, v57, v26, vcc_lo
	global_load_u16 v1, v[3:4], off
	global_load_u16 v3, v[5:6], off
	s_waitcnt vmcnt(1)
	v_cvt_f32_f16_e32 v18, v1
	s_waitcnt vmcnt(0)
	v_cvt_f32_f16_e32 v10, v3
.LBB182_12:                             ;   in Loop: Header=BB182_3 Depth=1
	s_or_b32 exec_lo, exec_lo, s3
	v_add_co_u32 v3, vcc_lo, 0xffffff83, v63
	v_add_co_ci_u32_e32 v4, vcc_lo, -1, v64, vcc_lo
	s_delay_alu instid0(VALU_DEP_1) | instskip(SKIP_1) | instid1(SALU_CYCLE_1)
	v_cmp_gt_i64_e32 vcc_lo, s[4:5], v[3:4]
	s_and_b32 s17, s2, vcc_lo
	s_and_saveexec_b32 s3, s17
	s_cbranch_execz .LBB182_14
; %bb.13:                               ;   in Loop: Header=BB182_3 Depth=1
	v_add_co_u32 v3, vcc_lo, v50, v25
	v_add_co_ci_u32_e32 v4, vcc_lo, v51, v26, vcc_lo
	v_add_co_u32 v5, vcc_lo, v52, v25
	v_add_co_ci_u32_e32 v6, vcc_lo, v53, v26, vcc_lo
	global_load_u16 v1, v[3:4], off
	global_load_u16 v3, v[5:6], off
	s_waitcnt vmcnt(1)
	v_cvt_f32_f16_e32 v19, v1
	s_waitcnt vmcnt(0)
	v_cvt_f32_f16_e32 v11, v3
.LBB182_14:                             ;   in Loop: Header=BB182_3 Depth=1
	;; [unrolled: 20-line block ×7, first 2 shown]
	s_or_b32 exec_lo, exec_lo, s3
	s_waitcnt vmcnt(0)
	ds_bpermute_b32 v1, v2, v65
	ds_bpermute_b32 v3, v2, v65 offset:4
	ds_bpermute_b32 v4, v2, v65 offset:8
	v_mul_f32_e32 v5, v9, v17
	ds_bpermute_b32 v6, v2, v65 offset:12
	v_mul_f32_e32 v7, v10, v18
	ds_bpermute_b32 v8, v2, v65 offset:16
	ds_bpermute_b32 v9, v2, v65 offset:20
	s_waitcnt lgkmcnt(5)
	v_fma_f32 v1, v5, v1, v62
	v_mul_f32_e32 v5, v11, v19
	s_waitcnt lgkmcnt(4)
	s_delay_alu instid0(VALU_DEP_2) | instskip(SKIP_2) | instid1(VALU_DEP_2)
	v_fmac_f32_e32 v1, v7, v3
	v_mul_f32_e32 v3, v12, v20
	s_waitcnt lgkmcnt(3)
	v_fmac_f32_e32 v1, v5, v4
	ds_bpermute_b32 v4, v2, v65 offset:24
	v_mul_f32_e32 v5, v13, v21
	s_waitcnt lgkmcnt(3)
	v_fmac_f32_e32 v1, v3, v6
	v_mul_f32_e32 v6, v14, v22
	ds_bpermute_b32 v3, v2, v65 offset:28
	s_waitcnt lgkmcnt(3)
	v_fmac_f32_e32 v1, v5, v8
	v_mul_f32_e32 v5, v15, v23
	s_waitcnt lgkmcnt(2)
	s_delay_alu instid0(VALU_DEP_2) | instskip(SKIP_1) | instid1(VALU_DEP_1)
	v_fmac_f32_e32 v1, v6, v9
	s_waitcnt lgkmcnt(1)
	v_fmac_f32_e32 v1, v5, v4
	s_branch .LBB182_40
.LBB182_25:                             ;   in Loop: Header=BB182_3 Depth=1
                                        ; implicit-def: $vgpr1
                                        ; implicit-def: $vgpr9_vgpr10_vgpr11_vgpr12_vgpr13_vgpr14_vgpr15_vgpr16
                                        ; implicit-def: $vgpr17_vgpr18_vgpr19_vgpr20_vgpr21_vgpr22_vgpr23_vgpr24
                                        ; implicit-def: $vgpr3
	s_cbranch_execz .LBB182_40
; %bb.26:                               ;   in Loop: Header=BB182_3 Depth=1
	s_load_b32 s3, s[26:27], 0x0
	v_mov_b32_e32 v65, 0
	s_waitcnt lgkmcnt(0)
	s_cmp_lt_u32 s14, s3
	s_cselect_b32 s3, 12, 18
	s_delay_alu instid0(SALU_CYCLE_1)
	s_add_u32 s18, s26, s3
	s_addc_u32 s19, s27, 0
	s_mov_b32 s3, exec_lo
	global_load_u16 v1, v2, s[18:19]
	s_waitcnt vmcnt(0)
	v_mad_u32_u24 v1, v27, v1, v29
	s_delay_alu instid0(VALU_DEP_1) | instskip(NEXT) | instid1(VALU_DEP_1)
	v_and_b32_e32 v1, 31, v1
	v_cmpx_gt_u32_e32 8, v1
	s_cbranch_execz .LBB182_30
; %bb.27:                               ;   in Loop: Header=BB182_3 Depth=1
	v_add_co_u32 v1, vcc_lo, v63, v1
	v_add_co_ci_u32_e32 v4, vcc_lo, 0, v64, vcc_lo
	v_mov_b32_e32 v65, 0
	s_delay_alu instid0(VALU_DEP_3) | instskip(NEXT) | instid1(VALU_DEP_3)
	v_add_co_u32 v3, vcc_lo, 0xffffff81, v1
	v_add_co_ci_u32_e32 v4, vcc_lo, -1, v4, vcc_lo
	s_mov_b32 s17, exec_lo
	s_delay_alu instid0(VALU_DEP_1)
	v_cmpx_gt_i64_e64 s[4:5], v[3:4]
	s_cbranch_execz .LBB182_29
; %bb.28:                               ;   in Loop: Header=BB182_3 Depth=1
	v_lshlrev_b64 v[3:4], 2, v[3:4]
	s_delay_alu instid0(VALU_DEP_1) | instskip(NEXT) | instid1(VALU_DEP_2)
	v_add_co_u32 v3, vcc_lo, s12, v3
	v_add_co_ci_u32_e32 v4, vcc_lo, s13, v4, vcc_lo
	global_load_b32 v65, v[3:4], off
.LBB182_29:                             ;   in Loop: Header=BB182_3 Depth=1
	s_or_b32 exec_lo, exec_lo, s17
.LBB182_30:                             ;   in Loop: Header=BB182_3 Depth=1
	s_delay_alu instid0(SALU_CYCLE_1)
	s_or_b32 exec_lo, exec_lo, s3
	s_mov_b32 s22, s16
	s_mov_b32 s23, s16
	;; [unrolled: 1-line block ×7, first 2 shown]
	v_dual_mov_b32 v9, s16 :: v_dual_mov_b32 v10, s17
	v_dual_mov_b32 v15, s22 :: v_dual_mov_b32 v16, s23
	;; [unrolled: 1-line block ×4, first 2 shown]
	s_delay_alu instid0(VALU_DEP_3) | instskip(NEXT) | instid1(VALU_DEP_3)
	v_dual_mov_b32 v24, v16 :: v_dual_mov_b32 v23, v15
	v_dual_mov_b32 v20, v12 :: v_dual_mov_b32 v19, v11
	s_delay_alu instid0(VALU_DEP_3)
	v_dual_mov_b32 v22, v14 :: v_dual_mov_b32 v21, v13
	v_dual_mov_b32 v18, v10 :: v_dual_mov_b32 v17, v9
	s_and_saveexec_b32 s3, s2
	s_cbranch_execnz .LBB182_42
; %bb.31:                               ;   in Loop: Header=BB182_3 Depth=1
	s_or_b32 exec_lo, exec_lo, s3
	s_and_saveexec_b32 s3, s2
	s_cbranch_execnz .LBB182_43
.LBB182_32:                             ;   in Loop: Header=BB182_3 Depth=1
	s_or_b32 exec_lo, exec_lo, s3
	s_and_saveexec_b32 s3, s2
	s_cbranch_execnz .LBB182_44
.LBB182_33:                             ;   in Loop: Header=BB182_3 Depth=1
	s_or_b32 exec_lo, exec_lo, s3
	s_and_saveexec_b32 s3, s2
	s_cbranch_execnz .LBB182_45
.LBB182_34:                             ;   in Loop: Header=BB182_3 Depth=1
	s_or_b32 exec_lo, exec_lo, s3
	s_and_saveexec_b32 s3, s2
	s_cbranch_execnz .LBB182_46
.LBB182_35:                             ;   in Loop: Header=BB182_3 Depth=1
	s_or_b32 exec_lo, exec_lo, s3
	s_and_saveexec_b32 s3, s2
	s_cbranch_execnz .LBB182_47
.LBB182_36:                             ;   in Loop: Header=BB182_3 Depth=1
	s_or_b32 exec_lo, exec_lo, s3
	s_and_saveexec_b32 s3, s2
	s_cbranch_execnz .LBB182_48
.LBB182_37:                             ;   in Loop: Header=BB182_3 Depth=1
	s_or_b32 exec_lo, exec_lo, s3
	s_and_saveexec_b32 s3, s2
	s_cbranch_execz .LBB182_39
.LBB182_38:                             ;   in Loop: Header=BB182_3 Depth=1
	v_add_co_u32 v3, vcc_lo, v30, v25
	v_add_co_ci_u32_e32 v4, vcc_lo, v31, v26, vcc_lo
	v_add_co_u32 v5, vcc_lo, v32, v25
	v_add_co_ci_u32_e32 v6, vcc_lo, v33, v26, vcc_lo
	global_load_u16 v1, v[3:4], off
	global_load_u16 v3, v[5:6], off
	s_waitcnt vmcnt(1)
	v_cvt_f32_f16_e32 v24, v1
	s_waitcnt vmcnt(0)
	v_cvt_f32_f16_e32 v16, v3
.LBB182_39:                             ;   in Loop: Header=BB182_3 Depth=1
	s_or_b32 exec_lo, exec_lo, s3
	s_waitcnt vmcnt(0)
	ds_bpermute_b32 v1, v2, v65
	ds_bpermute_b32 v3, v2, v65 offset:4
	ds_bpermute_b32 v4, v2, v65 offset:8
	ds_bpermute_b32 v6, v2, v65 offset:12
	v_mul_f32_e32 v7, v10, v18
	v_mul_f32_e32 v5, v9, v17
	ds_bpermute_b32 v8, v2, v65 offset:16
	s_waitcnt lgkmcnt(4)
	v_dual_fmac_f32 v62, v5, v1 :: v_dual_mul_f32 v1, v11, v19
	ds_bpermute_b32 v5, v2, v65 offset:20
	s_waitcnt lgkmcnt(4)
	v_dual_fmac_f32 v62, v7, v3 :: v_dual_mul_f32 v3, v12, v20
	s_waitcnt lgkmcnt(3)
	s_delay_alu instid0(VALU_DEP_1)
	v_fmac_f32_e32 v62, v1, v4
	ds_bpermute_b32 v1, v2, v65 offset:24
	v_mul_f32_e32 v4, v13, v21
	s_waitcnt lgkmcnt(3)
	v_fmac_f32_e32 v62, v3, v6
	v_mul_f32_e32 v6, v14, v22
	ds_bpermute_b32 v3, v2, v65 offset:28
	s_waitcnt lgkmcnt(3)
	v_fmac_f32_e32 v62, v4, v8
	v_mul_f32_e32 v4, v15, v23
	s_waitcnt lgkmcnt(2)
	s_delay_alu instid0(VALU_DEP_2) | instskip(SKIP_1) | instid1(VALU_DEP_1)
	v_fmac_f32_e32 v62, v6, v5
	s_waitcnt lgkmcnt(1)
	v_fmac_f32_e32 v62, v4, v1
	s_delay_alu instid0(VALU_DEP_1)
	v_mov_b32_e32 v1, v62
.LBB182_40:                             ;   in Loop: Header=BB182_3 Depth=1
	v_add_co_u32 v30, vcc_lo, v30, s28
	v_add_co_ci_u32_e32 v31, vcc_lo, s29, v31, vcc_lo
	v_add_co_u32 v32, vcc_lo, v32, s28
	v_add_co_ci_u32_e32 v33, vcc_lo, s29, v33, vcc_lo
	;; [unrolled: 2-line block ×13, first 2 shown]
	v_add_co_u32 v56, vcc_lo, v56, s28
	s_add_u32 s34, s34, s36
	v_add_co_ci_u32_e32 v57, vcc_lo, s29, v57, vcc_lo
	v_mul_f32_e32 v4, v24, v16
	s_addc_u32 s35, s35, 0
	v_add_co_u32 v58, vcc_lo, v58, s28
	v_cmp_lt_i64_e64 s3, s[34:35], s[4:5]
	v_add_co_ci_u32_e32 v59, vcc_lo, s29, v59, vcc_lo
	v_add_co_u32 v60, vcc_lo, v60, s28
	s_waitcnt lgkmcnt(0)
	v_fmac_f32_e32 v1, v4, v3
	v_add_co_ci_u32_e32 v61, vcc_lo, s29, v61, vcc_lo
	s_add_u32 s30, s30, s36
	s_addc_u32 s31, s31, 0
	s_and_b32 vcc_lo, exec_lo, s3
	s_cbranch_vccz .LBB182_50
; %bb.41:                               ;   in Loop: Header=BB182_3 Depth=1
	v_mov_b32_e32 v62, v1
	s_branch .LBB182_3
.LBB182_42:                             ;   in Loop: Header=BB182_3 Depth=1
	v_add_co_u32 v3, vcc_lo, v58, v25
	v_add_co_ci_u32_e32 v4, vcc_lo, v59, v26, vcc_lo
	v_add_co_u32 v5, vcc_lo, v60, v25
	v_add_co_ci_u32_e32 v6, vcc_lo, v61, v26, vcc_lo
	v_mov_b32_e32 v8, v2
	global_load_u16 v1, v[3:4], off
	global_load_u16 v9, v[5:6], off
	v_mov_b32_e32 v3, v2
	v_mov_b32_e32 v4, v2
	;; [unrolled: 1-line block ×6, first 2 shown]
	s_waitcnt vmcnt(1)
	v_cvt_f32_f16_e32 v1, v1
	v_dual_mov_b32 v11, v2 :: v_dual_mov_b32 v24, v8
	v_dual_mov_b32 v10, v2 :: v_dual_mov_b32 v23, v7
	s_waitcnt vmcnt(0)
	v_cvt_f32_f16_e32 v9, v9
	v_dual_mov_b32 v12, v2 :: v_dual_mov_b32 v21, v5
	v_dual_mov_b32 v13, v2 :: v_dual_mov_b32 v20, v4
	;; [unrolled: 1-line block ×4, first 2 shown]
	v_mov_b32_e32 v22, v6
	v_mov_b32_e32 v18, v2
	s_or_b32 exec_lo, exec_lo, s3
	s_and_saveexec_b32 s3, s2
	s_cbranch_execz .LBB182_32
.LBB182_43:                             ;   in Loop: Header=BB182_3 Depth=1
	v_add_co_u32 v3, vcc_lo, v54, v25
	v_add_co_ci_u32_e32 v4, vcc_lo, v55, v26, vcc_lo
	v_add_co_u32 v5, vcc_lo, v56, v25
	v_add_co_ci_u32_e32 v6, vcc_lo, v57, v26, vcc_lo
	global_load_u16 v1, v[3:4], off
	global_load_u16 v3, v[5:6], off
	s_waitcnt vmcnt(1)
	v_cvt_f32_f16_e32 v18, v1
	s_waitcnt vmcnt(0)
	v_cvt_f32_f16_e32 v10, v3
	s_or_b32 exec_lo, exec_lo, s3
	s_and_saveexec_b32 s3, s2
	s_cbranch_execz .LBB182_33
.LBB182_44:                             ;   in Loop: Header=BB182_3 Depth=1
	v_add_co_u32 v3, vcc_lo, v50, v25
	v_add_co_ci_u32_e32 v4, vcc_lo, v51, v26, vcc_lo
	v_add_co_u32 v5, vcc_lo, v52, v25
	v_add_co_ci_u32_e32 v6, vcc_lo, v53, v26, vcc_lo
	global_load_u16 v1, v[3:4], off
	global_load_u16 v3, v[5:6], off
	s_waitcnt vmcnt(1)
	v_cvt_f32_f16_e32 v19, v1
	s_waitcnt vmcnt(0)
	v_cvt_f32_f16_e32 v11, v3
	s_or_b32 exec_lo, exec_lo, s3
	s_and_saveexec_b32 s3, s2
	s_cbranch_execz .LBB182_34
.LBB182_45:                             ;   in Loop: Header=BB182_3 Depth=1
	v_add_co_u32 v3, vcc_lo, v46, v25
	v_add_co_ci_u32_e32 v4, vcc_lo, v47, v26, vcc_lo
	v_add_co_u32 v5, vcc_lo, v48, v25
	v_add_co_ci_u32_e32 v6, vcc_lo, v49, v26, vcc_lo
	global_load_u16 v1, v[3:4], off
	global_load_u16 v3, v[5:6], off
	s_waitcnt vmcnt(1)
	v_cvt_f32_f16_e32 v20, v1
	s_waitcnt vmcnt(0)
	v_cvt_f32_f16_e32 v12, v3
	s_or_b32 exec_lo, exec_lo, s3
	s_and_saveexec_b32 s3, s2
	s_cbranch_execz .LBB182_35
.LBB182_46:                             ;   in Loop: Header=BB182_3 Depth=1
	v_add_co_u32 v3, vcc_lo, v42, v25
	v_add_co_ci_u32_e32 v4, vcc_lo, v43, v26, vcc_lo
	v_add_co_u32 v5, vcc_lo, v44, v25
	v_add_co_ci_u32_e32 v6, vcc_lo, v45, v26, vcc_lo
	global_load_u16 v1, v[3:4], off
	global_load_u16 v3, v[5:6], off
	s_waitcnt vmcnt(1)
	v_cvt_f32_f16_e32 v21, v1
	s_waitcnt vmcnt(0)
	v_cvt_f32_f16_e32 v13, v3
	s_or_b32 exec_lo, exec_lo, s3
	s_and_saveexec_b32 s3, s2
	s_cbranch_execz .LBB182_36
.LBB182_47:                             ;   in Loop: Header=BB182_3 Depth=1
	v_add_co_u32 v3, vcc_lo, v38, v25
	v_add_co_ci_u32_e32 v4, vcc_lo, v39, v26, vcc_lo
	v_add_co_u32 v5, vcc_lo, v40, v25
	v_add_co_ci_u32_e32 v6, vcc_lo, v41, v26, vcc_lo
	global_load_u16 v1, v[3:4], off
	global_load_u16 v3, v[5:6], off
	s_waitcnt vmcnt(1)
	v_cvt_f32_f16_e32 v22, v1
	s_waitcnt vmcnt(0)
	v_cvt_f32_f16_e32 v14, v3
	s_or_b32 exec_lo, exec_lo, s3
	s_and_saveexec_b32 s3, s2
	s_cbranch_execz .LBB182_37
.LBB182_48:                             ;   in Loop: Header=BB182_3 Depth=1
	v_add_co_u32 v3, vcc_lo, v34, v25
	v_add_co_ci_u32_e32 v4, vcc_lo, v35, v26, vcc_lo
	v_add_co_u32 v5, vcc_lo, v36, v25
	v_add_co_ci_u32_e32 v6, vcc_lo, v37, v26, vcc_lo
	global_load_u16 v1, v[3:4], off
	global_load_u16 v3, v[5:6], off
	s_waitcnt vmcnt(1)
	v_cvt_f32_f16_e32 v23, v1
	s_waitcnt vmcnt(0)
	v_cvt_f32_f16_e32 v15, v3
	s_or_b32 exec_lo, exec_lo, s3
	s_and_saveexec_b32 s3, s2
	s_cbranch_execnz .LBB182_38
	s_branch .LBB182_39
.LBB182_49:
                                        ; implicit-def: $vgpr1
	s_branch .LBB182_51
.LBB182_50:
	s_cbranch_execnz .LBB182_83
.LBB182_51:
	v_mov_b32_e32 v1, 0
	s_and_not1_b32 vcc_lo, exec_lo, s15
	s_cbranch_vccnz .LBB182_83
; %bb.52:
	s_load_b32 s2, s[0:1], 0x44
	v_dual_mov_b32 v2, 0 :: v_dual_and_b32 v55, 0x3ff, v0
	v_bfe_u32 v56, v0, 10, 10
	s_add_u32 s26, s0, 64
	s_addc_u32 s27, s1, 0
	s_delay_alu instid0(VALU_DEP_2) | instskip(NEXT) | instid1(VALU_DEP_2)
	v_dual_mov_b32 v90, 0 :: v_dual_add_nc_u32 v1, s33, v55
	v_lshlrev_b32_e32 v3, 4, v56
	v_lshlrev_b32_e32 v57, 3, v56
	s_delay_alu instid0(VALU_DEP_3)
	v_lshlrev_b64 v[25:26], 1, v[1:2]
	s_waitcnt lgkmcnt(0)
	s_lshl_b32 s15, s2, 7
	s_add_u32 s28, s24, 0x7f
	s_addc_u32 s29, 0, 0
	s_lshl_b64 s[2:3], s[24:25], 1
	s_mul_i32 s16, s7, s15
	v_add_co_u32 v1, s2, v3, s2
	s_delay_alu instid0(VALU_DEP_1) | instskip(SKIP_1) | instid1(VALU_DEP_3)
	v_add_co_ci_u32_e64 v3, null, 0, s3, s2
	v_add_co_u32 v74, s3, v57, s24
	v_add_co_u32 v7, vcc_lo, v1, 2
	s_delay_alu instid0(VALU_DEP_3) | instskip(SKIP_3) | instid1(VALU_DEP_4)
	v_add_co_ci_u32_e32 v4, vcc_lo, 0, v3, vcc_lo
	v_add_co_u32 v8, vcc_lo, v1, 4
	v_add_co_ci_u32_e32 v5, vcc_lo, 0, v3, vcc_lo
	v_add_co_u32 v11, vcc_lo, v1, 6
	v_mul_lo_u32 v9, s6, v4
	v_add_co_ci_u32_e32 v4, vcc_lo, 0, v3, vcc_lo
	v_add_co_u32 v14, vcc_lo, v1, 8
	v_mul_lo_u32 v12, s6, v5
	;; [unrolled: 3-line block ×4, first 2 shown]
	v_add_co_ci_u32_e32 v5, vcc_lo, 0, v3, vcc_lo
	v_add_co_ci_u32_e64 v75, null, 0, 0, s3
	v_add_co_u32 v1, vcc_lo, v1, 14
	v_mul_lo_u32 v21, s6, v4
	s_delay_alu instid0(VALU_DEP_4) | instskip(SKIP_4) | instid1(VALU_DEP_4)
	v_mul_lo_u32 v23, s6, v5
	v_add_co_ci_u32_e32 v5, vcc_lo, 0, v3, vcc_lo
	v_mul_lo_u32 v6, s7, v74
	v_mul_lo_u32 v41, s6, v75
	v_mad_u64_u32 v[3:4], null, s6, v74, 0
	v_mul_lo_u32 v60, s6, v5
	v_mad_u64_u32 v[27:28], null, s6, v7, s[8:9]
	;; [unrolled: 2-line block ×3, first 2 shown]
	v_add3_u32 v4, v4, v41, v6
	v_mad_u64_u32 v[41:42], null, s6, v7, s[10:11]
	v_mul_lo_u32 v13, s7, v8
	v_mad_u64_u32 v[43:44], null, s6, v8, s[10:11]
	s_delay_alu instid0(VALU_DEP_4)
	v_lshlrev_b64 v[5:6], 1, v[3:4]
	v_add3_u32 v28, v10, v28, v9
	v_mad_u64_u32 v[31:32], null, s6, v11, s[8:9]
	v_add3_u32 v42, v10, v42, v9
	v_add3_u32 v30, v13, v30, v12
	v_add_co_u32 v58, vcc_lo, s8, v5
	v_add_co_ci_u32_e32 v59, vcc_lo, s9, v6, vcc_lo
	v_add_co_u32 v9, vcc_lo, v74, 7
	v_add_co_ci_u32_e32 v7, vcc_lo, 0, v75, vcc_lo
	v_add3_u32 v44, v13, v44, v12
	v_add_co_u32 v12, vcc_lo, v74, 6
	v_mul_lo_u32 v16, s7, v11
	v_mad_u64_u32 v[39:40], null, s6, v1, s[8:9]
	v_mul_lo_u32 v61, s7, v1
	v_mad_u64_u32 v[45:46], null, s6, v11, s[10:11]
	v_mad_u64_u32 v[53:54], null, s6, v1, s[10:11]
	v_mul_lo_u32 v1, s7, v9
	v_mul_lo_u32 v11, s6, v7
	v_mad_u64_u32 v[7:8], null, s6, v9, 0
	v_add_co_ci_u32_e32 v10, vcc_lo, 0, v75, vcc_lo
	v_mad_u64_u32 v[33:34], null, s6, v14, s[8:9]
	v_mul_lo_u32 v19, s7, v14
	v_mad_u64_u32 v[47:48], null, s6, v14, s[10:11]
	v_mul_lo_u32 v13, s7, v12
	v_mul_lo_u32 v14, s6, v10
	v_mad_u64_u32 v[9:10], null, s6, v12, 0
	v_add3_u32 v8, v8, v11, v1
	v_add3_u32 v40, v61, v40, v60
	;; [unrolled: 1-line block ×3, first 2 shown]
	v_add_co_u32 v60, vcc_lo, s10, v5
	v_add_co_ci_u32_e32 v61, vcc_lo, s11, v6, vcc_lo
	v_lshlrev_b64 v[5:6], 1, v[7:8]
	v_add3_u32 v10, v10, v14, v13
	v_add_co_u32 v1, vcc_lo, v74, 5
	v_add_co_ci_u32_e32 v11, vcc_lo, 0, v75, vcc_lo
	s_delay_alu instid0(VALU_DEP_4) | instskip(NEXT) | instid1(VALU_DEP_4)
	v_add_co_u32 v62, vcc_lo, s8, v5
	v_lshlrev_b64 v[7:8], 1, v[9:10]
	v_add_co_ci_u32_e32 v63, vcc_lo, s9, v6, vcc_lo
	v_mul_lo_u32 v12, s7, v1
	v_mul_lo_u32 v11, s6, v11
	v_mad_u64_u32 v[9:10], null, s6, v1, 0
	v_add_co_u32 v64, vcc_lo, s10, v5
	v_add_co_ci_u32_e32 v65, vcc_lo, s11, v6, vcc_lo
	v_add_co_u32 v66, vcc_lo, s8, v7
	v_add_co_ci_u32_e32 v67, vcc_lo, s9, v8, vcc_lo
	s_mul_hi_u32 s2, s6, s15
	v_add_co_u32 v1, vcc_lo, v74, 4
	v_add3_u32 v10, v10, v11, v12
	s_add_i32 s3, s2, s16
	v_add_co_u32 v68, s2, s10, v7
	v_add_co_ci_u32_e32 v7, vcc_lo, 0, v75, vcc_lo
	v_add_co_u32 v12, vcc_lo, v74, 3
	v_lshlrev_b64 v[5:6], 1, v[9:10]
	v_add_co_ci_u32_e32 v9, vcc_lo, 0, v75, vcc_lo
	v_add_co_ci_u32_e64 v69, s2, s11, v8, s2
	v_mul_lo_u32 v11, s7, v1
	v_mul_lo_u32 v13, s6, v7
	v_mad_u64_u32 v[7:8], null, s6, v1, 0
	v_mul_lo_u32 v1, s7, v12
	v_mul_lo_u32 v14, s6, v9
	v_mad_u64_u32 v[9:10], null, s6, v12, 0
	v_add_co_u32 v70, vcc_lo, s8, v5
	v_add_co_ci_u32_e32 v71, vcc_lo, s9, v6, vcc_lo
	v_add3_u32 v8, v8, v13, v11
	v_add_co_u32 v72, vcc_lo, s10, v5
	v_add_co_ci_u32_e32 v73, vcc_lo, s11, v6, vcc_lo
	v_add3_u32 v10, v10, v14, v1
	v_add_co_u32 v1, vcc_lo, v74, 2
	v_lshlrev_b64 v[5:6], 1, v[7:8]
	v_add_co_ci_u32_e32 v11, vcc_lo, 0, v75, vcc_lo
	s_delay_alu instid0(VALU_DEP_4) | instskip(NEXT) | instid1(VALU_DEP_4)
	v_lshlrev_b64 v[7:8], 1, v[9:10]
	v_mul_lo_u32 v12, s7, v1
	v_mad_u64_u32 v[9:10], null, s6, v1, 0
	v_add_co_u32 v74, vcc_lo, s8, v5
	v_mul_lo_u32 v11, s6, v11
	v_add_co_ci_u32_e32 v75, vcc_lo, s9, v6, vcc_lo
	v_add_co_u32 v76, vcc_lo, s10, v5
	v_add_co_ci_u32_e32 v77, vcc_lo, s11, v6, vcc_lo
	v_add_co_u32 v78, vcc_lo, s8, v7
	v_add_co_ci_u32_e32 v79, vcc_lo, s9, v8, vcc_lo
	v_add3_u32 v10, v10, v11, v12
	v_add_co_u32 v80, vcc_lo, s10, v7
	v_add_co_ci_u32_e32 v81, vcc_lo, s11, v8, vcc_lo
	v_add_co_u32 v3, vcc_lo, v3, s6
	s_delay_alu instid0(VALU_DEP_4) | instskip(SKIP_3) | instid1(VALU_DEP_4)
	v_lshlrev_b64 v[5:6], 1, v[9:10]
	v_add_co_ci_u32_e32 v4, vcc_lo, s7, v4, vcc_lo
	v_mad_u64_u32 v[35:36], null, s6, v18, s[8:9]
	v_mul_lo_u32 v22, s7, v18
	v_add_co_u32 v82, vcc_lo, s8, v5
	s_delay_alu instid0(VALU_DEP_4)
	v_lshlrev_b64 v[3:4], 1, v[3:4]
	v_add_co_ci_u32_e32 v83, vcc_lo, s9, v6, vcc_lo
	v_mad_u64_u32 v[37:38], null, s6, v20, s[8:9]
	v_mul_lo_u32 v24, s7, v20
	v_mad_u64_u32 v[49:50], null, s6, v18, s[10:11]
	v_mad_u64_u32 v[51:52], null, s6, v20, s[10:11]
	v_add_co_u32 v84, vcc_lo, s10, v5
	v_add_co_ci_u32_e32 v85, vcc_lo, s11, v6, vcc_lo
	v_add_co_u32 v86, vcc_lo, s8, v3
	v_add_co_ci_u32_e32 v87, vcc_lo, s9, v4, vcc_lo
	v_add_co_u32 v88, vcc_lo, s10, v3
	v_add3_u32 v32, v16, v32, v15
	v_add3_u32 v34, v19, v34, v17
	;; [unrolled: 1-line block ×8, first 2 shown]
	v_add_co_ci_u32_e32 v89, vcc_lo, s11, v4, vcc_lo
	s_mul_i32 s2, s6, s15
	s_mov_b32 s16, 0
	s_lshl_b64 s[2:3], s[2:3], 1
.LBB182_53:                             ; =>This Inner Loop Header: Depth=1
	v_cmp_ge_i64_e64 s8, s[28:29], s[4:5]
	v_add_co_u32 v91, s9, v57, s28
	s_delay_alu instid0(VALU_DEP_1) | instskip(NEXT) | instid1(VALU_DEP_3)
	v_add_co_ci_u32_e64 v92, null, 0, s29, s9
	s_and_b32 vcc_lo, exec_lo, s8
	s_cbranch_vccz .LBB182_75
; %bb.54:                               ;   in Loop: Header=BB182_53 Depth=1
	s_load_b32 s8, s[26:27], 0xc
	v_mov_b32_e32 v93, 0
	s_waitcnt lgkmcnt(0)
	s_and_b32 s8, s8, 0xffff
	s_delay_alu instid0(SALU_CYCLE_1) | instskip(SKIP_1) | instid1(VALU_DEP_1)
	v_mad_u32_u24 v1, v56, s8, v55
	s_mov_b32 s8, exec_lo
	v_and_b32_e32 v1, 31, v1
	s_delay_alu instid0(VALU_DEP_1)
	v_cmpx_gt_u32_e32 8, v1
	s_cbranch_execz .LBB182_58
; %bb.55:                               ;   in Loop: Header=BB182_53 Depth=1
	v_add_co_u32 v1, vcc_lo, v91, v1
	v_add_co_ci_u32_e32 v4, vcc_lo, 0, v92, vcc_lo
	v_mov_b32_e32 v93, 0
	s_delay_alu instid0(VALU_DEP_3) | instskip(NEXT) | instid1(VALU_DEP_3)
	v_add_co_u32 v3, vcc_lo, 0xffffff81, v1
	v_add_co_ci_u32_e32 v4, vcc_lo, -1, v4, vcc_lo
	s_mov_b32 s9, exec_lo
	s_delay_alu instid0(VALU_DEP_1)
	v_cmpx_gt_i64_e64 s[4:5], v[3:4]
	s_cbranch_execz .LBB182_57
; %bb.56:                               ;   in Loop: Header=BB182_53 Depth=1
	v_lshlrev_b64 v[3:4], 2, v[3:4]
	s_delay_alu instid0(VALU_DEP_1) | instskip(NEXT) | instid1(VALU_DEP_2)
	v_add_co_u32 v3, vcc_lo, s12, v3
	v_add_co_ci_u32_e32 v4, vcc_lo, s13, v4, vcc_lo
	global_load_b32 v93, v[3:4], off
.LBB182_57:                             ;   in Loop: Header=BB182_53 Depth=1
	s_or_b32 exec_lo, exec_lo, s9
.LBB182_58:                             ;   in Loop: Header=BB182_53 Depth=1
	s_delay_alu instid0(SALU_CYCLE_1)
	s_or_b32 exec_lo, exec_lo, s8
	s_mov_b32 s22, s16
	s_mov_b32 s23, s16
	;; [unrolled: 1-line block ×7, first 2 shown]
	v_dual_mov_b32 v9, s16 :: v_dual_mov_b32 v10, s17
	v_dual_mov_b32 v15, s22 :: v_dual_mov_b32 v16, s23
	;; [unrolled: 1-line block ×4, first 2 shown]
	v_add_co_u32 v3, vcc_lo, 0xffffff81, v91
	s_delay_alu instid0(VALU_DEP_4) | instskip(SKIP_1) | instid1(VALU_DEP_4)
	v_dual_mov_b32 v24, v16 :: v_dual_mov_b32 v23, v15
	v_add_co_ci_u32_e32 v4, vcc_lo, -1, v92, vcc_lo
	v_dual_mov_b32 v22, v14 :: v_dual_mov_b32 v21, v13
	v_dual_mov_b32 v20, v12 :: v_dual_mov_b32 v19, v11
	;; [unrolled: 1-line block ×3, first 2 shown]
	s_mov_b32 s8, exec_lo
	v_cmpx_gt_i64_e64 s[4:5], v[3:4]
	s_cbranch_execz .LBB182_60
; %bb.59:                               ;   in Loop: Header=BB182_53 Depth=1
	v_add_co_u32 v3, vcc_lo, v58, v25
	v_add_co_ci_u32_e32 v4, vcc_lo, v59, v26, vcc_lo
	v_add_co_u32 v5, vcc_lo, v60, v25
	v_add_co_ci_u32_e32 v6, vcc_lo, v61, v26, vcc_lo
	v_mov_b32_e32 v8, v2
	global_load_u16 v1, v[3:4], off
	global_load_u16 v9, v[5:6], off
	v_mov_b32_e32 v3, v2
	v_mov_b32_e32 v4, v2
	;; [unrolled: 1-line block ×6, first 2 shown]
	s_waitcnt vmcnt(1)
	v_cvt_f32_f16_e32 v1, v1
	v_dual_mov_b32 v11, v2 :: v_dual_mov_b32 v24, v8
	v_dual_mov_b32 v10, v2 :: v_dual_mov_b32 v23, v7
	s_waitcnt vmcnt(0)
	v_cvt_f32_f16_e32 v9, v9
	v_dual_mov_b32 v12, v2 :: v_dual_mov_b32 v21, v5
	v_dual_mov_b32 v13, v2 :: v_dual_mov_b32 v20, v4
	;; [unrolled: 1-line block ×4, first 2 shown]
	v_mov_b32_e32 v22, v6
	v_mov_b32_e32 v18, v2
.LBB182_60:                             ;   in Loop: Header=BB182_53 Depth=1
	s_or_b32 exec_lo, exec_lo, s8
	v_add_co_u32 v3, vcc_lo, 0xffffff82, v91
	v_add_co_ci_u32_e32 v4, vcc_lo, -1, v92, vcc_lo
	s_mov_b32 s8, exec_lo
	s_delay_alu instid0(VALU_DEP_1)
	v_cmpx_gt_i64_e64 s[4:5], v[3:4]
	s_cbranch_execz .LBB182_62
; %bb.61:                               ;   in Loop: Header=BB182_53 Depth=1
	v_add_co_u32 v3, vcc_lo, v86, v25
	v_add_co_ci_u32_e32 v4, vcc_lo, v87, v26, vcc_lo
	v_add_co_u32 v5, vcc_lo, v88, v25
	v_add_co_ci_u32_e32 v6, vcc_lo, v89, v26, vcc_lo
	global_load_u16 v1, v[3:4], off
	global_load_u16 v3, v[5:6], off
	s_waitcnt vmcnt(1)
	v_cvt_f32_f16_e32 v18, v1
	s_waitcnt vmcnt(0)
	v_cvt_f32_f16_e32 v10, v3
.LBB182_62:                             ;   in Loop: Header=BB182_53 Depth=1
	s_or_b32 exec_lo, exec_lo, s8
	v_add_co_u32 v3, vcc_lo, 0xffffff83, v91
	v_add_co_ci_u32_e32 v4, vcc_lo, -1, v92, vcc_lo
	s_mov_b32 s8, exec_lo
	s_delay_alu instid0(VALU_DEP_1)
	v_cmpx_gt_i64_e64 s[4:5], v[3:4]
	s_cbranch_execz .LBB182_64
; %bb.63:                               ;   in Loop: Header=BB182_53 Depth=1
	v_add_co_u32 v3, vcc_lo, v82, v25
	v_add_co_ci_u32_e32 v4, vcc_lo, v83, v26, vcc_lo
	v_add_co_u32 v5, vcc_lo, v84, v25
	v_add_co_ci_u32_e32 v6, vcc_lo, v85, v26, vcc_lo
	global_load_u16 v1, v[3:4], off
	global_load_u16 v3, v[5:6], off
	s_waitcnt vmcnt(1)
	v_cvt_f32_f16_e32 v19, v1
	s_waitcnt vmcnt(0)
	v_cvt_f32_f16_e32 v11, v3
.LBB182_64:                             ;   in Loop: Header=BB182_53 Depth=1
	;; [unrolled: 19-line block ×7, first 2 shown]
	s_or_b32 exec_lo, exec_lo, s8
	s_waitcnt vmcnt(0)
	ds_bpermute_b32 v1, v2, v93
	ds_bpermute_b32 v3, v2, v93 offset:4
	ds_bpermute_b32 v4, v2, v93 offset:8
	v_mul_f32_e32 v5, v9, v17
	ds_bpermute_b32 v6, v2, v93 offset:12
	v_mul_f32_e32 v7, v10, v18
	ds_bpermute_b32 v8, v2, v93 offset:16
	ds_bpermute_b32 v9, v2, v93 offset:20
	s_waitcnt lgkmcnt(5)
	v_fma_f32 v1, v5, v1, v90
	v_mul_f32_e32 v5, v11, v19
	s_waitcnt lgkmcnt(4)
	s_delay_alu instid0(VALU_DEP_2)
	v_fmac_f32_e32 v1, v7, v3
	v_mul_f32_e32 v3, v12, v20
	ds_bpermute_b32 v7, v2, v93 offset:24
	s_waitcnt lgkmcnt(4)
	v_fmac_f32_e32 v1, v5, v4
	v_dual_mul_f32 v4, v13, v21 :: v_dual_mul_f32 v5, v14, v22
	s_waitcnt lgkmcnt(3)
	s_delay_alu instid0(VALU_DEP_2) | instskip(SKIP_4) | instid1(VALU_DEP_1)
	v_fmac_f32_e32 v1, v3, v6
	ds_bpermute_b32 v3, v2, v93 offset:28
	s_waitcnt lgkmcnt(3)
	v_dual_fmac_f32 v1, v4, v8 :: v_dual_mul_f32 v4, v15, v23
	s_waitcnt lgkmcnt(2)
	v_fmac_f32_e32 v1, v5, v9
	s_waitcnt lgkmcnt(1)
	s_delay_alu instid0(VALU_DEP_1) | instskip(SKIP_2) | instid1(VALU_DEP_1)
	v_fmac_f32_e32 v1, v4, v7
	v_mul_f32_e32 v4, v16, v24
	s_waitcnt lgkmcnt(0)
	v_fmac_f32_e32 v1, v4, v3
	s_branch .LBB182_81
.LBB182_75:                             ;   in Loop: Header=BB182_53 Depth=1
                                        ; implicit-def: $vgpr1
	s_cbranch_execz .LBB182_81
; %bb.76:                               ;   in Loop: Header=BB182_53 Depth=1
	s_load_b32 s8, s[26:27], 0x0
	s_waitcnt lgkmcnt(0)
	s_cmp_lt_u32 s14, s8
	s_cselect_b32 s8, 12, 18
	s_delay_alu instid0(SALU_CYCLE_1)
	s_add_u32 s8, s26, s8
	s_addc_u32 s9, s27, 0
	global_load_u16 v1, v2, s[8:9]
	s_mov_b32 s8, exec_lo
	s_waitcnt vmcnt(0)
	v_mad_u32_u24 v1, v56, v1, v55
	s_delay_alu instid0(VALU_DEP_1) | instskip(SKIP_1) | instid1(VALU_DEP_2)
	v_and_b32_e32 v3, 31, v1
	v_mov_b32_e32 v1, 0
	v_cmpx_gt_u32_e32 8, v3
	s_cbranch_execz .LBB182_80
; %bb.77:                               ;   in Loop: Header=BB182_53 Depth=1
	v_add_co_u32 v1, vcc_lo, v91, v3
	v_add_co_ci_u32_e32 v4, vcc_lo, 0, v92, vcc_lo
	s_mov_b32 s9, exec_lo
	s_delay_alu instid0(VALU_DEP_2) | instskip(NEXT) | instid1(VALU_DEP_2)
	v_add_co_u32 v3, vcc_lo, 0xffffff81, v1
	v_add_co_ci_u32_e32 v4, vcc_lo, -1, v4, vcc_lo
	v_mov_b32_e32 v1, 0
	s_delay_alu instid0(VALU_DEP_2)
	v_cmpx_gt_i64_e64 s[4:5], v[3:4]
	s_cbranch_execz .LBB182_79
; %bb.78:                               ;   in Loop: Header=BB182_53 Depth=1
	v_lshlrev_b64 v[3:4], 2, v[3:4]
	s_delay_alu instid0(VALU_DEP_1) | instskip(NEXT) | instid1(VALU_DEP_2)
	v_add_co_u32 v3, vcc_lo, s12, v3
	v_add_co_ci_u32_e32 v4, vcc_lo, s13, v4, vcc_lo
	global_load_b32 v1, v[3:4], off
.LBB182_79:                             ;   in Loop: Header=BB182_53 Depth=1
	s_or_b32 exec_lo, exec_lo, s9
.LBB182_80:                             ;   in Loop: Header=BB182_53 Depth=1
	s_delay_alu instid0(SALU_CYCLE_1)
	s_or_b32 exec_lo, exec_lo, s8
	v_add_co_u32 v3, vcc_lo, v58, v25
	v_add_co_ci_u32_e32 v4, vcc_lo, v59, v26, vcc_lo
	v_add_co_u32 v5, vcc_lo, v60, v25
	v_add_co_ci_u32_e32 v6, vcc_lo, v61, v26, vcc_lo
	;; [unrolled: 2-line block ×5, first 2 shown]
	global_load_u16 v13, v[3:4], off
	global_load_u16 v14, v[5:6], off
	;; [unrolled: 1-line block ×5, first 2 shown]
	v_add_co_u32 v3, vcc_lo, v43, v25
	v_add_co_ci_u32_e32 v4, vcc_lo, v44, v26, vcc_lo
	v_add_co_u32 v5, vcc_lo, v31, v25
	v_add_co_ci_u32_e32 v6, vcc_lo, v32, v26, vcc_lo
	;; [unrolled: 2-line block ×5, first 2 shown]
	global_load_u16 v18, v[3:4], off
	global_load_u16 v19, v[5:6], off
	;; [unrolled: 1-line block ×5, first 2 shown]
	v_add_co_u32 v3, vcc_lo, v35, v25
	v_add_co_ci_u32_e32 v4, vcc_lo, v36, v26, vcc_lo
	v_add_co_u32 v5, vcc_lo, v49, v25
	v_add_co_ci_u32_e32 v6, vcc_lo, v50, v26, vcc_lo
	;; [unrolled: 2-line block ×4, first 2 shown]
	global_load_u16 v12, v[3:4], off
	global_load_u16 v22, v[5:6], off
	;; [unrolled: 1-line block ×4, first 2 shown]
	v_add_co_u32 v3, vcc_lo, v39, v25
	v_add_co_ci_u32_e32 v4, vcc_lo, v40, v26, vcc_lo
	v_add_co_u32 v5, vcc_lo, v53, v25
	v_add_co_ci_u32_e32 v6, vcc_lo, v54, v26, vcc_lo
	global_load_u16 v3, v[3:4], off
	global_load_u16 v4, v[5:6], off
	s_waitcnt vmcnt(16)
	ds_bpermute_b32 v5, v2, v1
	ds_bpermute_b32 v6, v2, v1 offset:4
	ds_bpermute_b32 v9, v2, v1 offset:8
	s_waitcnt vmcnt(15)
	v_cvt_f32_f16_e32 v10, v13
	s_waitcnt vmcnt(14)
	v_cvt_f32_f16_e32 v13, v14
	ds_bpermute_b32 v14, v2, v1 offset:12
	s_waitcnt vmcnt(13)
	v_cvt_f32_f16_e32 v15, v15
	s_waitcnt vmcnt(12)
	v_cvt_f32_f16_e32 v16, v16
	;; [unrolled: 2-line block ×3, first 2 shown]
	v_mul_f32_e32 v10, v10, v13
	ds_bpermute_b32 v13, v2, v1 offset:16
	v_mul_f32_e32 v15, v15, v16
	s_waitcnt vmcnt(10)
	v_cvt_f32_f16_e32 v18, v18
	s_waitcnt lgkmcnt(4)
	v_fmac_f32_e32 v90, v10, v5
	ds_bpermute_b32 v5, v2, v1 offset:20
	s_waitcnt vmcnt(9)
	v_cvt_f32_f16_e32 v10, v19
	s_waitcnt vmcnt(8)
	v_cvt_f32_f16_e32 v16, v20
	v_mul_f32_e32 v17, v17, v18
	s_waitcnt lgkmcnt(4)
	v_fmac_f32_e32 v90, v15, v6
	ds_bpermute_b32 v6, v2, v1 offset:24
	s_waitcnt vmcnt(7)
	v_cvt_f32_f16_e32 v15, v21
	s_waitcnt vmcnt(6)
	v_cvt_f32_f16_e32 v11, v11
	v_mul_f32_e32 v10, v10, v16
	ds_bpermute_b32 v1, v2, v1 offset:28
	v_mul_f32_e32 v11, v15, v11
	s_waitcnt vmcnt(3)
	v_cvt_f32_f16_e32 v7, v7
	s_waitcnt vmcnt(2)
	v_cvt_f32_f16_e32 v8, v8
	s_waitcnt lgkmcnt(5)
	v_fmac_f32_e32 v90, v17, v9
	v_cvt_f32_f16_e32 v9, v12
	v_cvt_f32_f16_e32 v12, v22
	v_mul_f32_e32 v7, v7, v8
	s_delay_alu instid0(VALU_DEP_2)
	v_mul_f32_e32 v9, v9, v12
	s_waitcnt vmcnt(1)
	v_cvt_f32_f16_e32 v3, v3
	s_waitcnt vmcnt(0)
	v_cvt_f32_f16_e32 v4, v4
	s_waitcnt lgkmcnt(4)
	s_delay_alu instid0(VALU_DEP_1) | instskip(SKIP_1) | instid1(VALU_DEP_1)
	v_dual_fmac_f32 v90, v10, v14 :: v_dual_mul_f32 v3, v3, v4
	s_waitcnt lgkmcnt(3)
	v_fmac_f32_e32 v90, v11, v13
	s_waitcnt lgkmcnt(2)
	s_delay_alu instid0(VALU_DEP_1) | instskip(SKIP_1) | instid1(VALU_DEP_1)
	v_fmac_f32_e32 v90, v9, v5
	s_waitcnt lgkmcnt(1)
	v_fmac_f32_e32 v90, v7, v6
	s_waitcnt lgkmcnt(0)
	s_delay_alu instid0(VALU_DEP_1) | instskip(NEXT) | instid1(VALU_DEP_1)
	v_fmac_f32_e32 v90, v3, v1
	v_mov_b32_e32 v1, v90
.LBB182_81:                             ;   in Loop: Header=BB182_53 Depth=1
	v_add_co_u32 v27, vcc_lo, v27, s2
	v_add_co_ci_u32_e32 v28, vcc_lo, s3, v28, vcc_lo
	v_add_co_u32 v29, vcc_lo, v29, s2
	v_add_co_ci_u32_e32 v30, vcc_lo, s3, v30, vcc_lo
	v_add_co_u32 v31, vcc_lo, v31, s2
	v_add_co_ci_u32_e32 v32, vcc_lo, s3, v32, vcc_lo
	v_add_co_u32 v33, vcc_lo, v33, s2
	v_add_co_ci_u32_e32 v34, vcc_lo, s3, v34, vcc_lo
	v_add_co_u32 v35, vcc_lo, v35, s2
	v_add_co_ci_u32_e32 v36, vcc_lo, s3, v36, vcc_lo
	v_add_co_u32 v37, vcc_lo, v37, s2
	v_add_co_ci_u32_e32 v38, vcc_lo, s3, v38, vcc_lo
	v_add_co_u32 v39, vcc_lo, v39, s2
	v_add_co_ci_u32_e32 v40, vcc_lo, s3, v40, vcc_lo
	v_add_co_u32 v58, vcc_lo, v58, s2
	v_add_co_ci_u32_e32 v59, vcc_lo, s3, v59, vcc_lo
	v_add_co_u32 v41, vcc_lo, v41, s2
	v_add_co_ci_u32_e32 v42, vcc_lo, s3, v42, vcc_lo
	v_add_co_u32 v43, vcc_lo, v43, s2
	v_add_co_ci_u32_e32 v44, vcc_lo, s3, v44, vcc_lo
	v_add_co_u32 v45, vcc_lo, v45, s2
	v_add_co_ci_u32_e32 v46, vcc_lo, s3, v46, vcc_lo
	v_add_co_u32 v47, vcc_lo, v47, s2
	v_add_co_ci_u32_e32 v48, vcc_lo, s3, v48, vcc_lo
	v_add_co_u32 v49, vcc_lo, v49, s2
	v_add_co_ci_u32_e32 v50, vcc_lo, s3, v50, vcc_lo
	v_add_co_u32 v51, vcc_lo, v51, s2
	v_add_co_ci_u32_e32 v52, vcc_lo, s3, v52, vcc_lo
	v_add_co_u32 v53, vcc_lo, v53, s2
	v_add_co_ci_u32_e32 v54, vcc_lo, s3, v54, vcc_lo
	v_add_co_u32 v60, vcc_lo, v60, s2
	v_add_co_ci_u32_e32 v61, vcc_lo, s3, v61, vcc_lo
	v_add_co_u32 v62, vcc_lo, v62, s2
	v_add_co_ci_u32_e32 v63, vcc_lo, s3, v63, vcc_lo
	v_add_co_u32 v64, vcc_lo, v64, s2
	v_add_co_ci_u32_e32 v65, vcc_lo, s3, v65, vcc_lo
	v_add_co_u32 v66, vcc_lo, v66, s2
	v_add_co_ci_u32_e32 v67, vcc_lo, s3, v67, vcc_lo
	v_add_co_u32 v68, vcc_lo, v68, s2
	v_add_co_ci_u32_e32 v69, vcc_lo, s3, v69, vcc_lo
	v_add_co_u32 v70, vcc_lo, v70, s2
	v_add_co_ci_u32_e32 v71, vcc_lo, s3, v71, vcc_lo
	v_add_co_u32 v72, vcc_lo, v72, s2
	v_add_co_ci_u32_e32 v73, vcc_lo, s3, v73, vcc_lo
	v_add_co_u32 v74, vcc_lo, v74, s2
	v_add_co_ci_u32_e32 v75, vcc_lo, s3, v75, vcc_lo
	v_add_co_u32 v76, vcc_lo, v76, s2
	v_add_co_ci_u32_e32 v77, vcc_lo, s3, v77, vcc_lo
	v_add_co_u32 v78, vcc_lo, v78, s2
	v_add_co_ci_u32_e32 v79, vcc_lo, s3, v79, vcc_lo
	v_add_co_u32 v80, vcc_lo, v80, s2
	v_add_co_ci_u32_e32 v81, vcc_lo, s3, v81, vcc_lo
	v_add_co_u32 v82, vcc_lo, v82, s2
	v_add_co_ci_u32_e32 v83, vcc_lo, s3, v83, vcc_lo
	v_add_co_u32 v84, vcc_lo, v84, s2
	s_add_u32 s24, s24, s15
	v_add_co_ci_u32_e32 v85, vcc_lo, s3, v85, vcc_lo
	s_addc_u32 s25, s25, 0
	v_add_co_u32 v86, vcc_lo, v86, s2
	v_cmp_ge_i64_e64 s8, s[24:25], s[4:5]
	v_add_co_ci_u32_e32 v87, vcc_lo, s3, v87, vcc_lo
	v_add_co_u32 v88, vcc_lo, v88, s2
	v_add_co_ci_u32_e32 v89, vcc_lo, s3, v89, vcc_lo
	s_add_u32 s28, s28, s15
	s_addc_u32 s29, s29, 0
	s_and_b32 vcc_lo, exec_lo, s8
	s_cbranch_vccnz .LBB182_83
; %bb.82:                               ;   in Loop: Header=BB182_53 Depth=1
	v_mov_b32_e32 v90, v1
	s_branch .LBB182_53
.LBB182_83:
	v_and_b32_e32 v2, 0x3ff, v0
	v_bfe_u32 v0, v0, 10, 10
	s_mov_b32 s15, 0
	s_mov_b32 s2, exec_lo
	v_mov_b32_e32 v6, 0
	v_lshrrev_b32_e32 v3, 5, v2
	v_mad_u32_u24 v4, v0, 33, v2
	s_delay_alu instid0(VALU_DEP_2) | instskip(NEXT) | instid1(VALU_DEP_2)
	v_add_nc_u32_e32 v5, v3, v0
	v_lshl_add_u32 v4, v4, 2, 0
	ds_store_b32 v4, v1
	ds_store_b32 v4, v6 offset:2112
	s_waitcnt lgkmcnt(0)
	s_barrier
	buffer_gl0_inv
	v_cmpx_gt_u32_e32 32, v5
	s_cbranch_execz .LBB182_90
; %bb.84:
	v_mbcnt_lo_u32_b32 v6, -1, 0
	v_and_b32_e32 v1, 31, v2
	s_load_b64 s[2:3], s[0:1], 0x30
	v_cmp_ne_u32_e32 vcc_lo, 0, v2
	s_lshl_b64 s[4:5], s[14:15], 5
	v_xor_b32_e32 v4, 8, v6
	v_xor_b32_e32 v2, 4, v6
	;; [unrolled: 1-line block ×3, first 2 shown]
	v_cmp_gt_u32_e64 s0, 16, v1
	v_mul_u32_u24_e32 v8, 0x84, v1
	v_cmp_gt_i32_e64 s1, 32, v4
	v_xor_b32_e32 v10, 1, v6
	v_lshlrev_b32_e32 v11, 2, v5
	s_delay_alu instid0(VALU_DEP_3) | instskip(SKIP_1) | instid1(VALU_DEP_3)
	v_cndmask_b32_e64 v4, v6, v4, s1
	v_cmp_gt_i32_e64 s1, 32, v2
	v_add3_u32 v8, v8, v11, 0
	s_delay_alu instid0(VALU_DEP_2) | instskip(SKIP_3) | instid1(VALU_DEP_3)
	v_cndmask_b32_e64 v9, v6, v2, s1
	v_add_co_u32 v3, s1, v3, v0
	v_lshlrev_b32_e32 v2, 2, v4
	v_add_co_ci_u32_e64 v4, null, 0, 0, s1
	v_add_co_u32 v0, s1, v3, s4
	v_lshlrev_b32_e32 v5, 2, v9
	s_delay_alu instid0(VALU_DEP_3) | instskip(SKIP_3) | instid1(VALU_DEP_2)
	v_add_co_ci_u32_e64 v1, s1, s5, v4, s1
	v_cmp_gt_i32_e64 s1, 32, v7
	s_waitcnt lgkmcnt(0)
	s_cmp_eq_u64 s[2:3], 0
                                        ; implicit-def: $vgpr9
	v_lshlrev_b64 v[0:1], 1, v[0:1]
	s_delay_alu instid0(VALU_DEP_2) | instskip(SKIP_1) | instid1(VALU_DEP_1)
	v_cndmask_b32_e64 v7, v6, v7, s1
	v_cmp_gt_i32_e64 s1, 32, v10
	v_cndmask_b32_e64 v10, v6, v10, s1
	s_delay_alu instid0(VALU_DEP_4) | instskip(NEXT) | instid1(VALU_DEP_4)
	v_add_co_u32 v0, s1, s2, v0
	v_lshlrev_b32_e32 v6, 2, v7
	v_add_co_ci_u32_e64 v1, s1, s3, v1, s1
	s_delay_alu instid0(VALU_DEP_4)
	v_lshlrev_b32_e32 v7, 2, v10
	s_cselect_b32 s3, -1, 0
	s_set_inst_prefetch_distance 0x1
	s_branch .LBB182_86
	.p2align	6
.LBB182_85:                             ;   in Loop: Header=BB182_86 Depth=1
	s_or_b32 exec_lo, exec_lo, s1
	v_add_co_u32 v3, s1, v3, 16
	s_delay_alu instid0(VALU_DEP_1) | instskip(SKIP_1) | instid1(VALU_DEP_3)
	v_add_co_ci_u32_e64 v4, s1, 0, v4, s1
	v_add_co_u32 v0, s2, v0, 32
	v_add_nc_u32_e32 v10, -16, v3
	v_add_nc_u32_e32 v8, 64, v8
	v_add_co_ci_u32_e64 v1, s2, 0, v1, s2
	s_delay_alu instid0(VALU_DEP_3) | instskip(NEXT) | instid1(VALU_DEP_1)
	v_cmp_lt_u32_e64 s1, 15, v10
	s_or_b32 s15, s1, s15
	s_delay_alu instid0(SALU_CYCLE_1)
	s_and_not1_b32 exec_lo, exec_lo, s15
	s_cbranch_execz .LBB182_90
.LBB182_86:                             ; =>This Inner Loop Header: Depth=1
	s_and_saveexec_b32 s1, s0
	s_cbranch_execz .LBB182_88
; %bb.87:                               ;   in Loop: Header=BB182_86 Depth=1
	ds_load_b32 v9, v8
.LBB182_88:                             ;   in Loop: Header=BB182_86 Depth=1
	s_or_b32 exec_lo, exec_lo, s1
	s_waitcnt lgkmcnt(0)
	ds_bpermute_b32 v10, v2, v9
	s_waitcnt lgkmcnt(0)
	v_add_f32_e32 v9, v9, v10
	ds_bpermute_b32 v10, v5, v9
	s_waitcnt lgkmcnt(0)
	v_add_f32_e32 v9, v9, v10
	;; [unrolled: 3-line block ×3, first 2 shown]
	v_add_co_u32 v9, s1, s4, v3
	s_delay_alu instid0(VALU_DEP_1) | instskip(SKIP_2) | instid1(VALU_DEP_1)
	v_add_co_ci_u32_e64 v10, s1, s5, v4, s1
	ds_bpermute_b32 v12, v7, v11
	v_cmp_le_i64_e64 s1, s[6:7], v[9:10]
	s_or_b32 s1, vcc_lo, s1
	s_delay_alu instid0(SALU_CYCLE_1) | instskip(NEXT) | instid1(SALU_CYCLE_1)
	s_or_b32 s1, s3, s1
	s_xor_b32 s2, s1, -1
	s_waitcnt lgkmcnt(0)
	v_add_f32_e32 v9, v11, v12
	s_and_saveexec_b32 s1, s2
	s_cbranch_execz .LBB182_85
; %bb.89:                               ;   in Loop: Header=BB182_86 Depth=1
	s_delay_alu instid0(VALU_DEP_1)
	v_cvt_f16_f32_e32 v10, v9
	global_store_b16 v[0:1], v10, off
	s_branch .LBB182_85
.LBB182_90:
	s_set_inst_prefetch_distance 0x2
	s_nop 0
	s_sendmsg sendmsg(MSG_DEALLOC_VGPRS)
	s_endpgm
	.section	.rodata,"a",@progbits
	.p2align	6, 0x0
	.amdhsa_kernel _ZN2at6native12_GLOBAL__N_135GammaBetaBackwardCUDAKernelTemplateIN3c104HalfEfLj32ELj16ELj128ELb0ELb0ELb1EEEvllPKT_S7_PKT0_SA_PS5_SB_
		.amdhsa_group_segment_fixed_size 0
		.amdhsa_private_segment_fixed_size 0
		.amdhsa_kernarg_size 320
		.amdhsa_user_sgpr_count 14
		.amdhsa_user_sgpr_dispatch_ptr 0
		.amdhsa_user_sgpr_queue_ptr 0
		.amdhsa_user_sgpr_kernarg_segment_ptr 1
		.amdhsa_user_sgpr_dispatch_id 0
		.amdhsa_user_sgpr_private_segment_size 0
		.amdhsa_wavefront_size32 1
		.amdhsa_uses_dynamic_stack 0
		.amdhsa_enable_private_segment 0
		.amdhsa_system_sgpr_workgroup_id_x 1
		.amdhsa_system_sgpr_workgroup_id_y 1
		.amdhsa_system_sgpr_workgroup_id_z 0
		.amdhsa_system_sgpr_workgroup_info 0
		.amdhsa_system_vgpr_workitem_id 1
		.amdhsa_next_free_vgpr 94
		.amdhsa_next_free_sgpr 37
		.amdhsa_reserve_vcc 1
		.amdhsa_float_round_mode_32 0
		.amdhsa_float_round_mode_16_64 0
		.amdhsa_float_denorm_mode_32 3
		.amdhsa_float_denorm_mode_16_64 3
		.amdhsa_dx10_clamp 1
		.amdhsa_ieee_mode 1
		.amdhsa_fp16_overflow 0
		.amdhsa_workgroup_processor_mode 1
		.amdhsa_memory_ordered 1
		.amdhsa_forward_progress 0
		.amdhsa_shared_vgpr_count 0
		.amdhsa_exception_fp_ieee_invalid_op 0
		.amdhsa_exception_fp_denorm_src 0
		.amdhsa_exception_fp_ieee_div_zero 0
		.amdhsa_exception_fp_ieee_overflow 0
		.amdhsa_exception_fp_ieee_underflow 0
		.amdhsa_exception_fp_ieee_inexact 0
		.amdhsa_exception_int_div_zero 0
	.end_amdhsa_kernel
	.section	.text._ZN2at6native12_GLOBAL__N_135GammaBetaBackwardCUDAKernelTemplateIN3c104HalfEfLj32ELj16ELj128ELb0ELb0ELb1EEEvllPKT_S7_PKT0_SA_PS5_SB_,"axG",@progbits,_ZN2at6native12_GLOBAL__N_135GammaBetaBackwardCUDAKernelTemplateIN3c104HalfEfLj32ELj16ELj128ELb0ELb0ELb1EEEvllPKT_S7_PKT0_SA_PS5_SB_,comdat
.Lfunc_end182:
	.size	_ZN2at6native12_GLOBAL__N_135GammaBetaBackwardCUDAKernelTemplateIN3c104HalfEfLj32ELj16ELj128ELb0ELb0ELb1EEEvllPKT_S7_PKT0_SA_PS5_SB_, .Lfunc_end182-_ZN2at6native12_GLOBAL__N_135GammaBetaBackwardCUDAKernelTemplateIN3c104HalfEfLj32ELj16ELj128ELb0ELb0ELb1EEEvllPKT_S7_PKT0_SA_PS5_SB_
                                        ; -- End function
	.section	.AMDGPU.csdata,"",@progbits
; Kernel info:
; codeLenInByte = 7892
; NumSgprs: 39
; NumVgprs: 94
; ScratchSize: 0
; MemoryBound: 0
; FloatMode: 240
; IeeeMode: 1
; LDSByteSize: 0 bytes/workgroup (compile time only)
; SGPRBlocks: 4
; VGPRBlocks: 11
; NumSGPRsForWavesPerEU: 39
; NumVGPRsForWavesPerEU: 94
; Occupancy: 16
; WaveLimiterHint : 0
; COMPUTE_PGM_RSRC2:SCRATCH_EN: 0
; COMPUTE_PGM_RSRC2:USER_SGPR: 14
; COMPUTE_PGM_RSRC2:TRAP_HANDLER: 0
; COMPUTE_PGM_RSRC2:TGID_X_EN: 1
; COMPUTE_PGM_RSRC2:TGID_Y_EN: 1
; COMPUTE_PGM_RSRC2:TGID_Z_EN: 0
; COMPUTE_PGM_RSRC2:TIDIG_COMP_CNT: 1
	.section	.text._ZN2at6native12_GLOBAL__N_135GammaBetaBackwardCUDAKernelTemplateIN3c104HalfEfLj32ELj32ELj256ELb0ELb1ELb1EEEvllPKT_S7_PKT0_SA_PS5_SB_,"axG",@progbits,_ZN2at6native12_GLOBAL__N_135GammaBetaBackwardCUDAKernelTemplateIN3c104HalfEfLj32ELj32ELj256ELb0ELb1ELb1EEEvllPKT_S7_PKT0_SA_PS5_SB_,comdat
	.globl	_ZN2at6native12_GLOBAL__N_135GammaBetaBackwardCUDAKernelTemplateIN3c104HalfEfLj32ELj32ELj256ELb0ELb1ELb1EEEvllPKT_S7_PKT0_SA_PS5_SB_ ; -- Begin function _ZN2at6native12_GLOBAL__N_135GammaBetaBackwardCUDAKernelTemplateIN3c104HalfEfLj32ELj32ELj256ELb0ELb1ELb1EEEvllPKT_S7_PKT0_SA_PS5_SB_
	.p2align	8
	.type	_ZN2at6native12_GLOBAL__N_135GammaBetaBackwardCUDAKernelTemplateIN3c104HalfEfLj32ELj32ELj256ELb0ELb1ELb1EEEvllPKT_S7_PKT0_SA_PS5_SB_,@function
_ZN2at6native12_GLOBAL__N_135GammaBetaBackwardCUDAKernelTemplateIN3c104HalfEfLj32ELj32ELj256ELb0ELb1ELb1EEEvllPKT_S7_PKT0_SA_PS5_SB_: ; @_ZN2at6native12_GLOBAL__N_135GammaBetaBackwardCUDAKernelTemplateIN3c104HalfEfLj32ELj32ELj256ELb0ELb1ELb1EEEvllPKT_S7_PKT0_SA_PS5_SB_
; %bb.0:
	s_load_b128 s[4:7], s[0:1], 0x0
	s_mov_b32 s13, 0
	s_lshl_b32 s12, s15, 8
	v_bfe_u32 v7, v0, 10, 10
	s_waitcnt lgkmcnt(0)
	v_cmp_lt_i64_e64 s2, s[12:13], s[4:5]
	s_delay_alu instid0(VALU_DEP_1)
	s_and_b32 vcc_lo, exec_lo, s2
	s_cbranch_vccnz .LBB183_2
; %bb.1:
	v_bfe_u32 v1, v0, 10, 10
	s_mov_b32 s8, 0
	s_mov_b32 s9, s13
	s_branch .LBB183_3
.LBB183_2:
	s_mov_b32 s9, -1
                                        ; implicit-def: $sgpr8
                                        ; implicit-def: $vgpr1
.LBB183_3:
	s_load_b64 s[2:3], s[0:1], 0x30
	v_dual_mov_b32 v15, s8 :: v_dual_and_b32 v6, 0x3ff, v0
	s_and_not1_b32 vcc_lo, exec_lo, s9
	s_cbranch_vccnz .LBB183_11
; %bb.4:
	s_clause 0x3
	s_load_b32 s15, s[0:1], 0x4c
	s_load_b32 s16, s[0:1], 0x44
	s_load_b128 s[8:11], s[0:1], 0x10
	s_load_b64 s[18:19], s[0:1], 0x28
	v_dual_mov_b32 v1, 0 :: v_dual_lshlrev_b32 v2, 3, v7
	v_lshl_add_u32 v0, s14, 5, v6
	v_dual_mov_b32 v8, 4 :: v_dual_mov_b32 v9, 8
	s_delay_alu instid0(VALU_DEP_3) | instskip(NEXT) | instid1(VALU_DEP_1)
	v_add_co_u32 v2, s1, v2, s12
	v_add_co_ci_u32_e64 v3, null, 0, 0, s1
	s_delay_alu instid0(VALU_DEP_4) | instskip(NEXT) | instid1(VALU_DEP_3)
	v_lshlrev_b64 v[15:16], 1, v[0:1]
	v_mul_lo_u32 v17, s7, v2
	v_dual_mov_b32 v10, 12 :: v_dual_mov_b32 v11, 16
	s_delay_alu instid0(VALU_DEP_4)
	v_mul_lo_u32 v18, s6, v3
	v_dual_mov_b32 v13, 24 :: v_dual_mov_b32 v14, 28
	s_waitcnt lgkmcnt(0)
	s_and_b32 s0, s15, 0xffff
	s_lshl_b32 s16, s16, 8
	v_mad_u32_u24 v4, v7, s0, v6
	v_mov_b32_e32 v12, 20
	s_mul_i32 s1, s7, s16
	s_mul_hi_u32 s15, s6, s16
	s_mov_b32 s17, 0
	v_and_b32_e32 v21, 31, v4
	v_mad_u64_u32 v[4:5], null, s6, v2, 0
	s_add_i32 s21, s15, s1
	s_mul_i32 s20, s6, s16
	s_delay_alu instid0(VALU_DEP_2) | instskip(SKIP_1) | instid1(VALU_DEP_3)
	v_add_co_u32 v2, vcc_lo, v2, v21
	v_add_co_ci_u32_e32 v3, vcc_lo, 0, v3, vcc_lo
	v_add3_u32 v5, v5, v18, v17
	v_cmp_gt_u32_e64 s0, 8, v21
	s_lshl_b64 s[20:21], s[20:21], 1
	s_delay_alu instid0(VALU_DEP_3) | instskip(SKIP_2) | instid1(VALU_DEP_2)
	v_lshlrev_b64 v[17:18], 2, v[2:3]
	s_lshl_b64 s[6:7], s[6:7], 1
	v_lshlrev_b64 v[19:20], 1, v[4:5]
	v_add_co_u32 v4, vcc_lo, s18, v17
	s_delay_alu instid0(VALU_DEP_3) | instskip(NEXT) | instid1(VALU_DEP_3)
	v_add_co_ci_u32_e32 v5, vcc_lo, s19, v18, vcc_lo
	v_add_co_u32 v0, vcc_lo, v19, v15
	s_delay_alu instid0(VALU_DEP_4)
	v_add_co_ci_u32_e32 v16, vcc_lo, v20, v16, vcc_lo
	v_mov_b32_e32 v15, 0
	s_lshl_b64 s[18:19], s[16:17], 2
	s_branch .LBB183_7
.LBB183_5:                              ;   in Loop: Header=BB183_7 Depth=1
	s_or_b32 exec_lo, exec_lo, s15
.LBB183_6:                              ;   in Loop: Header=BB183_7 Depth=1
	s_delay_alu instid0(SALU_CYCLE_1) | instskip(SKIP_4) | instid1(VALU_DEP_4)
	s_or_b32 exec_lo, exec_lo, s1
	v_add_co_u32 v18, vcc_lo, s8, v0
	v_add_co_ci_u32_e32 v19, vcc_lo, s9, v16, vcc_lo
	v_add_co_u32 v20, vcc_lo, s10, v0
	v_add_co_ci_u32_e32 v21, vcc_lo, s11, v16, vcc_lo
	v_add_co_u32 v22, vcc_lo, v18, s6
	s_delay_alu instid0(VALU_DEP_4)
	v_add_co_ci_u32_e32 v23, vcc_lo, s7, v19, vcc_lo
	global_load_u16 v28, v[18:19], off
	global_load_u16 v29, v[20:21], off
	;; [unrolled: 1-line block ×3, first 2 shown]
	v_add_co_u32 v18, vcc_lo, v20, s6
	v_add_co_ci_u32_e32 v19, vcc_lo, s7, v21, vcc_lo
	v_add_co_u32 v20, vcc_lo, v22, s6
	v_add_co_ci_u32_e32 v21, vcc_lo, s7, v23, vcc_lo
	s_delay_alu instid0(VALU_DEP_4) | instskip(NEXT) | instid1(VALU_DEP_4)
	v_add_co_u32 v22, vcc_lo, v18, s6
	v_add_co_ci_u32_e32 v23, vcc_lo, s7, v19, vcc_lo
	s_delay_alu instid0(VALU_DEP_4) | instskip(NEXT) | instid1(VALU_DEP_4)
	;; [unrolled: 3-line block ×3, first 2 shown]
	v_add_co_u32 v26, vcc_lo, v22, s6
	v_add_co_ci_u32_e32 v27, vcc_lo, s7, v23, vcc_lo
	global_load_u16 v31, v[18:19], off
	global_load_u16 v32, v[20:21], off
	;; [unrolled: 1-line block ×5, first 2 shown]
	v_add_co_u32 v18, vcc_lo, v24, s6
	v_add_co_ci_u32_e32 v19, vcc_lo, s7, v25, vcc_lo
	v_add_co_u32 v20, vcc_lo, v26, s6
	v_add_co_ci_u32_e32 v21, vcc_lo, s7, v27, vcc_lo
	s_delay_alu instid0(VALU_DEP_4) | instskip(NEXT) | instid1(VALU_DEP_4)
	v_add_co_u32 v22, vcc_lo, v18, s6
	v_add_co_ci_u32_e32 v23, vcc_lo, s7, v19, vcc_lo
	s_delay_alu instid0(VALU_DEP_4) | instskip(NEXT) | instid1(VALU_DEP_4)
	;; [unrolled: 3-line block ×3, first 2 shown]
	v_add_co_u32 v26, vcc_lo, v22, s6
	v_add_co_ci_u32_e32 v27, vcc_lo, s7, v23, vcc_lo
	global_load_u16 v36, v[18:19], off
	global_load_u16 v37, v[20:21], off
	;; [unrolled: 1-line block ×5, first 2 shown]
	v_add_co_u32 v18, vcc_lo, v24, s6
	v_add_co_ci_u32_e32 v19, vcc_lo, s7, v25, vcc_lo
	v_add_co_u32 v20, vcc_lo, v26, s6
	v_add_co_ci_u32_e32 v21, vcc_lo, s7, v27, vcc_lo
	s_delay_alu instid0(VALU_DEP_4) | instskip(NEXT) | instid1(VALU_DEP_4)
	v_add_co_u32 v22, vcc_lo, v18, s6
	v_add_co_ci_u32_e32 v23, vcc_lo, s7, v19, vcc_lo
	global_load_u16 v18, v[18:19], off
	global_load_u16 v19, v[20:21], off
	;; [unrolled: 1-line block ×3, first 2 shown]
	s_waitcnt vmcnt(16)
	ds_bpermute_b32 v21, v1, v17
	ds_bpermute_b32 v22, v8, v17
	;; [unrolled: 1-line block ×4, first 2 shown]
	v_add_co_u32 v4, vcc_lo, v4, s18
	s_add_u32 s12, s12, s16
	v_add_co_ci_u32_e32 v5, vcc_lo, s19, v5, vcc_lo
	s_addc_u32 s13, s13, 0
	v_add_co_u32 v2, vcc_lo, v2, s16
	v_add_co_ci_u32_e32 v3, vcc_lo, 0, v3, vcc_lo
	v_cmp_lt_i64_e64 s1, s[12:13], s[4:5]
	v_add_co_u32 v0, vcc_lo, v0, s20
	v_add_co_ci_u32_e32 v16, vcc_lo, s21, v16, vcc_lo
	s_delay_alu instid0(VALU_DEP_3)
	s_and_b32 vcc_lo, exec_lo, s1
	s_waitcnt vmcnt(15)
	v_cvt_f32_f16_e32 v23, v28
	s_waitcnt vmcnt(14)
	v_cvt_f32_f16_e32 v24, v29
	;; [unrolled: 2-line block ×6, first 2 shown]
	v_mul_f32_e32 v23, v23, v24
	v_cvt_f32_f16_e32 v24, v31
	s_waitcnt vmcnt(1)
	v_cvt_f32_f16_e32 v19, v19
	s_waitcnt vmcnt(0)
	v_cvt_f32_f16_e32 v20, v20
	s_waitcnt lgkmcnt(3)
	v_fmac_f32_e32 v15, v23, v21
	v_mul_f32_e32 v21, v26, v24
	v_cvt_f32_f16_e32 v23, v33
	ds_bpermute_b32 v24, v11, v17
	ds_bpermute_b32 v26, v12, v17
	s_waitcnt lgkmcnt(4)
	v_fmac_f32_e32 v15, v21, v22
	v_mul_f32_e32 v21, v28, v23
	v_cvt_f32_f16_e32 v22, v35
	ds_bpermute_b32 v23, v13, v17
	v_cvt_f32_f16_e32 v28, v36
	ds_bpermute_b32 v17, v14, v17
	s_waitcnt lgkmcnt(5)
	v_fmac_f32_e32 v15, v21, v25
	v_mul_f32_e32 v21, v29, v22
	v_cvt_f32_f16_e32 v22, v37
	v_cvt_f32_f16_e32 v25, v38
	;; [unrolled: 1-line block ×3, first 2 shown]
	s_waitcnt lgkmcnt(4)
	v_fmac_f32_e32 v15, v21, v27
	v_mul_f32_e32 v21, v28, v22
	v_cvt_f32_f16_e32 v22, v40
	s_waitcnt lgkmcnt(3)
	s_delay_alu instid0(VALU_DEP_2) | instskip(NEXT) | instid1(VALU_DEP_2)
	v_fmac_f32_e32 v15, v21, v24
	v_dual_mul_f32 v21, v25, v29 :: v_dual_mul_f32 v18, v22, v18
	s_waitcnt lgkmcnt(2)
	s_delay_alu instid0(VALU_DEP_1) | instskip(SKIP_1) | instid1(VALU_DEP_1)
	v_fmac_f32_e32 v15, v21, v26
	s_waitcnt lgkmcnt(1)
	v_dual_fmac_f32 v15, v18, v23 :: v_dual_mul_f32 v18, v19, v20
	s_waitcnt lgkmcnt(0)
	s_delay_alu instid0(VALU_DEP_1)
	v_fmac_f32_e32 v15, v18, v17
	s_cbranch_vccz .LBB183_10
.LBB183_7:                              ; =>This Inner Loop Header: Depth=1
	v_mov_b32_e32 v17, 0
	s_and_saveexec_b32 s1, s0
	s_cbranch_execz .LBB183_6
; %bb.8:                                ;   in Loop: Header=BB183_7 Depth=1
	v_mov_b32_e32 v17, 0
	s_mov_b32 s15, exec_lo
	v_cmpx_gt_i64_e64 s[4:5], v[2:3]
	s_cbranch_execz .LBB183_5
; %bb.9:                                ;   in Loop: Header=BB183_7 Depth=1
	global_load_b32 v17, v[4:5], off
	s_branch .LBB183_5
.LBB183_10:
	v_mov_b32_e32 v1, v7
.LBB183_11:
	s_delay_alu instid0(VALU_DEP_1) | instskip(NEXT) | instid1(VALU_DEP_2)
	v_lshrrev_b32_e32 v0, 5, v6
	v_mad_u32_u24 v2, v1, 33, v6
	s_mov_b32 s0, exec_lo
	s_delay_alu instid0(VALU_DEP_2) | instskip(NEXT) | instid1(VALU_DEP_2)
	v_add_nc_u32_e32 v0, v0, v1
	v_lshl_add_u32 v1, v2, 2, 0
	v_mov_b32_e32 v2, 0
	ds_store_b32 v1, v15
	ds_store_b32 v1, v2 offset:4224
	s_waitcnt lgkmcnt(0)
	s_barrier
	buffer_gl0_inv
	v_cmpx_gt_u32_e32 32, v0
	s_cbranch_execz .LBB183_14
; %bb.12:
	v_and_b32_e32 v1, 31, v6
	v_lshlrev_b32_e32 v2, 2, v0
	s_cmp_lg_u64 s[2:3], 0
	s_cselect_b32 s0, -1, 0
	s_delay_alu instid0(VALU_DEP_2) | instskip(NEXT) | instid1(VALU_DEP_1)
	v_mul_u32_u24_e32 v1, 0x84, v1
	v_add3_u32 v1, 0, v2, v1
	v_mbcnt_lo_u32_b32 v2, -1, 0
	ds_load_b32 v1, v1
	v_xor_b32_e32 v3, 16, v2
	v_xor_b32_e32 v4, 8, v2
	s_delay_alu instid0(VALU_DEP_2) | instskip(SKIP_1) | instid1(VALU_DEP_3)
	v_cmp_gt_i32_e32 vcc_lo, 32, v3
	v_cndmask_b32_e32 v3, v2, v3, vcc_lo
	v_cmp_gt_i32_e32 vcc_lo, 32, v4
	v_cndmask_b32_e32 v4, v2, v4, vcc_lo
	s_delay_alu instid0(VALU_DEP_1) | instskip(NEXT) | instid1(VALU_DEP_4)
	v_lshlrev_b32_e32 v4, 2, v4
	v_lshlrev_b32_e32 v3, 2, v3
	s_waitcnt lgkmcnt(0)
	ds_bpermute_b32 v3, v3, v1
	s_waitcnt lgkmcnt(0)
	v_add_f32_e32 v1, v1, v3
	ds_bpermute_b32 v3, v4, v1
	v_xor_b32_e32 v4, 4, v2
	s_delay_alu instid0(VALU_DEP_1) | instskip(SKIP_2) | instid1(VALU_DEP_1)
	v_cmp_gt_i32_e32 vcc_lo, 32, v4
	v_cndmask_b32_e32 v4, v2, v4, vcc_lo
	s_waitcnt lgkmcnt(0)
	v_dual_add_f32 v1, v1, v3 :: v_dual_lshlrev_b32 v4, 2, v4
	ds_bpermute_b32 v3, v4, v1
	v_xor_b32_e32 v4, 2, v2
	s_delay_alu instid0(VALU_DEP_1) | instskip(SKIP_2) | instid1(VALU_DEP_1)
	v_cmp_gt_i32_e32 vcc_lo, 32, v4
	s_waitcnt lgkmcnt(0)
	v_dual_cndmask_b32 v4, v2, v4 :: v_dual_add_f32 v1, v1, v3
	v_lshlrev_b32_e32 v4, 2, v4
	ds_bpermute_b32 v3, v4, v1
	v_xor_b32_e32 v4, 1, v2
	s_delay_alu instid0(VALU_DEP_1) | instskip(SKIP_4) | instid1(VALU_DEP_2)
	v_cmp_gt_i32_e32 vcc_lo, 32, v4
	v_cndmask_b32_e32 v4, v2, v4, vcc_lo
	v_cmp_eq_u32_e32 vcc_lo, 0, v6
	s_and_b32 s0, vcc_lo, s0
	s_waitcnt lgkmcnt(0)
	v_dual_add_f32 v2, v1, v3 :: v_dual_lshlrev_b32 v1, 2, v4
	ds_bpermute_b32 v3, v1, v2
	s_and_b32 exec_lo, exec_lo, s0
	s_cbranch_execz .LBB183_14
; %bb.13:
	s_waitcnt lgkmcnt(0)
	v_dual_mov_b32 v1, 0 :: v_dual_add_f32 v2, v2, v3
	s_mov_b32 s15, 0
	s_delay_alu instid0(SALU_CYCLE_1) | instskip(NEXT) | instid1(VALU_DEP_1)
	s_lshl_b64 s[0:1], s[14:15], 6
	v_lshlrev_b64 v[0:1], 1, v[0:1]
	s_add_u32 s0, s2, s0
	s_addc_u32 s1, s3, s1
	v_cvt_f16_f32_e32 v2, v2
	s_delay_alu instid0(VALU_DEP_2) | instskip(NEXT) | instid1(VALU_DEP_3)
	v_add_co_u32 v0, vcc_lo, s0, v0
	v_add_co_ci_u32_e32 v1, vcc_lo, s1, v1, vcc_lo
	global_store_b16 v[0:1], v2, off
.LBB183_14:
	s_nop 0
	s_sendmsg sendmsg(MSG_DEALLOC_VGPRS)
	s_endpgm
	.section	.rodata,"a",@progbits
	.p2align	6, 0x0
	.amdhsa_kernel _ZN2at6native12_GLOBAL__N_135GammaBetaBackwardCUDAKernelTemplateIN3c104HalfEfLj32ELj32ELj256ELb0ELb1ELb1EEEvllPKT_S7_PKT0_SA_PS5_SB_
		.amdhsa_group_segment_fixed_size 0
		.amdhsa_private_segment_fixed_size 0
		.amdhsa_kernarg_size 320
		.amdhsa_user_sgpr_count 14
		.amdhsa_user_sgpr_dispatch_ptr 0
		.amdhsa_user_sgpr_queue_ptr 0
		.amdhsa_user_sgpr_kernarg_segment_ptr 1
		.amdhsa_user_sgpr_dispatch_id 0
		.amdhsa_user_sgpr_private_segment_size 0
		.amdhsa_wavefront_size32 1
		.amdhsa_uses_dynamic_stack 0
		.amdhsa_enable_private_segment 0
		.amdhsa_system_sgpr_workgroup_id_x 1
		.amdhsa_system_sgpr_workgroup_id_y 1
		.amdhsa_system_sgpr_workgroup_id_z 0
		.amdhsa_system_sgpr_workgroup_info 0
		.amdhsa_system_vgpr_workitem_id 1
		.amdhsa_next_free_vgpr 41
		.amdhsa_next_free_sgpr 22
		.amdhsa_reserve_vcc 1
		.amdhsa_float_round_mode_32 0
		.amdhsa_float_round_mode_16_64 0
		.amdhsa_float_denorm_mode_32 3
		.amdhsa_float_denorm_mode_16_64 3
		.amdhsa_dx10_clamp 1
		.amdhsa_ieee_mode 1
		.amdhsa_fp16_overflow 0
		.amdhsa_workgroup_processor_mode 1
		.amdhsa_memory_ordered 1
		.amdhsa_forward_progress 0
		.amdhsa_shared_vgpr_count 0
		.amdhsa_exception_fp_ieee_invalid_op 0
		.amdhsa_exception_fp_denorm_src 0
		.amdhsa_exception_fp_ieee_div_zero 0
		.amdhsa_exception_fp_ieee_overflow 0
		.amdhsa_exception_fp_ieee_underflow 0
		.amdhsa_exception_fp_ieee_inexact 0
		.amdhsa_exception_int_div_zero 0
	.end_amdhsa_kernel
	.section	.text._ZN2at6native12_GLOBAL__N_135GammaBetaBackwardCUDAKernelTemplateIN3c104HalfEfLj32ELj32ELj256ELb0ELb1ELb1EEEvllPKT_S7_PKT0_SA_PS5_SB_,"axG",@progbits,_ZN2at6native12_GLOBAL__N_135GammaBetaBackwardCUDAKernelTemplateIN3c104HalfEfLj32ELj32ELj256ELb0ELb1ELb1EEEvllPKT_S7_PKT0_SA_PS5_SB_,comdat
.Lfunc_end183:
	.size	_ZN2at6native12_GLOBAL__N_135GammaBetaBackwardCUDAKernelTemplateIN3c104HalfEfLj32ELj32ELj256ELb0ELb1ELb1EEEvllPKT_S7_PKT0_SA_PS5_SB_, .Lfunc_end183-_ZN2at6native12_GLOBAL__N_135GammaBetaBackwardCUDAKernelTemplateIN3c104HalfEfLj32ELj32ELj256ELb0ELb1ELb1EEEvllPKT_S7_PKT0_SA_PS5_SB_
                                        ; -- End function
	.section	.AMDGPU.csdata,"",@progbits
; Kernel info:
; codeLenInByte = 1544
; NumSgprs: 24
; NumVgprs: 41
; ScratchSize: 0
; MemoryBound: 0
; FloatMode: 240
; IeeeMode: 1
; LDSByteSize: 0 bytes/workgroup (compile time only)
; SGPRBlocks: 2
; VGPRBlocks: 5
; NumSGPRsForWavesPerEU: 24
; NumVGPRsForWavesPerEU: 41
; Occupancy: 16
; WaveLimiterHint : 0
; COMPUTE_PGM_RSRC2:SCRATCH_EN: 0
; COMPUTE_PGM_RSRC2:USER_SGPR: 14
; COMPUTE_PGM_RSRC2:TRAP_HANDLER: 0
; COMPUTE_PGM_RSRC2:TGID_X_EN: 1
; COMPUTE_PGM_RSRC2:TGID_Y_EN: 1
; COMPUTE_PGM_RSRC2:TGID_Z_EN: 0
; COMPUTE_PGM_RSRC2:TIDIG_COMP_CNT: 1
	.section	.text._ZN2at6native12_GLOBAL__N_135GammaBetaBackwardCUDAKernelTemplateIN3c104HalfEfLj32ELj32ELj256ELb0ELb0ELb1EEEvllPKT_S7_PKT0_SA_PS5_SB_,"axG",@progbits,_ZN2at6native12_GLOBAL__N_135GammaBetaBackwardCUDAKernelTemplateIN3c104HalfEfLj32ELj32ELj256ELb0ELb0ELb1EEEvllPKT_S7_PKT0_SA_PS5_SB_,comdat
	.globl	_ZN2at6native12_GLOBAL__N_135GammaBetaBackwardCUDAKernelTemplateIN3c104HalfEfLj32ELj32ELj256ELb0ELb0ELb1EEEvllPKT_S7_PKT0_SA_PS5_SB_ ; -- Begin function _ZN2at6native12_GLOBAL__N_135GammaBetaBackwardCUDAKernelTemplateIN3c104HalfEfLj32ELj32ELj256ELb0ELb0ELb1EEEvllPKT_S7_PKT0_SA_PS5_SB_
	.p2align	8
	.type	_ZN2at6native12_GLOBAL__N_135GammaBetaBackwardCUDAKernelTemplateIN3c104HalfEfLj32ELj32ELj256ELb0ELb0ELb1EEEvllPKT_S7_PKT0_SA_PS5_SB_,@function
_ZN2at6native12_GLOBAL__N_135GammaBetaBackwardCUDAKernelTemplateIN3c104HalfEfLj32ELj32ELj256ELb0ELb0ELb1EEEvllPKT_S7_PKT0_SA_PS5_SB_: ; @_ZN2at6native12_GLOBAL__N_135GammaBetaBackwardCUDAKernelTemplateIN3c104HalfEfLj32ELj32ELj256ELb0ELb0ELb1EEEvllPKT_S7_PKT0_SA_PS5_SB_
; %bb.0:
	s_clause 0x1
	s_load_b256 s[4:11], s[0:1], 0x0
	s_load_b64 s[12:13], s[0:1], 0x28
	s_lshl_b32 s33, s14, 5
	s_mov_b32 s25, 0
	s_or_b32 s24, s33, 31
	s_waitcnt lgkmcnt(0)
	v_cmp_ge_i64_e64 s2, s[24:25], s[6:7]
	s_lshl_b32 s24, s15, 8
	s_delay_alu instid0(SALU_CYCLE_1) | instskip(NEXT) | instid1(VALU_DEP_2)
	v_cmp_lt_i64_e64 s15, s[24:25], s[4:5]
	s_and_b32 vcc_lo, exec_lo, s2
	s_delay_alu instid0(VALU_DEP_1) | instskip(NEXT) | instid1(VALU_DEP_1)
	v_cndmask_b32_e64 v1, 0, 1, s15
	v_cmp_ne_u32_e64 s2, 1, v1
	s_cbranch_vccz .LBB184_49
; %bb.1:
	v_mov_b32_e32 v1, 0
	s_delay_alu instid0(VALU_DEP_2)
	s_and_b32 vcc_lo, exec_lo, s2
	s_cbranch_vccnz .LBB184_50
; %bb.2:
	v_bfe_u32 v27, v0, 10, 10
	s_load_b32 s3, s[0:1], 0x44
	v_dual_mov_b32 v2, 0 :: v_dual_and_b32 v29, 0x3ff, v0
	s_add_u32 s26, s0, 64
	s_delay_alu instid0(VALU_DEP_2) | instskip(NEXT) | instid1(VALU_DEP_2)
	v_lshlrev_b32_e32 v28, 3, v27
	v_dual_mov_b32 v62, 0 :: v_dual_add_nc_u32 v1, s33, v29
	s_addc_u32 s27, s1, 0
	s_mov_b32 s16, 0
	s_delay_alu instid0(VALU_DEP_2) | instskip(NEXT) | instid1(VALU_DEP_1)
	v_add_co_u32 v9, s2, v28, s24
	v_add_co_ci_u32_e64 v10, null, 0, 0, s2
	v_cmp_gt_i64_e64 s2, s[6:7], v[1:2]
	s_delay_alu instid0(VALU_DEP_3) | instskip(NEXT) | instid1(VALU_DEP_3)
	v_add_co_u32 v5, vcc_lo, v9, 7
	v_add_co_ci_u32_e32 v3, vcc_lo, 0, v10, vcc_lo
	v_add_co_u32 v8, vcc_lo, v9, 6
	s_delay_alu instid0(VALU_DEP_3) | instskip(NEXT) | instid1(VALU_DEP_3)
	v_mul_lo_u32 v6, s7, v5
	v_mul_lo_u32 v7, s6, v3
	v_mad_u64_u32 v[3:4], null, s6, v5, 0
	v_add_co_ci_u32_e32 v5, vcc_lo, 0, v10, vcc_lo
	v_lshlrev_b64 v[25:26], 1, v[1:2]
	v_mul_lo_u32 v1, s7, v8
	s_waitcnt lgkmcnt(0)
	s_lshl_b32 s36, s3, 8
	s_mov_b64 s[34:35], s[24:25]
	s_delay_alu instid0(VALU_DEP_4) | instskip(SKIP_3) | instid1(VALU_DEP_3)
	v_add3_u32 v4, v4, v7, v6
	v_mul_lo_u32 v7, s6, v5
	v_mad_u64_u32 v[5:6], null, s6, v8, 0
	s_mul_i32 s3, s7, s36
	v_lshlrev_b64 v[3:4], 1, v[3:4]
	s_mul_hi_u32 s17, s6, s36
	s_mul_i32 s18, s6, s36
	s_add_i32 s19, s17, s3
	s_delay_alu instid0(VALU_DEP_2) | instskip(NEXT) | instid1(VALU_DEP_2)
	v_add3_u32 v6, v6, v7, v1
	v_add_co_u32 v30, vcc_lo, s8, v3
	v_add_co_ci_u32_e32 v31, vcc_lo, s9, v4, vcc_lo
	v_add_co_u32 v1, vcc_lo, v9, 5
	v_add_co_u32 v32, s3, s10, v3
	s_delay_alu instid0(VALU_DEP_1) | instskip(SKIP_4) | instid1(VALU_DEP_3)
	v_add_co_ci_u32_e64 v33, s3, s11, v4, s3
	v_lshlrev_b64 v[3:4], 1, v[5:6]
	v_add_co_ci_u32_e32 v5, vcc_lo, 0, v10, vcc_lo
	v_add_co_u32 v12, vcc_lo, v9, 4
	v_mul_lo_u32 v11, s7, v1
	v_mul_lo_u32 v13, s6, v5
	v_mad_u64_u32 v[5:6], null, s6, v1, 0
	v_add_co_ci_u32_e32 v7, vcc_lo, 0, v10, vcc_lo
	v_mul_lo_u32 v1, s7, v12
	v_add_co_u32 v34, vcc_lo, s8, v3
	s_delay_alu instid0(VALU_DEP_3)
	v_mul_lo_u32 v14, s6, v7
	v_mad_u64_u32 v[7:8], null, s6, v12, 0
	v_add3_u32 v6, v6, v13, v11
	v_add_co_ci_u32_e32 v35, vcc_lo, s9, v4, vcc_lo
	v_add_co_u32 v36, vcc_lo, s10, v3
	v_add_co_ci_u32_e32 v37, vcc_lo, s11, v4, vcc_lo
	s_delay_alu instid0(VALU_DEP_4) | instskip(SKIP_3) | instid1(VALU_DEP_4)
	v_lshlrev_b64 v[3:4], 1, v[5:6]
	v_add3_u32 v8, v8, v14, v1
	v_add_co_u32 v1, vcc_lo, v9, 3
	v_add_co_ci_u32_e32 v11, vcc_lo, 0, v10, vcc_lo
	v_add_co_u32 v38, vcc_lo, s8, v3
	s_delay_alu instid0(VALU_DEP_4)
	v_lshlrev_b64 v[5:6], 1, v[7:8]
	v_add_co_ci_u32_e32 v39, vcc_lo, s9, v4, vcc_lo
	v_mul_lo_u32 v12, s7, v1
	v_mul_lo_u32 v11, s6, v11
	v_mad_u64_u32 v[7:8], null, s6, v1, 0
	v_add_co_u32 v40, vcc_lo, s10, v3
	v_add_co_ci_u32_e32 v41, vcc_lo, s11, v4, vcc_lo
	v_add_co_u32 v42, vcc_lo, s8, v5
	v_add_co_ci_u32_e32 v43, vcc_lo, s9, v6, vcc_lo
	v_add_co_u32 v1, vcc_lo, v9, 2
	v_add3_u32 v8, v8, v11, v12
	v_add_co_ci_u32_e32 v11, vcc_lo, 0, v10, vcc_lo
	v_add_co_u32 v44, vcc_lo, s10, v5
	v_add_co_ci_u32_e32 v45, vcc_lo, s11, v6, vcc_lo
	v_mul_lo_u32 v12, s7, v1
	s_delay_alu instid0(VALU_DEP_4)
	v_mul_lo_u32 v11, s6, v11
	v_mad_u64_u32 v[5:6], null, s6, v1, 0
	v_lshlrev_b64 v[3:4], 1, v[7:8]
	v_mul_lo_u32 v1, s7, v9
	v_mul_lo_u32 v10, s6, v10
	v_mad_u64_u32 v[7:8], null, s6, v9, 0
	s_lshl_b64 s[28:29], s[18:19], 1
	s_delay_alu instid0(VALU_DEP_4)
	v_add_co_u32 v46, vcc_lo, s8, v3
	v_add3_u32 v6, v6, v11, v12
	v_add_co_ci_u32_e32 v47, vcc_lo, s9, v4, vcc_lo
	v_add_co_u32 v48, vcc_lo, s10, v3
	v_add3_u32 v8, v8, v10, v1
	v_add_co_ci_u32_e32 v49, vcc_lo, s11, v4, vcc_lo
	v_lshlrev_b64 v[3:4], 1, v[5:6]
	v_add_co_u32 v5, vcc_lo, v7, s6
	s_delay_alu instid0(VALU_DEP_4) | instskip(SKIP_1) | instid1(VALU_DEP_3)
	v_add_co_ci_u32_e32 v6, vcc_lo, s7, v8, vcc_lo
	s_add_u32 s30, s24, 0xff
	v_add_co_u32 v50, vcc_lo, s8, v3
	s_delay_alu instid0(VALU_DEP_2) | instskip(SKIP_3) | instid1(VALU_DEP_4)
	v_lshlrev_b64 v[5:6], 1, v[5:6]
	v_add_co_ci_u32_e32 v51, vcc_lo, s9, v4, vcc_lo
	v_add_co_u32 v52, vcc_lo, s10, v3
	v_add_co_ci_u32_e32 v53, vcc_lo, s11, v4, vcc_lo
	v_add_co_u32 v54, vcc_lo, s8, v5
	v_lshlrev_b64 v[3:4], 1, v[7:8]
	v_add_co_ci_u32_e32 v55, vcc_lo, s9, v6, vcc_lo
	v_add_co_u32 v56, vcc_lo, s10, v5
	v_add_co_ci_u32_e32 v57, vcc_lo, s11, v6, vcc_lo
	s_delay_alu instid0(VALU_DEP_4)
	v_add_co_u32 v58, vcc_lo, s8, v3
	v_add_co_ci_u32_e32 v59, vcc_lo, s9, v4, vcc_lo
	v_add_co_u32 v60, vcc_lo, s10, v3
	v_add_co_ci_u32_e32 v61, vcc_lo, s11, v4, vcc_lo
	s_addc_u32 s31, 0, 0
.LBB184_3:                              ; =>This Inner Loop Header: Depth=1
	s_delay_alu instid0(SALU_CYCLE_1) | instskip(SKIP_1) | instid1(VALU_DEP_1)
	v_cmp_ge_i64_e64 s3, s[30:31], s[4:5]
	v_add_co_u32 v63, s17, v28, s30
	v_add_co_ci_u32_e64 v64, null, 0, s31, s17
	s_delay_alu instid0(VALU_DEP_3)
	s_and_b32 vcc_lo, exec_lo, s3
	s_cbranch_vccz .LBB184_25
; %bb.4:                                ;   in Loop: Header=BB184_3 Depth=1
	s_load_b32 s3, s[26:27], 0xc
	v_mov_b32_e32 v65, 0
	s_waitcnt lgkmcnt(0)
	s_and_b32 s3, s3, 0xffff
	s_delay_alu instid0(SALU_CYCLE_1) | instskip(SKIP_1) | instid1(VALU_DEP_1)
	v_mad_u32_u24 v1, v27, s3, v29
	s_mov_b32 s3, exec_lo
	v_and_b32_e32 v1, 31, v1
	s_delay_alu instid0(VALU_DEP_1)
	v_cmpx_gt_u32_e32 8, v1
	s_cbranch_execz .LBB184_8
; %bb.5:                                ;   in Loop: Header=BB184_3 Depth=1
	v_add_co_u32 v1, vcc_lo, v63, v1
	v_add_co_ci_u32_e32 v4, vcc_lo, 0, v64, vcc_lo
	v_mov_b32_e32 v65, 0
	s_delay_alu instid0(VALU_DEP_3) | instskip(NEXT) | instid1(VALU_DEP_3)
	v_add_co_u32 v3, vcc_lo, 0xffffff01, v1
	v_add_co_ci_u32_e32 v4, vcc_lo, -1, v4, vcc_lo
	s_mov_b32 s17, exec_lo
	s_delay_alu instid0(VALU_DEP_1)
	v_cmpx_gt_i64_e64 s[4:5], v[3:4]
	s_cbranch_execz .LBB184_7
; %bb.6:                                ;   in Loop: Header=BB184_3 Depth=1
	v_lshlrev_b64 v[3:4], 2, v[3:4]
	s_delay_alu instid0(VALU_DEP_1) | instskip(NEXT) | instid1(VALU_DEP_2)
	v_add_co_u32 v3, vcc_lo, s12, v3
	v_add_co_ci_u32_e32 v4, vcc_lo, s13, v4, vcc_lo
	global_load_b32 v65, v[3:4], off
.LBB184_7:                              ;   in Loop: Header=BB184_3 Depth=1
	s_or_b32 exec_lo, exec_lo, s17
.LBB184_8:                              ;   in Loop: Header=BB184_3 Depth=1
	s_delay_alu instid0(SALU_CYCLE_1)
	s_or_b32 exec_lo, exec_lo, s3
	v_add_co_u32 v3, vcc_lo, 0xffffff01, v63
	v_add_co_ci_u32_e32 v4, vcc_lo, -1, v64, vcc_lo
	s_mov_b32 s22, s16
	s_mov_b32 s23, s16
	;; [unrolled: 1-line block ×7, first 2 shown]
	v_dual_mov_b32 v9, s16 :: v_dual_mov_b32 v10, s17
	v_dual_mov_b32 v15, s22 :: v_dual_mov_b32 v16, s23
	;; [unrolled: 1-line block ×4, first 2 shown]
	v_cmp_gt_i64_e32 vcc_lo, s[4:5], v[3:4]
	s_delay_alu instid0(VALU_DEP_4) | instskip(NEXT) | instid1(VALU_DEP_3)
	v_dual_mov_b32 v24, v16 :: v_dual_mov_b32 v23, v15
	v_dual_mov_b32 v21, v13 :: v_dual_mov_b32 v22, v14
	;; [unrolled: 1-line block ×4, first 2 shown]
	s_and_b32 s17, s2, vcc_lo
	s_delay_alu instid0(SALU_CYCLE_1)
	s_and_saveexec_b32 s3, s17
	s_cbranch_execz .LBB184_10
; %bb.9:                                ;   in Loop: Header=BB184_3 Depth=1
	v_add_co_u32 v3, vcc_lo, v58, v25
	v_add_co_ci_u32_e32 v4, vcc_lo, v59, v26, vcc_lo
	v_add_co_u32 v5, vcc_lo, v60, v25
	v_add_co_ci_u32_e32 v6, vcc_lo, v61, v26, vcc_lo
	v_mov_b32_e32 v8, v2
	global_load_u16 v1, v[3:4], off
	global_load_u16 v9, v[5:6], off
	v_mov_b32_e32 v3, v2
	v_mov_b32_e32 v4, v2
	;; [unrolled: 1-line block ×6, first 2 shown]
	s_waitcnt vmcnt(1)
	v_cvt_f32_f16_e32 v1, v1
	v_dual_mov_b32 v11, v2 :: v_dual_mov_b32 v24, v8
	v_dual_mov_b32 v10, v2 :: v_dual_mov_b32 v23, v7
	s_waitcnt vmcnt(0)
	v_cvt_f32_f16_e32 v9, v9
	v_dual_mov_b32 v12, v2 :: v_dual_mov_b32 v21, v5
	v_dual_mov_b32 v13, v2 :: v_dual_mov_b32 v20, v4
	;; [unrolled: 1-line block ×4, first 2 shown]
	v_mov_b32_e32 v22, v6
	v_mov_b32_e32 v18, v2
.LBB184_10:                             ;   in Loop: Header=BB184_3 Depth=1
	s_or_b32 exec_lo, exec_lo, s3
	v_add_co_u32 v3, vcc_lo, 0xffffff02, v63
	v_add_co_ci_u32_e32 v4, vcc_lo, -1, v64, vcc_lo
	s_delay_alu instid0(VALU_DEP_1) | instskip(SKIP_1) | instid1(SALU_CYCLE_1)
	v_cmp_gt_i64_e32 vcc_lo, s[4:5], v[3:4]
	s_and_b32 s17, s2, vcc_lo
	s_and_saveexec_b32 s3, s17
	s_cbranch_execz .LBB184_12
; %bb.11:                               ;   in Loop: Header=BB184_3 Depth=1
	v_add_co_u32 v3, vcc_lo, v54, v25
	v_add_co_ci_u32_e32 v4, vcc_lo, v55, v26, vcc_lo
	v_add_co_u32 v5, vcc_lo, v56, v25
	v_add_co_ci_u32_e32 v6, vcc_lo, v57, v26, vcc_lo
	global_load_u16 v1, v[3:4], off
	global_load_u16 v3, v[5:6], off
	s_waitcnt vmcnt(1)
	v_cvt_f32_f16_e32 v18, v1
	s_waitcnt vmcnt(0)
	v_cvt_f32_f16_e32 v10, v3
.LBB184_12:                             ;   in Loop: Header=BB184_3 Depth=1
	s_or_b32 exec_lo, exec_lo, s3
	v_add_co_u32 v3, vcc_lo, 0xffffff03, v63
	v_add_co_ci_u32_e32 v4, vcc_lo, -1, v64, vcc_lo
	s_delay_alu instid0(VALU_DEP_1) | instskip(SKIP_1) | instid1(SALU_CYCLE_1)
	v_cmp_gt_i64_e32 vcc_lo, s[4:5], v[3:4]
	s_and_b32 s17, s2, vcc_lo
	s_and_saveexec_b32 s3, s17
	s_cbranch_execz .LBB184_14
; %bb.13:                               ;   in Loop: Header=BB184_3 Depth=1
	v_add_co_u32 v3, vcc_lo, v50, v25
	v_add_co_ci_u32_e32 v4, vcc_lo, v51, v26, vcc_lo
	v_add_co_u32 v5, vcc_lo, v52, v25
	v_add_co_ci_u32_e32 v6, vcc_lo, v53, v26, vcc_lo
	global_load_u16 v1, v[3:4], off
	global_load_u16 v3, v[5:6], off
	s_waitcnt vmcnt(1)
	v_cvt_f32_f16_e32 v19, v1
	s_waitcnt vmcnt(0)
	v_cvt_f32_f16_e32 v11, v3
.LBB184_14:                             ;   in Loop: Header=BB184_3 Depth=1
	s_or_b32 exec_lo, exec_lo, s3
	v_add_co_u32 v3, vcc_lo, 0xffffff04, v63
	v_add_co_ci_u32_e32 v4, vcc_lo, -1, v64, vcc_lo
	s_delay_alu instid0(VALU_DEP_1) | instskip(SKIP_1) | instid1(SALU_CYCLE_1)
	v_cmp_gt_i64_e32 vcc_lo, s[4:5], v[3:4]
	s_and_b32 s17, s2, vcc_lo
	s_and_saveexec_b32 s3, s17
	s_cbranch_execz .LBB184_16
; %bb.15:                               ;   in Loop: Header=BB184_3 Depth=1
	v_add_co_u32 v3, vcc_lo, v46, v25
	v_add_co_ci_u32_e32 v4, vcc_lo, v47, v26, vcc_lo
	v_add_co_u32 v5, vcc_lo, v48, v25
	v_add_co_ci_u32_e32 v6, vcc_lo, v49, v26, vcc_lo
	global_load_u16 v1, v[3:4], off
	global_load_u16 v3, v[5:6], off
	s_waitcnt vmcnt(1)
	v_cvt_f32_f16_e32 v20, v1
	s_waitcnt vmcnt(0)
	v_cvt_f32_f16_e32 v12, v3
.LBB184_16:                             ;   in Loop: Header=BB184_3 Depth=1
	s_or_b32 exec_lo, exec_lo, s3
	v_add_co_u32 v3, vcc_lo, 0xffffff05, v63
	v_add_co_ci_u32_e32 v4, vcc_lo, -1, v64, vcc_lo
	s_delay_alu instid0(VALU_DEP_1) | instskip(SKIP_1) | instid1(SALU_CYCLE_1)
	v_cmp_gt_i64_e32 vcc_lo, s[4:5], v[3:4]
	s_and_b32 s17, s2, vcc_lo
	s_and_saveexec_b32 s3, s17
	s_cbranch_execz .LBB184_18
; %bb.17:                               ;   in Loop: Header=BB184_3 Depth=1
	v_add_co_u32 v3, vcc_lo, v42, v25
	v_add_co_ci_u32_e32 v4, vcc_lo, v43, v26, vcc_lo
	v_add_co_u32 v5, vcc_lo, v44, v25
	v_add_co_ci_u32_e32 v6, vcc_lo, v45, v26, vcc_lo
	global_load_u16 v1, v[3:4], off
	global_load_u16 v3, v[5:6], off
	s_waitcnt vmcnt(1)
	v_cvt_f32_f16_e32 v21, v1
	s_waitcnt vmcnt(0)
	v_cvt_f32_f16_e32 v13, v3
.LBB184_18:                             ;   in Loop: Header=BB184_3 Depth=1
	s_or_b32 exec_lo, exec_lo, s3
	v_add_co_u32 v3, vcc_lo, 0xffffff06, v63
	v_add_co_ci_u32_e32 v4, vcc_lo, -1, v64, vcc_lo
	s_delay_alu instid0(VALU_DEP_1) | instskip(SKIP_1) | instid1(SALU_CYCLE_1)
	v_cmp_gt_i64_e32 vcc_lo, s[4:5], v[3:4]
	s_and_b32 s17, s2, vcc_lo
	s_and_saveexec_b32 s3, s17
	s_cbranch_execz .LBB184_20
; %bb.19:                               ;   in Loop: Header=BB184_3 Depth=1
	v_add_co_u32 v3, vcc_lo, v38, v25
	v_add_co_ci_u32_e32 v4, vcc_lo, v39, v26, vcc_lo
	v_add_co_u32 v5, vcc_lo, v40, v25
	v_add_co_ci_u32_e32 v6, vcc_lo, v41, v26, vcc_lo
	global_load_u16 v1, v[3:4], off
	global_load_u16 v3, v[5:6], off
	s_waitcnt vmcnt(1)
	v_cvt_f32_f16_e32 v22, v1
	s_waitcnt vmcnt(0)
	v_cvt_f32_f16_e32 v14, v3
.LBB184_20:                             ;   in Loop: Header=BB184_3 Depth=1
	s_or_b32 exec_lo, exec_lo, s3
	v_add_co_u32 v3, vcc_lo, 0xffffff07, v63
	v_add_co_ci_u32_e32 v4, vcc_lo, -1, v64, vcc_lo
	s_delay_alu instid0(VALU_DEP_1) | instskip(SKIP_1) | instid1(SALU_CYCLE_1)
	v_cmp_gt_i64_e32 vcc_lo, s[4:5], v[3:4]
	s_and_b32 s17, s2, vcc_lo
	s_and_saveexec_b32 s3, s17
	s_cbranch_execz .LBB184_22
; %bb.21:                               ;   in Loop: Header=BB184_3 Depth=1
	v_add_co_u32 v3, vcc_lo, v34, v25
	v_add_co_ci_u32_e32 v4, vcc_lo, v35, v26, vcc_lo
	v_add_co_u32 v5, vcc_lo, v36, v25
	v_add_co_ci_u32_e32 v6, vcc_lo, v37, v26, vcc_lo
	global_load_u16 v1, v[3:4], off
	global_load_u16 v3, v[5:6], off
	s_waitcnt vmcnt(1)
	v_cvt_f32_f16_e32 v23, v1
	s_waitcnt vmcnt(0)
	v_cvt_f32_f16_e32 v15, v3
.LBB184_22:                             ;   in Loop: Header=BB184_3 Depth=1
	s_or_b32 exec_lo, exec_lo, s3
	v_add_co_u32 v3, vcc_lo, 0xffffff08, v63
	v_add_co_ci_u32_e32 v4, vcc_lo, -1, v64, vcc_lo
	s_delay_alu instid0(VALU_DEP_1) | instskip(SKIP_1) | instid1(SALU_CYCLE_1)
	v_cmp_gt_i64_e32 vcc_lo, s[4:5], v[3:4]
	s_and_b32 s17, s2, vcc_lo
	s_and_saveexec_b32 s3, s17
	s_cbranch_execz .LBB184_24
; %bb.23:                               ;   in Loop: Header=BB184_3 Depth=1
	v_add_co_u32 v3, vcc_lo, v30, v25
	v_add_co_ci_u32_e32 v4, vcc_lo, v31, v26, vcc_lo
	v_add_co_u32 v5, vcc_lo, v32, v25
	v_add_co_ci_u32_e32 v6, vcc_lo, v33, v26, vcc_lo
	global_load_u16 v1, v[3:4], off
	global_load_u16 v3, v[5:6], off
	s_waitcnt vmcnt(1)
	v_cvt_f32_f16_e32 v24, v1
	s_waitcnt vmcnt(0)
	v_cvt_f32_f16_e32 v16, v3
.LBB184_24:                             ;   in Loop: Header=BB184_3 Depth=1
	s_or_b32 exec_lo, exec_lo, s3
	s_waitcnt vmcnt(0)
	ds_bpermute_b32 v1, v2, v65
	ds_bpermute_b32 v3, v2, v65 offset:4
	ds_bpermute_b32 v4, v2, v65 offset:8
	v_mul_f32_e32 v5, v9, v17
	ds_bpermute_b32 v6, v2, v65 offset:12
	v_mul_f32_e32 v7, v10, v18
	ds_bpermute_b32 v8, v2, v65 offset:16
	ds_bpermute_b32 v9, v2, v65 offset:20
	s_waitcnt lgkmcnt(5)
	v_fma_f32 v1, v5, v1, v62
	v_mul_f32_e32 v5, v11, v19
	s_waitcnt lgkmcnt(4)
	s_delay_alu instid0(VALU_DEP_2) | instskip(SKIP_2) | instid1(VALU_DEP_2)
	v_fmac_f32_e32 v1, v7, v3
	v_mul_f32_e32 v3, v12, v20
	s_waitcnt lgkmcnt(3)
	v_fmac_f32_e32 v1, v5, v4
	ds_bpermute_b32 v4, v2, v65 offset:24
	v_mul_f32_e32 v5, v13, v21
	s_waitcnt lgkmcnt(3)
	v_fmac_f32_e32 v1, v3, v6
	v_mul_f32_e32 v6, v14, v22
	ds_bpermute_b32 v3, v2, v65 offset:28
	s_waitcnt lgkmcnt(3)
	v_fmac_f32_e32 v1, v5, v8
	v_mul_f32_e32 v5, v15, v23
	s_waitcnt lgkmcnt(2)
	s_delay_alu instid0(VALU_DEP_2) | instskip(SKIP_1) | instid1(VALU_DEP_1)
	v_fmac_f32_e32 v1, v6, v9
	s_waitcnt lgkmcnt(1)
	v_fmac_f32_e32 v1, v5, v4
	s_branch .LBB184_40
.LBB184_25:                             ;   in Loop: Header=BB184_3 Depth=1
                                        ; implicit-def: $vgpr1
                                        ; implicit-def: $vgpr9_vgpr10_vgpr11_vgpr12_vgpr13_vgpr14_vgpr15_vgpr16
                                        ; implicit-def: $vgpr17_vgpr18_vgpr19_vgpr20_vgpr21_vgpr22_vgpr23_vgpr24
                                        ; implicit-def: $vgpr3
	s_cbranch_execz .LBB184_40
; %bb.26:                               ;   in Loop: Header=BB184_3 Depth=1
	s_load_b32 s3, s[26:27], 0x0
	v_mov_b32_e32 v65, 0
	s_waitcnt lgkmcnt(0)
	s_cmp_lt_u32 s14, s3
	s_cselect_b32 s3, 12, 18
	s_delay_alu instid0(SALU_CYCLE_1)
	s_add_u32 s18, s26, s3
	s_addc_u32 s19, s27, 0
	s_mov_b32 s3, exec_lo
	global_load_u16 v1, v2, s[18:19]
	s_waitcnt vmcnt(0)
	v_mad_u32_u24 v1, v27, v1, v29
	s_delay_alu instid0(VALU_DEP_1) | instskip(NEXT) | instid1(VALU_DEP_1)
	v_and_b32_e32 v1, 31, v1
	v_cmpx_gt_u32_e32 8, v1
	s_cbranch_execz .LBB184_30
; %bb.27:                               ;   in Loop: Header=BB184_3 Depth=1
	v_add_co_u32 v1, vcc_lo, v63, v1
	v_add_co_ci_u32_e32 v4, vcc_lo, 0, v64, vcc_lo
	v_mov_b32_e32 v65, 0
	s_delay_alu instid0(VALU_DEP_3) | instskip(NEXT) | instid1(VALU_DEP_3)
	v_add_co_u32 v3, vcc_lo, 0xffffff01, v1
	v_add_co_ci_u32_e32 v4, vcc_lo, -1, v4, vcc_lo
	s_mov_b32 s17, exec_lo
	s_delay_alu instid0(VALU_DEP_1)
	v_cmpx_gt_i64_e64 s[4:5], v[3:4]
	s_cbranch_execz .LBB184_29
; %bb.28:                               ;   in Loop: Header=BB184_3 Depth=1
	v_lshlrev_b64 v[3:4], 2, v[3:4]
	s_delay_alu instid0(VALU_DEP_1) | instskip(NEXT) | instid1(VALU_DEP_2)
	v_add_co_u32 v3, vcc_lo, s12, v3
	v_add_co_ci_u32_e32 v4, vcc_lo, s13, v4, vcc_lo
	global_load_b32 v65, v[3:4], off
.LBB184_29:                             ;   in Loop: Header=BB184_3 Depth=1
	s_or_b32 exec_lo, exec_lo, s17
.LBB184_30:                             ;   in Loop: Header=BB184_3 Depth=1
	s_delay_alu instid0(SALU_CYCLE_1)
	s_or_b32 exec_lo, exec_lo, s3
	s_mov_b32 s22, s16
	s_mov_b32 s23, s16
	;; [unrolled: 1-line block ×7, first 2 shown]
	v_dual_mov_b32 v9, s16 :: v_dual_mov_b32 v10, s17
	v_dual_mov_b32 v15, s22 :: v_dual_mov_b32 v16, s23
	;; [unrolled: 1-line block ×4, first 2 shown]
	s_delay_alu instid0(VALU_DEP_3) | instskip(NEXT) | instid1(VALU_DEP_3)
	v_dual_mov_b32 v24, v16 :: v_dual_mov_b32 v23, v15
	v_dual_mov_b32 v20, v12 :: v_dual_mov_b32 v19, v11
	s_delay_alu instid0(VALU_DEP_3)
	v_dual_mov_b32 v22, v14 :: v_dual_mov_b32 v21, v13
	v_dual_mov_b32 v18, v10 :: v_dual_mov_b32 v17, v9
	s_and_saveexec_b32 s3, s2
	s_cbranch_execnz .LBB184_42
; %bb.31:                               ;   in Loop: Header=BB184_3 Depth=1
	s_or_b32 exec_lo, exec_lo, s3
	s_and_saveexec_b32 s3, s2
	s_cbranch_execnz .LBB184_43
.LBB184_32:                             ;   in Loop: Header=BB184_3 Depth=1
	s_or_b32 exec_lo, exec_lo, s3
	s_and_saveexec_b32 s3, s2
	s_cbranch_execnz .LBB184_44
.LBB184_33:                             ;   in Loop: Header=BB184_3 Depth=1
	s_or_b32 exec_lo, exec_lo, s3
	s_and_saveexec_b32 s3, s2
	s_cbranch_execnz .LBB184_45
.LBB184_34:                             ;   in Loop: Header=BB184_3 Depth=1
	s_or_b32 exec_lo, exec_lo, s3
	s_and_saveexec_b32 s3, s2
	s_cbranch_execnz .LBB184_46
.LBB184_35:                             ;   in Loop: Header=BB184_3 Depth=1
	s_or_b32 exec_lo, exec_lo, s3
	s_and_saveexec_b32 s3, s2
	s_cbranch_execnz .LBB184_47
.LBB184_36:                             ;   in Loop: Header=BB184_3 Depth=1
	s_or_b32 exec_lo, exec_lo, s3
	s_and_saveexec_b32 s3, s2
	s_cbranch_execnz .LBB184_48
.LBB184_37:                             ;   in Loop: Header=BB184_3 Depth=1
	s_or_b32 exec_lo, exec_lo, s3
	s_and_saveexec_b32 s3, s2
	s_cbranch_execz .LBB184_39
.LBB184_38:                             ;   in Loop: Header=BB184_3 Depth=1
	v_add_co_u32 v3, vcc_lo, v30, v25
	v_add_co_ci_u32_e32 v4, vcc_lo, v31, v26, vcc_lo
	v_add_co_u32 v5, vcc_lo, v32, v25
	v_add_co_ci_u32_e32 v6, vcc_lo, v33, v26, vcc_lo
	global_load_u16 v1, v[3:4], off
	global_load_u16 v3, v[5:6], off
	s_waitcnt vmcnt(1)
	v_cvt_f32_f16_e32 v24, v1
	s_waitcnt vmcnt(0)
	v_cvt_f32_f16_e32 v16, v3
.LBB184_39:                             ;   in Loop: Header=BB184_3 Depth=1
	s_or_b32 exec_lo, exec_lo, s3
	s_waitcnt vmcnt(0)
	ds_bpermute_b32 v1, v2, v65
	ds_bpermute_b32 v3, v2, v65 offset:4
	ds_bpermute_b32 v4, v2, v65 offset:8
	;; [unrolled: 1-line block ×3, first 2 shown]
	v_mul_f32_e32 v7, v10, v18
	v_mul_f32_e32 v5, v9, v17
	ds_bpermute_b32 v8, v2, v65 offset:16
	s_waitcnt lgkmcnt(4)
	v_dual_fmac_f32 v62, v5, v1 :: v_dual_mul_f32 v1, v11, v19
	ds_bpermute_b32 v5, v2, v65 offset:20
	s_waitcnt lgkmcnt(4)
	v_dual_fmac_f32 v62, v7, v3 :: v_dual_mul_f32 v3, v12, v20
	s_waitcnt lgkmcnt(3)
	s_delay_alu instid0(VALU_DEP_1)
	v_fmac_f32_e32 v62, v1, v4
	ds_bpermute_b32 v1, v2, v65 offset:24
	v_mul_f32_e32 v4, v13, v21
	s_waitcnt lgkmcnt(3)
	v_fmac_f32_e32 v62, v3, v6
	v_mul_f32_e32 v6, v14, v22
	ds_bpermute_b32 v3, v2, v65 offset:28
	s_waitcnt lgkmcnt(3)
	v_fmac_f32_e32 v62, v4, v8
	v_mul_f32_e32 v4, v15, v23
	s_waitcnt lgkmcnt(2)
	s_delay_alu instid0(VALU_DEP_2) | instskip(SKIP_1) | instid1(VALU_DEP_1)
	v_fmac_f32_e32 v62, v6, v5
	s_waitcnt lgkmcnt(1)
	v_fmac_f32_e32 v62, v4, v1
	s_delay_alu instid0(VALU_DEP_1)
	v_mov_b32_e32 v1, v62
.LBB184_40:                             ;   in Loop: Header=BB184_3 Depth=1
	v_add_co_u32 v30, vcc_lo, v30, s28
	v_add_co_ci_u32_e32 v31, vcc_lo, s29, v31, vcc_lo
	v_add_co_u32 v32, vcc_lo, v32, s28
	v_add_co_ci_u32_e32 v33, vcc_lo, s29, v33, vcc_lo
	;; [unrolled: 2-line block ×13, first 2 shown]
	v_add_co_u32 v56, vcc_lo, v56, s28
	s_add_u32 s34, s34, s36
	v_add_co_ci_u32_e32 v57, vcc_lo, s29, v57, vcc_lo
	v_mul_f32_e32 v4, v24, v16
	s_addc_u32 s35, s35, 0
	v_add_co_u32 v58, vcc_lo, v58, s28
	v_cmp_lt_i64_e64 s3, s[34:35], s[4:5]
	v_add_co_ci_u32_e32 v59, vcc_lo, s29, v59, vcc_lo
	v_add_co_u32 v60, vcc_lo, v60, s28
	s_waitcnt lgkmcnt(0)
	v_fmac_f32_e32 v1, v4, v3
	v_add_co_ci_u32_e32 v61, vcc_lo, s29, v61, vcc_lo
	s_add_u32 s30, s30, s36
	s_addc_u32 s31, s31, 0
	s_and_b32 vcc_lo, exec_lo, s3
	s_cbranch_vccz .LBB184_50
; %bb.41:                               ;   in Loop: Header=BB184_3 Depth=1
	v_mov_b32_e32 v62, v1
	s_branch .LBB184_3
.LBB184_42:                             ;   in Loop: Header=BB184_3 Depth=1
	v_add_co_u32 v3, vcc_lo, v58, v25
	v_add_co_ci_u32_e32 v4, vcc_lo, v59, v26, vcc_lo
	v_add_co_u32 v5, vcc_lo, v60, v25
	v_add_co_ci_u32_e32 v6, vcc_lo, v61, v26, vcc_lo
	v_mov_b32_e32 v8, v2
	global_load_u16 v1, v[3:4], off
	global_load_u16 v9, v[5:6], off
	v_mov_b32_e32 v3, v2
	v_mov_b32_e32 v4, v2
	;; [unrolled: 1-line block ×6, first 2 shown]
	s_waitcnt vmcnt(1)
	v_cvt_f32_f16_e32 v1, v1
	v_dual_mov_b32 v11, v2 :: v_dual_mov_b32 v24, v8
	v_dual_mov_b32 v10, v2 :: v_dual_mov_b32 v23, v7
	s_waitcnt vmcnt(0)
	v_cvt_f32_f16_e32 v9, v9
	v_dual_mov_b32 v12, v2 :: v_dual_mov_b32 v21, v5
	v_dual_mov_b32 v13, v2 :: v_dual_mov_b32 v20, v4
	;; [unrolled: 1-line block ×4, first 2 shown]
	v_mov_b32_e32 v22, v6
	v_mov_b32_e32 v18, v2
	s_or_b32 exec_lo, exec_lo, s3
	s_and_saveexec_b32 s3, s2
	s_cbranch_execz .LBB184_32
.LBB184_43:                             ;   in Loop: Header=BB184_3 Depth=1
	v_add_co_u32 v3, vcc_lo, v54, v25
	v_add_co_ci_u32_e32 v4, vcc_lo, v55, v26, vcc_lo
	v_add_co_u32 v5, vcc_lo, v56, v25
	v_add_co_ci_u32_e32 v6, vcc_lo, v57, v26, vcc_lo
	global_load_u16 v1, v[3:4], off
	global_load_u16 v3, v[5:6], off
	s_waitcnt vmcnt(1)
	v_cvt_f32_f16_e32 v18, v1
	s_waitcnt vmcnt(0)
	v_cvt_f32_f16_e32 v10, v3
	s_or_b32 exec_lo, exec_lo, s3
	s_and_saveexec_b32 s3, s2
	s_cbranch_execz .LBB184_33
.LBB184_44:                             ;   in Loop: Header=BB184_3 Depth=1
	v_add_co_u32 v3, vcc_lo, v50, v25
	v_add_co_ci_u32_e32 v4, vcc_lo, v51, v26, vcc_lo
	v_add_co_u32 v5, vcc_lo, v52, v25
	v_add_co_ci_u32_e32 v6, vcc_lo, v53, v26, vcc_lo
	global_load_u16 v1, v[3:4], off
	global_load_u16 v3, v[5:6], off
	s_waitcnt vmcnt(1)
	v_cvt_f32_f16_e32 v19, v1
	s_waitcnt vmcnt(0)
	v_cvt_f32_f16_e32 v11, v3
	s_or_b32 exec_lo, exec_lo, s3
	s_and_saveexec_b32 s3, s2
	s_cbranch_execz .LBB184_34
.LBB184_45:                             ;   in Loop: Header=BB184_3 Depth=1
	v_add_co_u32 v3, vcc_lo, v46, v25
	v_add_co_ci_u32_e32 v4, vcc_lo, v47, v26, vcc_lo
	v_add_co_u32 v5, vcc_lo, v48, v25
	v_add_co_ci_u32_e32 v6, vcc_lo, v49, v26, vcc_lo
	global_load_u16 v1, v[3:4], off
	global_load_u16 v3, v[5:6], off
	s_waitcnt vmcnt(1)
	v_cvt_f32_f16_e32 v20, v1
	s_waitcnt vmcnt(0)
	v_cvt_f32_f16_e32 v12, v3
	s_or_b32 exec_lo, exec_lo, s3
	s_and_saveexec_b32 s3, s2
	s_cbranch_execz .LBB184_35
.LBB184_46:                             ;   in Loop: Header=BB184_3 Depth=1
	v_add_co_u32 v3, vcc_lo, v42, v25
	v_add_co_ci_u32_e32 v4, vcc_lo, v43, v26, vcc_lo
	v_add_co_u32 v5, vcc_lo, v44, v25
	v_add_co_ci_u32_e32 v6, vcc_lo, v45, v26, vcc_lo
	global_load_u16 v1, v[3:4], off
	global_load_u16 v3, v[5:6], off
	s_waitcnt vmcnt(1)
	v_cvt_f32_f16_e32 v21, v1
	s_waitcnt vmcnt(0)
	v_cvt_f32_f16_e32 v13, v3
	s_or_b32 exec_lo, exec_lo, s3
	s_and_saveexec_b32 s3, s2
	s_cbranch_execz .LBB184_36
.LBB184_47:                             ;   in Loop: Header=BB184_3 Depth=1
	v_add_co_u32 v3, vcc_lo, v38, v25
	v_add_co_ci_u32_e32 v4, vcc_lo, v39, v26, vcc_lo
	v_add_co_u32 v5, vcc_lo, v40, v25
	v_add_co_ci_u32_e32 v6, vcc_lo, v41, v26, vcc_lo
	global_load_u16 v1, v[3:4], off
	global_load_u16 v3, v[5:6], off
	s_waitcnt vmcnt(1)
	v_cvt_f32_f16_e32 v22, v1
	s_waitcnt vmcnt(0)
	v_cvt_f32_f16_e32 v14, v3
	s_or_b32 exec_lo, exec_lo, s3
	s_and_saveexec_b32 s3, s2
	s_cbranch_execz .LBB184_37
.LBB184_48:                             ;   in Loop: Header=BB184_3 Depth=1
	v_add_co_u32 v3, vcc_lo, v34, v25
	v_add_co_ci_u32_e32 v4, vcc_lo, v35, v26, vcc_lo
	v_add_co_u32 v5, vcc_lo, v36, v25
	v_add_co_ci_u32_e32 v6, vcc_lo, v37, v26, vcc_lo
	global_load_u16 v1, v[3:4], off
	global_load_u16 v3, v[5:6], off
	s_waitcnt vmcnt(1)
	v_cvt_f32_f16_e32 v23, v1
	s_waitcnt vmcnt(0)
	v_cvt_f32_f16_e32 v15, v3
	s_or_b32 exec_lo, exec_lo, s3
	s_and_saveexec_b32 s3, s2
	s_cbranch_execnz .LBB184_38
	s_branch .LBB184_39
.LBB184_49:
                                        ; implicit-def: $vgpr1
	s_branch .LBB184_51
.LBB184_50:
	s_cbranch_execnz .LBB184_83
.LBB184_51:
	v_mov_b32_e32 v1, 0
	s_and_not1_b32 vcc_lo, exec_lo, s15
	s_cbranch_vccnz .LBB184_83
; %bb.52:
	s_load_b32 s2, s[0:1], 0x44
	v_dual_mov_b32 v2, 0 :: v_dual_and_b32 v55, 0x3ff, v0
	v_bfe_u32 v56, v0, 10, 10
	s_add_u32 s26, s0, 64
	s_addc_u32 s27, s1, 0
	s_delay_alu instid0(VALU_DEP_2) | instskip(NEXT) | instid1(VALU_DEP_2)
	v_dual_mov_b32 v90, 0 :: v_dual_add_nc_u32 v1, s33, v55
	v_lshlrev_b32_e32 v3, 4, v56
	v_lshlrev_b32_e32 v57, 3, v56
	s_delay_alu instid0(VALU_DEP_3)
	v_lshlrev_b64 v[25:26], 1, v[1:2]
	s_waitcnt lgkmcnt(0)
	s_lshl_b32 s15, s2, 8
	s_add_u32 s28, s24, 0xff
	s_addc_u32 s29, 0, 0
	s_lshl_b64 s[2:3], s[24:25], 1
	s_mul_i32 s16, s7, s15
	v_add_co_u32 v1, s2, v3, s2
	s_delay_alu instid0(VALU_DEP_1) | instskip(SKIP_1) | instid1(VALU_DEP_3)
	v_add_co_ci_u32_e64 v3, null, 0, s3, s2
	v_add_co_u32 v74, s3, v57, s24
	v_add_co_u32 v7, vcc_lo, v1, 2
	s_delay_alu instid0(VALU_DEP_3) | instskip(SKIP_3) | instid1(VALU_DEP_4)
	v_add_co_ci_u32_e32 v4, vcc_lo, 0, v3, vcc_lo
	v_add_co_u32 v8, vcc_lo, v1, 4
	v_add_co_ci_u32_e32 v5, vcc_lo, 0, v3, vcc_lo
	v_add_co_u32 v11, vcc_lo, v1, 6
	v_mul_lo_u32 v9, s6, v4
	v_add_co_ci_u32_e32 v4, vcc_lo, 0, v3, vcc_lo
	v_add_co_u32 v14, vcc_lo, v1, 8
	v_mul_lo_u32 v12, s6, v5
	;; [unrolled: 3-line block ×4, first 2 shown]
	v_add_co_ci_u32_e32 v5, vcc_lo, 0, v3, vcc_lo
	v_add_co_ci_u32_e64 v75, null, 0, 0, s3
	v_add_co_u32 v1, vcc_lo, v1, 14
	v_mul_lo_u32 v21, s6, v4
	s_delay_alu instid0(VALU_DEP_4) | instskip(SKIP_4) | instid1(VALU_DEP_4)
	v_mul_lo_u32 v23, s6, v5
	v_add_co_ci_u32_e32 v5, vcc_lo, 0, v3, vcc_lo
	v_mul_lo_u32 v6, s7, v74
	v_mul_lo_u32 v41, s6, v75
	v_mad_u64_u32 v[3:4], null, s6, v74, 0
	v_mul_lo_u32 v60, s6, v5
	v_mad_u64_u32 v[27:28], null, s6, v7, s[8:9]
	;; [unrolled: 2-line block ×3, first 2 shown]
	v_add3_u32 v4, v4, v41, v6
	v_mad_u64_u32 v[41:42], null, s6, v7, s[10:11]
	v_mul_lo_u32 v13, s7, v8
	v_mad_u64_u32 v[43:44], null, s6, v8, s[10:11]
	s_delay_alu instid0(VALU_DEP_4)
	v_lshlrev_b64 v[5:6], 1, v[3:4]
	v_add3_u32 v28, v10, v28, v9
	v_mad_u64_u32 v[31:32], null, s6, v11, s[8:9]
	v_add3_u32 v42, v10, v42, v9
	v_add3_u32 v30, v13, v30, v12
	v_add_co_u32 v58, vcc_lo, s8, v5
	v_add_co_ci_u32_e32 v59, vcc_lo, s9, v6, vcc_lo
	v_add_co_u32 v9, vcc_lo, v74, 7
	v_add_co_ci_u32_e32 v7, vcc_lo, 0, v75, vcc_lo
	v_add3_u32 v44, v13, v44, v12
	v_add_co_u32 v12, vcc_lo, v74, 6
	v_mul_lo_u32 v16, s7, v11
	v_mad_u64_u32 v[39:40], null, s6, v1, s[8:9]
	v_mul_lo_u32 v61, s7, v1
	v_mad_u64_u32 v[45:46], null, s6, v11, s[10:11]
	v_mad_u64_u32 v[53:54], null, s6, v1, s[10:11]
	v_mul_lo_u32 v1, s7, v9
	v_mul_lo_u32 v11, s6, v7
	v_mad_u64_u32 v[7:8], null, s6, v9, 0
	v_add_co_ci_u32_e32 v10, vcc_lo, 0, v75, vcc_lo
	v_mad_u64_u32 v[33:34], null, s6, v14, s[8:9]
	v_mul_lo_u32 v19, s7, v14
	v_mad_u64_u32 v[47:48], null, s6, v14, s[10:11]
	v_mul_lo_u32 v13, s7, v12
	v_mul_lo_u32 v14, s6, v10
	v_mad_u64_u32 v[9:10], null, s6, v12, 0
	v_add3_u32 v8, v8, v11, v1
	v_add3_u32 v40, v61, v40, v60
	;; [unrolled: 1-line block ×3, first 2 shown]
	v_add_co_u32 v60, vcc_lo, s10, v5
	v_add_co_ci_u32_e32 v61, vcc_lo, s11, v6, vcc_lo
	v_lshlrev_b64 v[5:6], 1, v[7:8]
	v_add3_u32 v10, v10, v14, v13
	v_add_co_u32 v1, vcc_lo, v74, 5
	v_add_co_ci_u32_e32 v11, vcc_lo, 0, v75, vcc_lo
	s_delay_alu instid0(VALU_DEP_4) | instskip(NEXT) | instid1(VALU_DEP_4)
	v_add_co_u32 v62, vcc_lo, s8, v5
	v_lshlrev_b64 v[7:8], 1, v[9:10]
	v_add_co_ci_u32_e32 v63, vcc_lo, s9, v6, vcc_lo
	v_mul_lo_u32 v12, s7, v1
	v_mul_lo_u32 v11, s6, v11
	v_mad_u64_u32 v[9:10], null, s6, v1, 0
	v_add_co_u32 v64, vcc_lo, s10, v5
	v_add_co_ci_u32_e32 v65, vcc_lo, s11, v6, vcc_lo
	v_add_co_u32 v66, vcc_lo, s8, v7
	v_add_co_ci_u32_e32 v67, vcc_lo, s9, v8, vcc_lo
	s_mul_hi_u32 s2, s6, s15
	v_add_co_u32 v1, vcc_lo, v74, 4
	v_add3_u32 v10, v10, v11, v12
	s_add_i32 s3, s2, s16
	v_add_co_u32 v68, s2, s10, v7
	v_add_co_ci_u32_e32 v7, vcc_lo, 0, v75, vcc_lo
	v_add_co_u32 v12, vcc_lo, v74, 3
	v_lshlrev_b64 v[5:6], 1, v[9:10]
	v_add_co_ci_u32_e32 v9, vcc_lo, 0, v75, vcc_lo
	v_add_co_ci_u32_e64 v69, s2, s11, v8, s2
	v_mul_lo_u32 v11, s7, v1
	v_mul_lo_u32 v13, s6, v7
	v_mad_u64_u32 v[7:8], null, s6, v1, 0
	v_mul_lo_u32 v1, s7, v12
	v_mul_lo_u32 v14, s6, v9
	v_mad_u64_u32 v[9:10], null, s6, v12, 0
	v_add_co_u32 v70, vcc_lo, s8, v5
	v_add_co_ci_u32_e32 v71, vcc_lo, s9, v6, vcc_lo
	v_add3_u32 v8, v8, v13, v11
	v_add_co_u32 v72, vcc_lo, s10, v5
	v_add_co_ci_u32_e32 v73, vcc_lo, s11, v6, vcc_lo
	v_add3_u32 v10, v10, v14, v1
	v_add_co_u32 v1, vcc_lo, v74, 2
	v_lshlrev_b64 v[5:6], 1, v[7:8]
	v_add_co_ci_u32_e32 v11, vcc_lo, 0, v75, vcc_lo
	s_delay_alu instid0(VALU_DEP_4) | instskip(NEXT) | instid1(VALU_DEP_4)
	v_lshlrev_b64 v[7:8], 1, v[9:10]
	v_mul_lo_u32 v12, s7, v1
	v_mad_u64_u32 v[9:10], null, s6, v1, 0
	v_add_co_u32 v74, vcc_lo, s8, v5
	v_mul_lo_u32 v11, s6, v11
	v_add_co_ci_u32_e32 v75, vcc_lo, s9, v6, vcc_lo
	v_add_co_u32 v76, vcc_lo, s10, v5
	v_add_co_ci_u32_e32 v77, vcc_lo, s11, v6, vcc_lo
	v_add_co_u32 v78, vcc_lo, s8, v7
	v_add_co_ci_u32_e32 v79, vcc_lo, s9, v8, vcc_lo
	v_add3_u32 v10, v10, v11, v12
	v_add_co_u32 v80, vcc_lo, s10, v7
	v_add_co_ci_u32_e32 v81, vcc_lo, s11, v8, vcc_lo
	v_add_co_u32 v3, vcc_lo, v3, s6
	s_delay_alu instid0(VALU_DEP_4) | instskip(SKIP_3) | instid1(VALU_DEP_4)
	v_lshlrev_b64 v[5:6], 1, v[9:10]
	v_add_co_ci_u32_e32 v4, vcc_lo, s7, v4, vcc_lo
	v_mad_u64_u32 v[35:36], null, s6, v18, s[8:9]
	v_mul_lo_u32 v22, s7, v18
	v_add_co_u32 v82, vcc_lo, s8, v5
	s_delay_alu instid0(VALU_DEP_4)
	v_lshlrev_b64 v[3:4], 1, v[3:4]
	v_add_co_ci_u32_e32 v83, vcc_lo, s9, v6, vcc_lo
	v_mad_u64_u32 v[37:38], null, s6, v20, s[8:9]
	v_mul_lo_u32 v24, s7, v20
	v_mad_u64_u32 v[49:50], null, s6, v18, s[10:11]
	v_mad_u64_u32 v[51:52], null, s6, v20, s[10:11]
	v_add_co_u32 v84, vcc_lo, s10, v5
	v_add_co_ci_u32_e32 v85, vcc_lo, s11, v6, vcc_lo
	v_add_co_u32 v86, vcc_lo, s8, v3
	v_add_co_ci_u32_e32 v87, vcc_lo, s9, v4, vcc_lo
	v_add_co_u32 v88, vcc_lo, s10, v3
	v_add3_u32 v32, v16, v32, v15
	v_add3_u32 v34, v19, v34, v17
	;; [unrolled: 1-line block ×8, first 2 shown]
	v_add_co_ci_u32_e32 v89, vcc_lo, s11, v4, vcc_lo
	s_mul_i32 s2, s6, s15
	s_mov_b32 s16, 0
	s_lshl_b64 s[2:3], s[2:3], 1
.LBB184_53:                             ; =>This Inner Loop Header: Depth=1
	v_cmp_ge_i64_e64 s8, s[28:29], s[4:5]
	v_add_co_u32 v91, s9, v57, s28
	s_delay_alu instid0(VALU_DEP_1) | instskip(NEXT) | instid1(VALU_DEP_3)
	v_add_co_ci_u32_e64 v92, null, 0, s29, s9
	s_and_b32 vcc_lo, exec_lo, s8
	s_cbranch_vccz .LBB184_75
; %bb.54:                               ;   in Loop: Header=BB184_53 Depth=1
	s_load_b32 s8, s[26:27], 0xc
	v_mov_b32_e32 v93, 0
	s_waitcnt lgkmcnt(0)
	s_and_b32 s8, s8, 0xffff
	s_delay_alu instid0(SALU_CYCLE_1) | instskip(SKIP_1) | instid1(VALU_DEP_1)
	v_mad_u32_u24 v1, v56, s8, v55
	s_mov_b32 s8, exec_lo
	v_and_b32_e32 v1, 31, v1
	s_delay_alu instid0(VALU_DEP_1)
	v_cmpx_gt_u32_e32 8, v1
	s_cbranch_execz .LBB184_58
; %bb.55:                               ;   in Loop: Header=BB184_53 Depth=1
	v_add_co_u32 v1, vcc_lo, v91, v1
	v_add_co_ci_u32_e32 v4, vcc_lo, 0, v92, vcc_lo
	v_mov_b32_e32 v93, 0
	s_delay_alu instid0(VALU_DEP_3) | instskip(NEXT) | instid1(VALU_DEP_3)
	v_add_co_u32 v3, vcc_lo, 0xffffff01, v1
	v_add_co_ci_u32_e32 v4, vcc_lo, -1, v4, vcc_lo
	s_mov_b32 s9, exec_lo
	s_delay_alu instid0(VALU_DEP_1)
	v_cmpx_gt_i64_e64 s[4:5], v[3:4]
	s_cbranch_execz .LBB184_57
; %bb.56:                               ;   in Loop: Header=BB184_53 Depth=1
	v_lshlrev_b64 v[3:4], 2, v[3:4]
	s_delay_alu instid0(VALU_DEP_1) | instskip(NEXT) | instid1(VALU_DEP_2)
	v_add_co_u32 v3, vcc_lo, s12, v3
	v_add_co_ci_u32_e32 v4, vcc_lo, s13, v4, vcc_lo
	global_load_b32 v93, v[3:4], off
.LBB184_57:                             ;   in Loop: Header=BB184_53 Depth=1
	s_or_b32 exec_lo, exec_lo, s9
.LBB184_58:                             ;   in Loop: Header=BB184_53 Depth=1
	s_delay_alu instid0(SALU_CYCLE_1)
	s_or_b32 exec_lo, exec_lo, s8
	s_mov_b32 s22, s16
	s_mov_b32 s23, s16
	;; [unrolled: 1-line block ×7, first 2 shown]
	v_dual_mov_b32 v9, s16 :: v_dual_mov_b32 v10, s17
	v_dual_mov_b32 v15, s22 :: v_dual_mov_b32 v16, s23
	;; [unrolled: 1-line block ×4, first 2 shown]
	v_add_co_u32 v3, vcc_lo, 0xffffff01, v91
	s_delay_alu instid0(VALU_DEP_4) | instskip(SKIP_1) | instid1(VALU_DEP_4)
	v_dual_mov_b32 v24, v16 :: v_dual_mov_b32 v23, v15
	v_add_co_ci_u32_e32 v4, vcc_lo, -1, v92, vcc_lo
	v_dual_mov_b32 v22, v14 :: v_dual_mov_b32 v21, v13
	v_dual_mov_b32 v20, v12 :: v_dual_mov_b32 v19, v11
	;; [unrolled: 1-line block ×3, first 2 shown]
	s_mov_b32 s8, exec_lo
	v_cmpx_gt_i64_e64 s[4:5], v[3:4]
	s_cbranch_execz .LBB184_60
; %bb.59:                               ;   in Loop: Header=BB184_53 Depth=1
	v_add_co_u32 v3, vcc_lo, v58, v25
	v_add_co_ci_u32_e32 v4, vcc_lo, v59, v26, vcc_lo
	v_add_co_u32 v5, vcc_lo, v60, v25
	v_add_co_ci_u32_e32 v6, vcc_lo, v61, v26, vcc_lo
	v_mov_b32_e32 v8, v2
	global_load_u16 v1, v[3:4], off
	global_load_u16 v9, v[5:6], off
	v_mov_b32_e32 v3, v2
	v_mov_b32_e32 v4, v2
	;; [unrolled: 1-line block ×6, first 2 shown]
	s_waitcnt vmcnt(1)
	v_cvt_f32_f16_e32 v1, v1
	v_dual_mov_b32 v11, v2 :: v_dual_mov_b32 v24, v8
	v_dual_mov_b32 v10, v2 :: v_dual_mov_b32 v23, v7
	s_waitcnt vmcnt(0)
	v_cvt_f32_f16_e32 v9, v9
	v_dual_mov_b32 v12, v2 :: v_dual_mov_b32 v21, v5
	v_dual_mov_b32 v13, v2 :: v_dual_mov_b32 v20, v4
	;; [unrolled: 1-line block ×4, first 2 shown]
	v_mov_b32_e32 v22, v6
	v_mov_b32_e32 v18, v2
.LBB184_60:                             ;   in Loop: Header=BB184_53 Depth=1
	s_or_b32 exec_lo, exec_lo, s8
	v_add_co_u32 v3, vcc_lo, 0xffffff02, v91
	v_add_co_ci_u32_e32 v4, vcc_lo, -1, v92, vcc_lo
	s_mov_b32 s8, exec_lo
	s_delay_alu instid0(VALU_DEP_1)
	v_cmpx_gt_i64_e64 s[4:5], v[3:4]
	s_cbranch_execz .LBB184_62
; %bb.61:                               ;   in Loop: Header=BB184_53 Depth=1
	v_add_co_u32 v3, vcc_lo, v86, v25
	v_add_co_ci_u32_e32 v4, vcc_lo, v87, v26, vcc_lo
	v_add_co_u32 v5, vcc_lo, v88, v25
	v_add_co_ci_u32_e32 v6, vcc_lo, v89, v26, vcc_lo
	global_load_u16 v1, v[3:4], off
	global_load_u16 v3, v[5:6], off
	s_waitcnt vmcnt(1)
	v_cvt_f32_f16_e32 v18, v1
	s_waitcnt vmcnt(0)
	v_cvt_f32_f16_e32 v10, v3
.LBB184_62:                             ;   in Loop: Header=BB184_53 Depth=1
	s_or_b32 exec_lo, exec_lo, s8
	v_add_co_u32 v3, vcc_lo, 0xffffff03, v91
	v_add_co_ci_u32_e32 v4, vcc_lo, -1, v92, vcc_lo
	s_mov_b32 s8, exec_lo
	s_delay_alu instid0(VALU_DEP_1)
	v_cmpx_gt_i64_e64 s[4:5], v[3:4]
	s_cbranch_execz .LBB184_64
; %bb.63:                               ;   in Loop: Header=BB184_53 Depth=1
	v_add_co_u32 v3, vcc_lo, v82, v25
	v_add_co_ci_u32_e32 v4, vcc_lo, v83, v26, vcc_lo
	v_add_co_u32 v5, vcc_lo, v84, v25
	v_add_co_ci_u32_e32 v6, vcc_lo, v85, v26, vcc_lo
	global_load_u16 v1, v[3:4], off
	global_load_u16 v3, v[5:6], off
	s_waitcnt vmcnt(1)
	v_cvt_f32_f16_e32 v19, v1
	s_waitcnt vmcnt(0)
	v_cvt_f32_f16_e32 v11, v3
.LBB184_64:                             ;   in Loop: Header=BB184_53 Depth=1
	;; [unrolled: 19-line block ×7, first 2 shown]
	s_or_b32 exec_lo, exec_lo, s8
	s_waitcnt vmcnt(0)
	ds_bpermute_b32 v1, v2, v93
	ds_bpermute_b32 v3, v2, v93 offset:4
	ds_bpermute_b32 v4, v2, v93 offset:8
	v_mul_f32_e32 v5, v9, v17
	ds_bpermute_b32 v6, v2, v93 offset:12
	v_mul_f32_e32 v7, v10, v18
	ds_bpermute_b32 v8, v2, v93 offset:16
	ds_bpermute_b32 v9, v2, v93 offset:20
	s_waitcnt lgkmcnt(5)
	v_fma_f32 v1, v5, v1, v90
	v_mul_f32_e32 v5, v11, v19
	s_waitcnt lgkmcnt(4)
	s_delay_alu instid0(VALU_DEP_2)
	v_fmac_f32_e32 v1, v7, v3
	v_mul_f32_e32 v3, v12, v20
	ds_bpermute_b32 v7, v2, v93 offset:24
	s_waitcnt lgkmcnt(4)
	v_fmac_f32_e32 v1, v5, v4
	v_dual_mul_f32 v4, v13, v21 :: v_dual_mul_f32 v5, v14, v22
	s_waitcnt lgkmcnt(3)
	s_delay_alu instid0(VALU_DEP_2) | instskip(SKIP_4) | instid1(VALU_DEP_1)
	v_fmac_f32_e32 v1, v3, v6
	ds_bpermute_b32 v3, v2, v93 offset:28
	s_waitcnt lgkmcnt(3)
	v_dual_fmac_f32 v1, v4, v8 :: v_dual_mul_f32 v4, v15, v23
	s_waitcnt lgkmcnt(2)
	v_fmac_f32_e32 v1, v5, v9
	s_waitcnt lgkmcnt(1)
	s_delay_alu instid0(VALU_DEP_1) | instskip(SKIP_2) | instid1(VALU_DEP_1)
	v_fmac_f32_e32 v1, v4, v7
	v_mul_f32_e32 v4, v16, v24
	s_waitcnt lgkmcnt(0)
	v_fmac_f32_e32 v1, v4, v3
	s_branch .LBB184_81
.LBB184_75:                             ;   in Loop: Header=BB184_53 Depth=1
                                        ; implicit-def: $vgpr1
	s_cbranch_execz .LBB184_81
; %bb.76:                               ;   in Loop: Header=BB184_53 Depth=1
	s_load_b32 s8, s[26:27], 0x0
	s_waitcnt lgkmcnt(0)
	s_cmp_lt_u32 s14, s8
	s_cselect_b32 s8, 12, 18
	s_delay_alu instid0(SALU_CYCLE_1)
	s_add_u32 s8, s26, s8
	s_addc_u32 s9, s27, 0
	global_load_u16 v1, v2, s[8:9]
	s_mov_b32 s8, exec_lo
	s_waitcnt vmcnt(0)
	v_mad_u32_u24 v1, v56, v1, v55
	s_delay_alu instid0(VALU_DEP_1) | instskip(SKIP_1) | instid1(VALU_DEP_2)
	v_and_b32_e32 v3, 31, v1
	v_mov_b32_e32 v1, 0
	v_cmpx_gt_u32_e32 8, v3
	s_cbranch_execz .LBB184_80
; %bb.77:                               ;   in Loop: Header=BB184_53 Depth=1
	v_add_co_u32 v1, vcc_lo, v91, v3
	v_add_co_ci_u32_e32 v4, vcc_lo, 0, v92, vcc_lo
	s_mov_b32 s9, exec_lo
	s_delay_alu instid0(VALU_DEP_2) | instskip(NEXT) | instid1(VALU_DEP_2)
	v_add_co_u32 v3, vcc_lo, 0xffffff01, v1
	v_add_co_ci_u32_e32 v4, vcc_lo, -1, v4, vcc_lo
	v_mov_b32_e32 v1, 0
	s_delay_alu instid0(VALU_DEP_2)
	v_cmpx_gt_i64_e64 s[4:5], v[3:4]
	s_cbranch_execz .LBB184_79
; %bb.78:                               ;   in Loop: Header=BB184_53 Depth=1
	v_lshlrev_b64 v[3:4], 2, v[3:4]
	s_delay_alu instid0(VALU_DEP_1) | instskip(NEXT) | instid1(VALU_DEP_2)
	v_add_co_u32 v3, vcc_lo, s12, v3
	v_add_co_ci_u32_e32 v4, vcc_lo, s13, v4, vcc_lo
	global_load_b32 v1, v[3:4], off
.LBB184_79:                             ;   in Loop: Header=BB184_53 Depth=1
	s_or_b32 exec_lo, exec_lo, s9
.LBB184_80:                             ;   in Loop: Header=BB184_53 Depth=1
	s_delay_alu instid0(SALU_CYCLE_1)
	s_or_b32 exec_lo, exec_lo, s8
	v_add_co_u32 v3, vcc_lo, v58, v25
	v_add_co_ci_u32_e32 v4, vcc_lo, v59, v26, vcc_lo
	v_add_co_u32 v5, vcc_lo, v60, v25
	v_add_co_ci_u32_e32 v6, vcc_lo, v61, v26, vcc_lo
	;; [unrolled: 2-line block ×5, first 2 shown]
	global_load_u16 v13, v[3:4], off
	global_load_u16 v14, v[5:6], off
	;; [unrolled: 1-line block ×5, first 2 shown]
	v_add_co_u32 v3, vcc_lo, v43, v25
	v_add_co_ci_u32_e32 v4, vcc_lo, v44, v26, vcc_lo
	v_add_co_u32 v5, vcc_lo, v31, v25
	v_add_co_ci_u32_e32 v6, vcc_lo, v32, v26, vcc_lo
	;; [unrolled: 2-line block ×5, first 2 shown]
	global_load_u16 v18, v[3:4], off
	global_load_u16 v19, v[5:6], off
	;; [unrolled: 1-line block ×5, first 2 shown]
	v_add_co_u32 v3, vcc_lo, v35, v25
	v_add_co_ci_u32_e32 v4, vcc_lo, v36, v26, vcc_lo
	v_add_co_u32 v5, vcc_lo, v49, v25
	v_add_co_ci_u32_e32 v6, vcc_lo, v50, v26, vcc_lo
	;; [unrolled: 2-line block ×4, first 2 shown]
	global_load_u16 v12, v[3:4], off
	global_load_u16 v22, v[5:6], off
	;; [unrolled: 1-line block ×4, first 2 shown]
	v_add_co_u32 v3, vcc_lo, v39, v25
	v_add_co_ci_u32_e32 v4, vcc_lo, v40, v26, vcc_lo
	v_add_co_u32 v5, vcc_lo, v53, v25
	v_add_co_ci_u32_e32 v6, vcc_lo, v54, v26, vcc_lo
	global_load_u16 v3, v[3:4], off
	global_load_u16 v4, v[5:6], off
	s_waitcnt vmcnt(16)
	ds_bpermute_b32 v5, v2, v1
	ds_bpermute_b32 v6, v2, v1 offset:4
	ds_bpermute_b32 v9, v2, v1 offset:8
	s_waitcnt vmcnt(15)
	v_cvt_f32_f16_e32 v10, v13
	s_waitcnt vmcnt(14)
	v_cvt_f32_f16_e32 v13, v14
	ds_bpermute_b32 v14, v2, v1 offset:12
	s_waitcnt vmcnt(13)
	v_cvt_f32_f16_e32 v15, v15
	s_waitcnt vmcnt(12)
	v_cvt_f32_f16_e32 v16, v16
	;; [unrolled: 2-line block ×3, first 2 shown]
	v_mul_f32_e32 v10, v10, v13
	ds_bpermute_b32 v13, v2, v1 offset:16
	v_mul_f32_e32 v15, v15, v16
	s_waitcnt vmcnt(10)
	v_cvt_f32_f16_e32 v18, v18
	s_waitcnt lgkmcnt(4)
	v_fmac_f32_e32 v90, v10, v5
	ds_bpermute_b32 v5, v2, v1 offset:20
	s_waitcnt vmcnt(9)
	v_cvt_f32_f16_e32 v10, v19
	s_waitcnt vmcnt(8)
	v_cvt_f32_f16_e32 v16, v20
	v_mul_f32_e32 v17, v17, v18
	s_waitcnt lgkmcnt(4)
	v_fmac_f32_e32 v90, v15, v6
	ds_bpermute_b32 v6, v2, v1 offset:24
	s_waitcnt vmcnt(7)
	v_cvt_f32_f16_e32 v15, v21
	s_waitcnt vmcnt(6)
	v_cvt_f32_f16_e32 v11, v11
	v_mul_f32_e32 v10, v10, v16
	ds_bpermute_b32 v1, v2, v1 offset:28
	v_mul_f32_e32 v11, v15, v11
	s_waitcnt vmcnt(3)
	v_cvt_f32_f16_e32 v7, v7
	s_waitcnt vmcnt(2)
	v_cvt_f32_f16_e32 v8, v8
	s_waitcnt lgkmcnt(5)
	v_fmac_f32_e32 v90, v17, v9
	v_cvt_f32_f16_e32 v9, v12
	v_cvt_f32_f16_e32 v12, v22
	v_mul_f32_e32 v7, v7, v8
	s_delay_alu instid0(VALU_DEP_2)
	v_mul_f32_e32 v9, v9, v12
	s_waitcnt vmcnt(1)
	v_cvt_f32_f16_e32 v3, v3
	s_waitcnt vmcnt(0)
	v_cvt_f32_f16_e32 v4, v4
	s_waitcnt lgkmcnt(4)
	s_delay_alu instid0(VALU_DEP_1) | instskip(SKIP_1) | instid1(VALU_DEP_1)
	v_dual_fmac_f32 v90, v10, v14 :: v_dual_mul_f32 v3, v3, v4
	s_waitcnt lgkmcnt(3)
	v_fmac_f32_e32 v90, v11, v13
	s_waitcnt lgkmcnt(2)
	s_delay_alu instid0(VALU_DEP_1) | instskip(SKIP_1) | instid1(VALU_DEP_1)
	v_fmac_f32_e32 v90, v9, v5
	s_waitcnt lgkmcnt(1)
	v_fmac_f32_e32 v90, v7, v6
	s_waitcnt lgkmcnt(0)
	s_delay_alu instid0(VALU_DEP_1) | instskip(NEXT) | instid1(VALU_DEP_1)
	v_fmac_f32_e32 v90, v3, v1
	v_mov_b32_e32 v1, v90
.LBB184_81:                             ;   in Loop: Header=BB184_53 Depth=1
	v_add_co_u32 v27, vcc_lo, v27, s2
	v_add_co_ci_u32_e32 v28, vcc_lo, s3, v28, vcc_lo
	v_add_co_u32 v29, vcc_lo, v29, s2
	v_add_co_ci_u32_e32 v30, vcc_lo, s3, v30, vcc_lo
	;; [unrolled: 2-line block ×27, first 2 shown]
	v_add_co_u32 v84, vcc_lo, v84, s2
	s_add_u32 s24, s24, s15
	v_add_co_ci_u32_e32 v85, vcc_lo, s3, v85, vcc_lo
	s_addc_u32 s25, s25, 0
	v_add_co_u32 v86, vcc_lo, v86, s2
	v_cmp_ge_i64_e64 s8, s[24:25], s[4:5]
	v_add_co_ci_u32_e32 v87, vcc_lo, s3, v87, vcc_lo
	v_add_co_u32 v88, vcc_lo, v88, s2
	v_add_co_ci_u32_e32 v89, vcc_lo, s3, v89, vcc_lo
	s_add_u32 s28, s28, s15
	s_addc_u32 s29, s29, 0
	s_and_b32 vcc_lo, exec_lo, s8
	s_cbranch_vccnz .LBB184_83
; %bb.82:                               ;   in Loop: Header=BB184_53 Depth=1
	v_mov_b32_e32 v90, v1
	s_branch .LBB184_53
.LBB184_83:
	v_and_b32_e32 v2, 0x3ff, v0
	v_bfe_u32 v0, v0, 10, 10
	s_mov_b32 s15, 0
	s_mov_b32 s2, exec_lo
	s_delay_alu instid0(VALU_DEP_2) | instskip(NEXT) | instid1(VALU_DEP_2)
	v_lshrrev_b32_e32 v3, 5, v2
	v_mad_u32_u24 v4, v0, 33, v2
	s_delay_alu instid0(VALU_DEP_2) | instskip(NEXT) | instid1(VALU_DEP_2)
	v_add_nc_u32_e32 v0, v3, v0
	v_lshl_add_u32 v3, v4, 2, 0
	v_mov_b32_e32 v4, 0
	ds_store_b32 v3, v1
	ds_store_b32 v3, v4 offset:4224
	s_waitcnt lgkmcnt(0)
	s_barrier
	buffer_gl0_inv
	v_cmpx_gt_u32_e32 32, v0
	s_cbranch_execz .LBB184_86
; %bb.84:
	v_and_b32_e32 v1, 31, v2
	v_lshlrev_b32_e32 v3, 2, v0
	s_load_b64 s[2:3], s[0:1], 0x30
	s_lshl_b64 s[0:1], s[14:15], 5
	s_delay_alu instid0(SALU_CYCLE_1) | instskip(SKIP_2) | instid1(VALU_DEP_2)
	v_or_b32_e32 v0, s0, v0
	v_mul_u32_u24_e32 v1, 0x84, v1
	v_cmp_eq_u32_e64 s0, 0, v2
	v_add3_u32 v1, 0, v3, v1
	v_mbcnt_lo_u32_b32 v3, -1, 0
	ds_load_b32 v1, v1
	v_xor_b32_e32 v4, 16, v3
	v_xor_b32_e32 v5, 8, v3
	s_delay_alu instid0(VALU_DEP_2) | instskip(SKIP_4) | instid1(VALU_DEP_2)
	v_cmp_gt_i32_e32 vcc_lo, 32, v4
	s_waitcnt lgkmcnt(0)
	s_cmp_lg_u64 s[2:3], 0
	v_cndmask_b32_e32 v4, v3, v4, vcc_lo
	v_cmp_gt_i32_e32 vcc_lo, 32, v5
	v_dual_cndmask_b32 v5, v3, v5 :: v_dual_lshlrev_b32 v4, 2, v4
	ds_bpermute_b32 v4, v4, v1
	v_lshlrev_b32_e32 v5, 2, v5
	s_waitcnt lgkmcnt(0)
	v_add_f32_e32 v1, v1, v4
	ds_bpermute_b32 v4, v5, v1
	v_xor_b32_e32 v5, 4, v3
	s_delay_alu instid0(VALU_DEP_1) | instskip(SKIP_1) | instid1(VALU_DEP_1)
	v_cmp_gt_i32_e32 vcc_lo, 32, v5
	v_cndmask_b32_e32 v5, v3, v5, vcc_lo
	v_lshlrev_b32_e32 v5, 2, v5
	s_waitcnt lgkmcnt(0)
	v_add_f32_e32 v1, v1, v4
	ds_bpermute_b32 v4, v5, v1
	v_xor_b32_e32 v5, 2, v3
	s_delay_alu instid0(VALU_DEP_1) | instskip(SKIP_1) | instid1(VALU_DEP_1)
	v_cmp_gt_i32_e32 vcc_lo, 32, v5
	v_cndmask_b32_e32 v5, v3, v5, vcc_lo
	v_lshlrev_b32_e32 v5, 2, v5
	s_waitcnt lgkmcnt(0)
	v_add_f32_e32 v1, v1, v4
	ds_bpermute_b32 v4, v5, v1
	v_xor_b32_e32 v5, 1, v3
	s_delay_alu instid0(VALU_DEP_1) | instskip(SKIP_3) | instid1(VALU_DEP_2)
	v_cmp_gt_i32_e32 vcc_lo, 32, v5
	v_cndmask_b32_e32 v5, v3, v5, vcc_lo
	s_waitcnt lgkmcnt(0)
	v_add_f32_e32 v3, v1, v4
	v_lshlrev_b32_e32 v1, 2, v5
	ds_bpermute_b32 v4, v1, v3
	v_mov_b32_e32 v1, s1
	s_cselect_b32 s1, -1, 0
	s_delay_alu instid0(VALU_DEP_1) | instskip(SKIP_1) | instid1(SALU_CYCLE_1)
	v_cmp_gt_i64_e32 vcc_lo, s[6:7], v[0:1]
	s_and_b32 s0, s0, vcc_lo
	s_and_b32 s0, s1, s0
	s_delay_alu instid0(SALU_CYCLE_1)
	s_and_b32 exec_lo, exec_lo, s0
	s_cbranch_execz .LBB184_86
; %bb.85:
	v_lshlrev_b64 v[0:1], 1, v[0:1]
	s_waitcnt lgkmcnt(0)
	v_add_f32_e32 v2, v3, v4
	s_delay_alu instid0(VALU_DEP_1) | instskip(NEXT) | instid1(VALU_DEP_3)
	v_cvt_f16_f32_e32 v2, v2
	v_add_co_u32 v0, vcc_lo, s2, v0
	s_delay_alu instid0(VALU_DEP_4)
	v_add_co_ci_u32_e32 v1, vcc_lo, s3, v1, vcc_lo
	global_store_b16 v[0:1], v2, off
.LBB184_86:
	s_nop 0
	s_sendmsg sendmsg(MSG_DEALLOC_VGPRS)
	s_endpgm
	.section	.rodata,"a",@progbits
	.p2align	6, 0x0
	.amdhsa_kernel _ZN2at6native12_GLOBAL__N_135GammaBetaBackwardCUDAKernelTemplateIN3c104HalfEfLj32ELj32ELj256ELb0ELb0ELb1EEEvllPKT_S7_PKT0_SA_PS5_SB_
		.amdhsa_group_segment_fixed_size 0
		.amdhsa_private_segment_fixed_size 0
		.amdhsa_kernarg_size 320
		.amdhsa_user_sgpr_count 14
		.amdhsa_user_sgpr_dispatch_ptr 0
		.amdhsa_user_sgpr_queue_ptr 0
		.amdhsa_user_sgpr_kernarg_segment_ptr 1
		.amdhsa_user_sgpr_dispatch_id 0
		.amdhsa_user_sgpr_private_segment_size 0
		.amdhsa_wavefront_size32 1
		.amdhsa_uses_dynamic_stack 0
		.amdhsa_enable_private_segment 0
		.amdhsa_system_sgpr_workgroup_id_x 1
		.amdhsa_system_sgpr_workgroup_id_y 1
		.amdhsa_system_sgpr_workgroup_id_z 0
		.amdhsa_system_sgpr_workgroup_info 0
		.amdhsa_system_vgpr_workitem_id 1
		.amdhsa_next_free_vgpr 94
		.amdhsa_next_free_sgpr 37
		.amdhsa_reserve_vcc 1
		.amdhsa_float_round_mode_32 0
		.amdhsa_float_round_mode_16_64 0
		.amdhsa_float_denorm_mode_32 3
		.amdhsa_float_denorm_mode_16_64 3
		.amdhsa_dx10_clamp 1
		.amdhsa_ieee_mode 1
		.amdhsa_fp16_overflow 0
		.amdhsa_workgroup_processor_mode 1
		.amdhsa_memory_ordered 1
		.amdhsa_forward_progress 0
		.amdhsa_shared_vgpr_count 0
		.amdhsa_exception_fp_ieee_invalid_op 0
		.amdhsa_exception_fp_denorm_src 0
		.amdhsa_exception_fp_ieee_div_zero 0
		.amdhsa_exception_fp_ieee_overflow 0
		.amdhsa_exception_fp_ieee_underflow 0
		.amdhsa_exception_fp_ieee_inexact 0
		.amdhsa_exception_int_div_zero 0
	.end_amdhsa_kernel
	.section	.text._ZN2at6native12_GLOBAL__N_135GammaBetaBackwardCUDAKernelTemplateIN3c104HalfEfLj32ELj32ELj256ELb0ELb0ELb1EEEvllPKT_S7_PKT0_SA_PS5_SB_,"axG",@progbits,_ZN2at6native12_GLOBAL__N_135GammaBetaBackwardCUDAKernelTemplateIN3c104HalfEfLj32ELj32ELj256ELb0ELb0ELb1EEEvllPKT_S7_PKT0_SA_PS5_SB_,comdat
.Lfunc_end184:
	.size	_ZN2at6native12_GLOBAL__N_135GammaBetaBackwardCUDAKernelTemplateIN3c104HalfEfLj32ELj32ELj256ELb0ELb0ELb1EEEvllPKT_S7_PKT0_SA_PS5_SB_, .Lfunc_end184-_ZN2at6native12_GLOBAL__N_135GammaBetaBackwardCUDAKernelTemplateIN3c104HalfEfLj32ELj32ELj256ELb0ELb0ELb1EEEvllPKT_S7_PKT0_SA_PS5_SB_
                                        ; -- End function
	.section	.AMDGPU.csdata,"",@progbits
; Kernel info:
; codeLenInByte = 7732
; NumSgprs: 39
; NumVgprs: 94
; ScratchSize: 0
; MemoryBound: 0
; FloatMode: 240
; IeeeMode: 1
; LDSByteSize: 0 bytes/workgroup (compile time only)
; SGPRBlocks: 4
; VGPRBlocks: 11
; NumSGPRsForWavesPerEU: 39
; NumVGPRsForWavesPerEU: 94
; Occupancy: 16
; WaveLimiterHint : 0
; COMPUTE_PGM_RSRC2:SCRATCH_EN: 0
; COMPUTE_PGM_RSRC2:USER_SGPR: 14
; COMPUTE_PGM_RSRC2:TRAP_HANDLER: 0
; COMPUTE_PGM_RSRC2:TGID_X_EN: 1
; COMPUTE_PGM_RSRC2:TGID_Y_EN: 1
; COMPUTE_PGM_RSRC2:TGID_Z_EN: 0
; COMPUTE_PGM_RSRC2:TIDIG_COMP_CNT: 1
	.section	.text._ZN2at6native12_GLOBAL__N_118cuComputeGradInputIN3c108BFloat16EfLb1EEEvPKT_S7_llPKT0_SA_S7_PS5_,"axG",@progbits,_ZN2at6native12_GLOBAL__N_118cuComputeGradInputIN3c108BFloat16EfLb1EEEvPKT_S7_llPKT0_SA_S7_PS5_,comdat
	.globl	_ZN2at6native12_GLOBAL__N_118cuComputeGradInputIN3c108BFloat16EfLb1EEEvPKT_S7_llPKT0_SA_S7_PS5_ ; -- Begin function _ZN2at6native12_GLOBAL__N_118cuComputeGradInputIN3c108BFloat16EfLb1EEEvPKT_S7_llPKT0_SA_S7_PS5_
	.p2align	8
	.type	_ZN2at6native12_GLOBAL__N_118cuComputeGradInputIN3c108BFloat16EfLb1EEEvPKT_S7_llPKT0_SA_S7_PS5_,@function
_ZN2at6native12_GLOBAL__N_118cuComputeGradInputIN3c108BFloat16EfLb1EEEvPKT_S7_llPKT0_SA_S7_PS5_: ; @_ZN2at6native12_GLOBAL__N_118cuComputeGradInputIN3c108BFloat16EfLb1EEEvPKT_S7_llPKT0_SA_S7_PS5_
; %bb.0:
	s_load_b128 s[8:11], s[0:1], 0x10
	s_mov_b32 s6, s15
	s_ashr_i32 s7, s15, 31
	s_waitcnt lgkmcnt(0)
	v_cmp_ge_i64_e64 s2, s[6:7], s[8:9]
	s_delay_alu instid0(VALU_DEP_1)
	s_and_b32 vcc_lo, exec_lo, s2
	s_cbranch_vccnz .LBB185_47
; %bb.1:
	s_clause 0x2
	s_load_b32 s4, s[0:1], 0x4c
	s_load_b128 s[12:15], s[0:1], 0x30
	s_load_b32 s24, s[0:1], 0x44
	s_cls_i32 s3, s11
	v_and_b32_e32 v9, 0x3ff, v0
	v_bfe_u32 v10, v0, 10, 10
	s_clause 0x1
	s_load_b128 s[16:19], s[0:1], 0x0
	s_load_b64 s[20:21], s[0:1], 0x28
	v_cmp_gt_i64_e64 s28, s[10:11], 0
	v_mbcnt_lo_u32_b32 v12, -1, 0
	v_lshl_add_u32 v13, v9, 3, 0
	v_cmp_eq_u32_e64 s0, 0, v10
	v_cmp_ne_u32_e64 s1, 0, v10
	v_cndmask_b32_e64 v11, 0, 1, s28
	s_waitcnt lgkmcnt(0)
	s_lshr_b32 s25, s4, 16
	s_and_b32 s26, s4, 0xffff
	s_cmp_lg_u64 s[12:13], 0
	v_mad_u32_u24 v0, v10, s26, v9
	s_cselect_b32 s27, -1, 0
	s_xor_b32 s2, s10, s11
	s_add_i32 s3, s3, -1
	s_ashr_i32 s2, s2, 31
	s_mul_i32 s30, s25, s26
	s_add_i32 s2, s2, 32
	s_ashr_i32 s31, s30, 31
	s_min_u32 s5, s3, s2
	v_cmp_gt_u16_e64 s29, s4, 1
	s_lshl_b64 s[2:3], s[10:11], s5
	v_lshl_add_u32 v14, v0, 3, 0
	s_min_u32 s2, s2, 1
	v_cmp_gt_u16_e64 s33, s25, 1
	s_or_b32 s2, s3, s2
	s_delay_alu instid0(SALU_CYCLE_1)
	v_cvt_f32_i32_e32 v1, s2
	s_sub_i32 s2, 32, s5
	s_delay_alu instid0(VALU_DEP_1) | instid1(SALU_CYCLE_1)
	v_ldexp_f32 v8, v1, s2
	s_delay_alu instid0(VALU_DEP_1) | instskip(SKIP_1) | instid1(VALU_DEP_2)
	v_div_scale_f32 v2, null, v8, v8, 1.0
	v_div_scale_f32 v4, vcc_lo, 1.0, v8, 1.0
	v_rcp_f32_e32 v3, v2
	s_waitcnt_depctr 0xfff
	v_fma_f32 v1, -v2, v3, 1.0
	s_delay_alu instid0(VALU_DEP_1) | instskip(SKIP_1) | instid1(VALU_DEP_2)
	v_fmac_f32_e32 v3, v1, v3
	v_mov_b32_e32 v1, 0
	v_mul_f32_e32 v5, v4, v3
	s_delay_alu instid0(VALU_DEP_2) | instskip(NEXT) | instid1(VALU_DEP_2)
	v_cmp_gt_i64_e64 s2, s[10:11], v[0:1]
	v_fma_f32 v6, -v2, v5, v4
	s_delay_alu instid0(VALU_DEP_1) | instskip(NEXT) | instid1(VALU_DEP_1)
	v_dual_fmac_f32 v5, v6, v3 :: v_dual_add_nc_u32 v6, s30, v0
	v_fma_f32 v2, -v2, v5, v4
	s_delay_alu instid0(VALU_DEP_2) | instskip(NEXT) | instid1(VALU_DEP_2)
	v_ashrrev_i32_e32 v4, 31, v6
	v_div_fmas_f32 v5, v2, v3, v5
	v_sub_co_u32 v2, vcc_lo, v6, s30
	s_delay_alu instid0(VALU_DEP_3) | instskip(NEXT) | instid1(VALU_DEP_3)
	v_subrev_co_ci_u32_e32 v3, vcc_lo, s31, v4, vcc_lo
	v_div_fixup_f32 v15, v5, v8, 1.0
	s_branch .LBB185_4
.LBB185_2:                              ;   in Loop: Header=BB185_4 Depth=1
	s_set_inst_prefetch_distance 0x2
	s_or_b32 exec_lo, exec_lo, s22
.LBB185_3:                              ;   in Loop: Header=BB185_4 Depth=1
	s_add_i32 s6, s24, s6
	s_waitcnt_vscnt null, 0x0
	s_ashr_i32 s7, s6, 31
	s_barrier
	v_cmp_ge_i64_e64 s3, s[6:7], s[8:9]
	buffer_gl0_inv
	s_and_b32 vcc_lo, exec_lo, s3
	s_cbranch_vccnz .LBB185_47
.LBB185_4:                              ; =>This Loop Header: Depth=1
                                        ;     Child Loop BB185_8 Depth 2
                                        ;     Child Loop BB185_19 Depth 2
	;; [unrolled: 1-line block ×6, first 2 shown]
	s_mul_i32 s3, s6, s11
	s_mul_hi_u32 s4, s6, s10
	s_mul_i32 s22, s7, s10
	s_add_i32 s3, s4, s3
	s_lshl_b64 s[4:5], s[6:7], 2
	s_add_i32 s23, s3, s22
	s_add_u32 s4, s20, s4
	s_addc_u32 s5, s21, s5
	s_mul_i32 s22, s6, s10
	s_load_b32 s7, s[4:5], 0x0
	s_lshl_b64 s[22:23], s[22:23], 1
	v_cmp_ne_u32_e64 s3, 1, v11
	s_add_u32 s34, s18, s22
	s_addc_u32 s35, s19, s23
	s_add_u32 s36, s16, s22
	s_addc_u32 s37, s17, s23
	s_and_not1_b32 vcc_lo, exec_lo, s27
	s_cbranch_vccnz .LBB185_15
; %bb.5:                                ;   in Loop: Header=BB185_4 Depth=1
	v_mov_b32_e32 v16, 0
	s_and_b32 vcc_lo, exec_lo, s3
	s_cbranch_vccnz .LBB185_14
; %bb.6:                                ;   in Loop: Header=BB185_4 Depth=1
	s_mov_b32 s4, 0
	s_set_inst_prefetch_distance 0x1
	s_branch .LBB185_8
	.p2align	6
.LBB185_7:                              ;   in Loop: Header=BB185_8 Depth=2
	s_or_b32 exec_lo, exec_lo, s3
	s_waitcnt vmcnt(0)
	v_lshlrev_b32_e32 v4, 16, v6
	v_lshlrev_b32_e32 v6, 16, v7
	;; [unrolled: 1-line block ×3, first 2 shown]
	s_add_i32 s4, s4, s30
	s_delay_alu instid0(SALU_CYCLE_1) | instskip(NEXT) | instid1(VALU_DEP_1)
	s_ashr_i32 s5, s4, 31
	v_mul_f32_e32 v4, v4, v5
	v_cmp_ge_i64_e64 s3, s[4:5], s[10:11]
	s_delay_alu instid0(VALU_DEP_2) | instskip(NEXT) | instid1(VALU_DEP_2)
	v_mul_f32_e32 v4, v4, v6
	s_and_b32 vcc_lo, exec_lo, s3
	s_waitcnt lgkmcnt(0)
	s_delay_alu instid0(VALU_DEP_1)
	v_fmac_f32_e32 v16, s7, v4
	s_cbranch_vccnz .LBB185_14
.LBB185_8:                              ;   Parent Loop BB185_4 Depth=1
                                        ; =>  This Inner Loop Header: Depth=2
	v_add_nc_u32_e32 v4, s4, v0
	v_mov_b32_e32 v6, 0
	s_delay_alu instid0(VALU_DEP_2) | instskip(NEXT) | instid1(VALU_DEP_1)
	v_ashrrev_i32_e32 v5, 31, v4
	v_cmp_gt_i64_e32 vcc_lo, s[10:11], v[4:5]
	v_lshlrev_b64 v[4:5], 1, v[4:5]
	s_and_saveexec_b32 s5, vcc_lo
	s_cbranch_execz .LBB185_10
; %bb.9:                                ;   in Loop: Header=BB185_8 Depth=2
	s_delay_alu instid0(VALU_DEP_1) | instskip(NEXT) | instid1(VALU_DEP_1)
	v_add_co_u32 v6, s3, s12, v4
	v_add_co_ci_u32_e64 v7, s3, s13, v5, s3
	global_load_u16 v6, v[6:7], off
.LBB185_10:                             ;   in Loop: Header=BB185_8 Depth=2
	s_or_b32 exec_lo, exec_lo, s5
	v_mov_b32_e32 v17, 0
	v_mov_b32_e32 v7, 0
	s_and_saveexec_b32 s5, vcc_lo
	s_cbranch_execz .LBB185_12
; %bb.11:                               ;   in Loop: Header=BB185_8 Depth=2
	v_add_co_u32 v18, s3, s34, v4
	s_delay_alu instid0(VALU_DEP_1)
	v_add_co_ci_u32_e64 v19, s3, s35, v5, s3
	global_load_u16 v7, v[18:19], off
.LBB185_12:                             ;   in Loop: Header=BB185_8 Depth=2
	s_or_b32 exec_lo, exec_lo, s5
	s_and_saveexec_b32 s3, vcc_lo
	s_cbranch_execz .LBB185_7
; %bb.13:                               ;   in Loop: Header=BB185_8 Depth=2
	v_add_co_u32 v4, vcc_lo, s36, v4
	v_add_co_ci_u32_e32 v5, vcc_lo, s37, v5, vcc_lo
	global_load_u16 v17, v[4:5], off
	s_branch .LBB185_7
.LBB185_14:                             ;   in Loop: Header=BB185_4 Depth=1
	s_set_inst_prefetch_distance 0x2
	s_cbranch_execz .LBB185_16
	s_branch .LBB185_23
.LBB185_15:                             ;   in Loop: Header=BB185_4 Depth=1
                                        ; implicit-def: $vgpr16
.LBB185_16:                             ;   in Loop: Header=BB185_4 Depth=1
	v_mov_b32_e32 v16, 0
	s_and_not1_b32 vcc_lo, exec_lo, s28
	s_cbranch_vccnz .LBB185_23
; %bb.17:                               ;   in Loop: Header=BB185_4 Depth=1
	s_mov_b32 s4, 0
	s_set_inst_prefetch_distance 0x1
	s_branch .LBB185_19
	.p2align	6
.LBB185_18:                             ;   in Loop: Header=BB185_19 Depth=2
	s_or_b32 exec_lo, exec_lo, s3
	s_waitcnt vmcnt(0)
	v_lshlrev_b32_e32 v4, 16, v6
	v_lshlrev_b32_e32 v5, 16, v7
	s_add_i32 s4, s4, s30
	s_delay_alu instid0(SALU_CYCLE_1) | instskip(NEXT) | instid1(VALU_DEP_1)
	s_ashr_i32 s5, s4, 31
	v_mul_f32_e32 v4, v4, v5
	v_cmp_ge_i64_e64 s3, s[4:5], s[10:11]
	s_waitcnt lgkmcnt(0)
	s_delay_alu instid0(VALU_DEP_2) | instskip(NEXT) | instid1(VALU_DEP_2)
	v_fmac_f32_e32 v16, s7, v4
	s_and_b32 vcc_lo, exec_lo, s3
	s_cbranch_vccnz .LBB185_23
.LBB185_19:                             ;   Parent Loop BB185_4 Depth=1
                                        ; =>  This Inner Loop Header: Depth=2
	v_add_nc_u32_e32 v4, s4, v0
	v_mov_b32_e32 v6, 0
	s_delay_alu instid0(VALU_DEP_2) | instskip(NEXT) | instid1(VALU_DEP_1)
	v_ashrrev_i32_e32 v5, 31, v4
	v_cmp_gt_i64_e32 vcc_lo, s[10:11], v[4:5]
	v_lshlrev_b64 v[4:5], 1, v[4:5]
	s_and_saveexec_b32 s5, vcc_lo
	s_cbranch_execz .LBB185_21
; %bb.20:                               ;   in Loop: Header=BB185_19 Depth=2
	s_delay_alu instid0(VALU_DEP_1) | instskip(NEXT) | instid1(VALU_DEP_1)
	v_add_co_u32 v6, s3, s34, v4
	v_add_co_ci_u32_e64 v7, s3, s35, v5, s3
	global_load_u16 v6, v[6:7], off
.LBB185_21:                             ;   in Loop: Header=BB185_19 Depth=2
	s_or_b32 exec_lo, exec_lo, s5
	v_mov_b32_e32 v7, 0
	s_and_saveexec_b32 s3, vcc_lo
	s_cbranch_execz .LBB185_18
; %bb.22:                               ;   in Loop: Header=BB185_19 Depth=2
	v_add_co_u32 v4, vcc_lo, s36, v4
	v_add_co_ci_u32_e32 v5, vcc_lo, s37, v5, vcc_lo
	global_load_u16 v7, v[4:5], off
	s_branch .LBB185_18
.LBB185_23:                             ;   in Loop: Header=BB185_4 Depth=1
	s_set_inst_prefetch_distance 0x2
	s_and_not1_b32 vcc_lo, exec_lo, s29
	s_cbranch_vccnz .LBB185_26
; %bb.24:                               ;   in Loop: Header=BB185_4 Depth=1
	s_mov_b32 s3, s26
.LBB185_25:                             ;   Parent Loop BB185_4 Depth=1
                                        ; =>  This Inner Loop Header: Depth=2
	s_delay_alu instid0(SALU_CYCLE_1) | instskip(SKIP_3) | instid1(VALU_DEP_1)
	s_lshr_b32 s4, s3, 1
	s_cmp_lt_u32 s3, 4
	v_xor_b32_e32 v4, s4, v12
	s_mov_b32 s3, s4
	v_cmp_gt_i32_e32 vcc_lo, 32, v4
	v_cndmask_b32_e32 v4, v12, v4, vcc_lo
	s_delay_alu instid0(VALU_DEP_1)
	v_lshlrev_b32_e32 v4, 2, v4
	ds_bpermute_b32 v4, v4, v16
	s_waitcnt lgkmcnt(0)
	v_add_f32_e32 v16, v16, v4
	s_cbranch_scc0 .LBB185_25
.LBB185_26:                             ;   in Loop: Header=BB185_4 Depth=1
	s_and_not1_b32 vcc_lo, exec_lo, s33
	s_mov_b32 s5, s25
	s_cbranch_vccnz .LBB185_38
	.p2align	6
.LBB185_27:                             ;   Parent Loop BB185_4 Depth=1
                                        ; =>  This Inner Loop Header: Depth=2
	s_lshr_b32 s38, s5, 1
	s_and_b32 s4, s5, 0xfffe
	v_cmp_le_u32_e64 s3, s38, v10
	v_cmp_gt_u32_e64 s4, s4, v10
	v_cmp_gt_u32_e32 vcc_lo, s38, v10
	s_delay_alu instid0(VALU_DEP_2) | instskip(NEXT) | instid1(SALU_CYCLE_1)
	s_and_b32 s4, s3, s4
	s_and_saveexec_b32 s3, s4
	s_cbranch_execz .LBB185_29
; %bb.28:                               ;   in Loop: Header=BB185_27 Depth=2
	v_subrev_nc_u32_e32 v4, s38, v10
	s_delay_alu instid0(VALU_DEP_1) | instskip(NEXT) | instid1(VALU_DEP_1)
	v_mad_i32_i24 v4, v4, s26, v9
	v_lshl_add_u32 v4, v4, 3, 0
	ds_store_b32 v4, v16 offset:4
.LBB185_29:                             ;   in Loop: Header=BB185_27 Depth=2
	s_or_b32 exec_lo, exec_lo, s3
	s_waitcnt lgkmcnt(0)
	s_barrier
	buffer_gl0_inv
	s_and_saveexec_b32 s3, vcc_lo
	s_cbranch_execz .LBB185_31
; %bb.30:                               ;   in Loop: Header=BB185_27 Depth=2
	ds_load_b32 v4, v14 offset:4
	s_waitcnt lgkmcnt(0)
	v_add_f32_e32 v16, v16, v4
.LBB185_31:                             ;   in Loop: Header=BB185_27 Depth=2
	s_or_b32 exec_lo, exec_lo, s3
	s_cmp_lt_u32 s5, 4
	s_barrier
	buffer_gl0_inv
	s_cbranch_scc1 .LBB185_33
; %bb.32:                               ;   in Loop: Header=BB185_27 Depth=2
	s_mov_b32 s5, s38
	s_branch .LBB185_27
.LBB185_33:                             ;   in Loop: Header=BB185_4 Depth=1
	s_and_saveexec_b32 s3, s0
	s_cbranch_execz .LBB185_35
; %bb.34:                               ;   in Loop: Header=BB185_4 Depth=1
	ds_store_b32 v13, v16 offset:4
.LBB185_35:                             ;   in Loop: Header=BB185_4 Depth=1
	s_or_b32 exec_lo, exec_lo, s3
	s_waitcnt lgkmcnt(0)
	s_barrier
	buffer_gl0_inv
	s_and_saveexec_b32 s3, s1
	s_cbranch_execz .LBB185_37
; %bb.36:                               ;   in Loop: Header=BB185_4 Depth=1
	ds_load_b32 v16, v13 offset:4
.LBB185_37:                             ;   in Loop: Header=BB185_4 Depth=1
	s_or_b32 exec_lo, exec_lo, s3
.LBB185_38:                             ;   in Loop: Header=BB185_4 Depth=1
	s_waitcnt lgkmcnt(0)
	v_mul_f32_e32 v17, s7, v15
	s_add_u32 s4, s14, s22
	s_addc_u32 s5, s15, s23
	s_and_not1_b32 vcc_lo, exec_lo, s27
	s_cbranch_vccnz .LBB185_43
; %bb.39:                               ;   in Loop: Header=BB185_4 Depth=1
	s_and_saveexec_b32 s22, s2
	s_cbranch_execz .LBB185_42
; %bb.40:                               ;   in Loop: Header=BB185_4 Depth=1
	v_dual_mov_b32 v5, v1 :: v_dual_mov_b32 v4, v0
	s_mov_b32 s23, 0
	s_set_inst_prefetch_distance 0x1
	.p2align	6
.LBB185_41:                             ;   Parent Loop BB185_4 Depth=1
                                        ; =>  This Inner Loop Header: Depth=2
	s_delay_alu instid0(VALU_DEP_1) | instskip(SKIP_1) | instid1(VALU_DEP_2)
	v_lshlrev_b64 v[6:7], 1, v[4:5]
	v_add_nc_u32_e32 v4, s30, v4
	v_add_co_u32 v18, vcc_lo, s34, v6
	s_delay_alu instid0(VALU_DEP_3)
	v_add_co_ci_u32_e32 v19, vcc_lo, s35, v7, vcc_lo
	v_add_co_u32 v20, vcc_lo, s36, v6
	v_add_co_ci_u32_e32 v21, vcc_lo, s37, v7, vcc_lo
	global_load_u16 v5, v[18:19], off
	v_add_co_u32 v18, vcc_lo, s12, v6
	v_add_co_ci_u32_e32 v19, vcc_lo, s13, v7, vcc_lo
	global_load_u16 v20, v[20:21], off
	global_load_u16 v18, v[18:19], off
	v_add_co_u32 v6, vcc_lo, s4, v6
	v_add_co_ci_u32_e32 v7, vcc_lo, s5, v7, vcc_lo
	s_waitcnt vmcnt(2)
	v_lshlrev_b32_e32 v5, 16, v5
	s_delay_alu instid0(VALU_DEP_1) | instskip(SKIP_3) | instid1(VALU_DEP_2)
	v_mul_f32_e32 v5, s7, v5
	s_waitcnt vmcnt(1)
	v_lshlrev_b32_e32 v19, 16, v20
	s_waitcnt vmcnt(0)
	v_dual_mul_f32 v5, v16, v5 :: v_dual_lshlrev_b32 v18, 16, v18
	s_delay_alu instid0(VALU_DEP_2) | instskip(NEXT) | instid1(VALU_DEP_1)
	v_mul_f32_e32 v19, v8, v19
	v_fma_f32 v5, v19, v18, -v5
	s_delay_alu instid0(VALU_DEP_1) | instskip(NEXT) | instid1(VALU_DEP_1)
	v_mul_f32_e32 v18, v17, v5
	v_bfe_u32 v5, v18, 16, 1
	v_cmp_o_f32_e32 vcc_lo, v18, v18
	s_delay_alu instid0(VALU_DEP_2) | instskip(SKIP_1) | instid1(VALU_DEP_2)
	v_add3_u32 v19, v18, v5, 0x7fff
	v_ashrrev_i32_e32 v5, 31, v4
	v_lshrrev_b32_e32 v19, 16, v19
	s_delay_alu instid0(VALU_DEP_2) | instskip(NEXT) | instid1(VALU_DEP_2)
	v_cmp_le_i64_e64 s3, s[10:11], v[4:5]
	v_cndmask_b32_e32 v18, 0x7fc0, v19, vcc_lo
	s_delay_alu instid0(VALU_DEP_2)
	s_or_b32 s23, s3, s23
	global_store_b16 v[6:7], v18, off
	s_and_not1_b32 exec_lo, exec_lo, s23
	s_cbranch_execnz .LBB185_41
.LBB185_42:                             ;   in Loop: Header=BB185_4 Depth=1
	s_set_inst_prefetch_distance 0x2
	s_or_b32 exec_lo, exec_lo, s22
	s_cbranch_execnz .LBB185_3
	s_branch .LBB185_44
.LBB185_43:                             ;   in Loop: Header=BB185_4 Depth=1
.LBB185_44:                             ;   in Loop: Header=BB185_4 Depth=1
	s_and_saveexec_b32 s22, s2
	s_cbranch_execz .LBB185_2
; %bb.45:                               ;   in Loop: Header=BB185_4 Depth=1
	v_dual_mov_b32 v5, v3 :: v_dual_mov_b32 v4, v2
	v_dual_mov_b32 v7, v1 :: v_dual_mov_b32 v6, v0
	s_mov_b32 s23, 0
	s_set_inst_prefetch_distance 0x1
	.p2align	6
.LBB185_46:                             ;   Parent Loop BB185_4 Depth=1
                                        ; =>  This Inner Loop Header: Depth=2
	s_delay_alu instid0(VALU_DEP_1) | instskip(NEXT) | instid1(VALU_DEP_1)
	v_lshlrev_b64 v[18:19], 1, v[6:7]
	v_add_co_u32 v6, vcc_lo, s34, v18
	s_delay_alu instid0(VALU_DEP_2)
	v_add_co_ci_u32_e32 v7, vcc_lo, s35, v19, vcc_lo
	v_add_co_u32 v20, vcc_lo, s36, v18
	v_add_co_ci_u32_e32 v21, vcc_lo, s37, v19, vcc_lo
	v_add_co_u32 v4, vcc_lo, v4, s30
	global_load_u16 v6, v[6:7], off
	global_load_u16 v7, v[20:21], off
	v_add_co_ci_u32_e32 v5, vcc_lo, s31, v5, vcc_lo
	v_add_co_u32 v18, s3, s4, v18
	s_delay_alu instid0(VALU_DEP_1) | instskip(NEXT) | instid1(VALU_DEP_3)
	v_add_co_ci_u32_e64 v19, s3, s5, v19, s3
	v_cmp_le_i64_e32 vcc_lo, s[10:11], v[4:5]
	s_or_b32 s23, vcc_lo, s23
	s_waitcnt vmcnt(1)
	v_lshlrev_b32_e32 v6, 16, v6
	s_waitcnt vmcnt(0)
	s_delay_alu instid0(VALU_DEP_1) | instskip(NEXT) | instid1(VALU_DEP_1)
	v_dual_mul_f32 v6, s7, v6 :: v_dual_lshlrev_b32 v7, 16, v7
	v_mul_f32_e32 v6, v16, v6
	s_delay_alu instid0(VALU_DEP_1) | instskip(NEXT) | instid1(VALU_DEP_1)
	v_fma_f32 v6, v8, v7, -v6
	v_mul_f32_e32 v6, v17, v6
	s_delay_alu instid0(VALU_DEP_1) | instskip(SKIP_1) | instid1(VALU_DEP_2)
	v_bfe_u32 v7, v6, 16, 1
	v_cmp_o_f32_e64 s3, v6, v6
	v_add3_u32 v20, v6, v7, 0x7fff
	v_ashrrev_i32_e32 v7, 31, v4
	v_mov_b32_e32 v6, v4
	s_delay_alu instid0(VALU_DEP_3) | instskip(NEXT) | instid1(VALU_DEP_1)
	v_lshrrev_b32_e32 v20, 16, v20
	v_cndmask_b32_e64 v20, 0x7fc0, v20, s3
	global_store_b16 v[18:19], v20, off
	s_and_not1_b32 exec_lo, exec_lo, s23
	s_cbranch_execnz .LBB185_46
	s_branch .LBB185_2
.LBB185_47:
	s_endpgm
	.section	.rodata,"a",@progbits
	.p2align	6, 0x0
	.amdhsa_kernel _ZN2at6native12_GLOBAL__N_118cuComputeGradInputIN3c108BFloat16EfLb1EEEvPKT_S7_llPKT0_SA_S7_PS5_
		.amdhsa_group_segment_fixed_size 0
		.amdhsa_private_segment_fixed_size 0
		.amdhsa_kernarg_size 320
		.amdhsa_user_sgpr_count 14
		.amdhsa_user_sgpr_dispatch_ptr 0
		.amdhsa_user_sgpr_queue_ptr 0
		.amdhsa_user_sgpr_kernarg_segment_ptr 1
		.amdhsa_user_sgpr_dispatch_id 0
		.amdhsa_user_sgpr_private_segment_size 0
		.amdhsa_wavefront_size32 1
		.amdhsa_uses_dynamic_stack 0
		.amdhsa_enable_private_segment 0
		.amdhsa_system_sgpr_workgroup_id_x 1
		.amdhsa_system_sgpr_workgroup_id_y 1
		.amdhsa_system_sgpr_workgroup_id_z 0
		.amdhsa_system_sgpr_workgroup_info 0
		.amdhsa_system_vgpr_workitem_id 1
		.amdhsa_next_free_vgpr 22
		.amdhsa_next_free_sgpr 39
		.amdhsa_reserve_vcc 1
		.amdhsa_float_round_mode_32 0
		.amdhsa_float_round_mode_16_64 0
		.amdhsa_float_denorm_mode_32 3
		.amdhsa_float_denorm_mode_16_64 3
		.amdhsa_dx10_clamp 1
		.amdhsa_ieee_mode 1
		.amdhsa_fp16_overflow 0
		.amdhsa_workgroup_processor_mode 1
		.amdhsa_memory_ordered 1
		.amdhsa_forward_progress 0
		.amdhsa_shared_vgpr_count 0
		.amdhsa_exception_fp_ieee_invalid_op 0
		.amdhsa_exception_fp_denorm_src 0
		.amdhsa_exception_fp_ieee_div_zero 0
		.amdhsa_exception_fp_ieee_overflow 0
		.amdhsa_exception_fp_ieee_underflow 0
		.amdhsa_exception_fp_ieee_inexact 0
		.amdhsa_exception_int_div_zero 0
	.end_amdhsa_kernel
	.section	.text._ZN2at6native12_GLOBAL__N_118cuComputeGradInputIN3c108BFloat16EfLb1EEEvPKT_S7_llPKT0_SA_S7_PS5_,"axG",@progbits,_ZN2at6native12_GLOBAL__N_118cuComputeGradInputIN3c108BFloat16EfLb1EEEvPKT_S7_llPKT0_SA_S7_PS5_,comdat
.Lfunc_end185:
	.size	_ZN2at6native12_GLOBAL__N_118cuComputeGradInputIN3c108BFloat16EfLb1EEEvPKT_S7_llPKT0_SA_S7_PS5_, .Lfunc_end185-_ZN2at6native12_GLOBAL__N_118cuComputeGradInputIN3c108BFloat16EfLb1EEEvPKT_S7_llPKT0_SA_S7_PS5_
                                        ; -- End function
	.section	.AMDGPU.csdata,"",@progbits
; Kernel info:
; codeLenInByte = 1832
; NumSgprs: 41
; NumVgprs: 22
; ScratchSize: 0
; MemoryBound: 0
; FloatMode: 240
; IeeeMode: 1
; LDSByteSize: 0 bytes/workgroup (compile time only)
; SGPRBlocks: 5
; VGPRBlocks: 2
; NumSGPRsForWavesPerEU: 41
; NumVGPRsForWavesPerEU: 22
; Occupancy: 16
; WaveLimiterHint : 0
; COMPUTE_PGM_RSRC2:SCRATCH_EN: 0
; COMPUTE_PGM_RSRC2:USER_SGPR: 14
; COMPUTE_PGM_RSRC2:TRAP_HANDLER: 0
; COMPUTE_PGM_RSRC2:TGID_X_EN: 1
; COMPUTE_PGM_RSRC2:TGID_Y_EN: 1
; COMPUTE_PGM_RSRC2:TGID_Z_EN: 0
; COMPUTE_PGM_RSRC2:TIDIG_COMP_CNT: 1
	.section	.text._ZN2at6native12_GLOBAL__N_128layer_norm_grad_input_kernelIN3c108BFloat16EfLb1EEEvPKT_S7_PKT0_SA_S7_PS5_i,"axG",@progbits,_ZN2at6native12_GLOBAL__N_128layer_norm_grad_input_kernelIN3c108BFloat16EfLb1EEEvPKT_S7_PKT0_SA_S7_PS5_i,comdat
	.globl	_ZN2at6native12_GLOBAL__N_128layer_norm_grad_input_kernelIN3c108BFloat16EfLb1EEEvPKT_S7_PKT0_SA_S7_PS5_i ; -- Begin function _ZN2at6native12_GLOBAL__N_128layer_norm_grad_input_kernelIN3c108BFloat16EfLb1EEEvPKT_S7_PKT0_SA_S7_PS5_i
	.p2align	8
	.type	_ZN2at6native12_GLOBAL__N_128layer_norm_grad_input_kernelIN3c108BFloat16EfLb1EEEvPKT_S7_PKT0_SA_S7_PS5_i,@function
_ZN2at6native12_GLOBAL__N_128layer_norm_grad_input_kernelIN3c108BFloat16EfLb1EEEvPKT_S7_PKT0_SA_S7_PS5_i: ; @_ZN2at6native12_GLOBAL__N_128layer_norm_grad_input_kernelIN3c108BFloat16EfLb1EEEvPKT_S7_PKT0_SA_S7_PS5_i
; %bb.0:
	s_clause 0x2
	s_load_b32 s12, s[0:1], 0x30
	s_load_b128 s[4:7], s[0:1], 0x18
	s_load_b128 s[8:11], s[0:1], 0x0
	s_mov_b32 s2, s15
	s_mov_b32 s3, 0
	v_lshlrev_b32_e32 v1, 2, v0
	v_mov_b32_e32 v9, 0
	s_delay_alu instid0(VALU_DEP_2)
	v_or_b32_e32 v2, 3, v1
	s_waitcnt lgkmcnt(0)
	s_ashr_i32 s13, s12, 31
	s_mul_hi_u32 s16, s12, s15
	s_mul_i32 s13, s13, s15
	s_lshl_b64 s[14:15], s[2:3], 2
	s_add_i32 s17, s16, s13
	s_add_u32 s4, s4, s14
	s_addc_u32 s5, s5, s15
	s_mul_i32 s16, s12, s2
	s_load_b32 s13, s[4:5], 0x0
	s_lshl_b64 s[4:5], s[16:17], 1
	s_mov_b32 s2, exec_lo
	s_add_u32 s14, s10, s4
	s_addc_u32 s15, s11, s5
	s_add_u32 s16, s8, s4
	s_addc_u32 s17, s9, s5
	v_cmpx_gt_u32_e64 s12, v2
	s_cbranch_execz .LBB186_12
; %bb.1:
	s_load_b32 s19, s[0:1], 0x44
	s_cmp_lg_u64 s[6:7], 0
	v_dual_mov_b32 v2, 0 :: v_dual_mov_b32 v9, 0
	s_cselect_b32 s18, -1, 0
	s_waitcnt lgkmcnt(0)
	s_and_b32 s19, s19, 0xffff
	s_delay_alu instid0(SALU_CYCLE_1)
	s_lshl_b32 s19, s19, 2
	s_add_u32 s20, s6, 2
	s_addc_u32 s21, s7, 0
	s_add_u32 s22, s6, 4
	s_addc_u32 s23, s7, 0
	;; [unrolled: 2-line block ×3, first 2 shown]
	s_branch .LBB186_3
.LBB186_2:                              ;   in Loop: Header=BB186_3 Depth=1
	global_load_u16 v5, v[5:6], off offset:6
	global_load_u16 v3, v[3:4], off offset:6
	s_waitcnt vmcnt(4)
	v_lshlrev_b32_e32 v7, 16, v16
	s_delay_alu instid0(VALU_DEP_1) | instskip(SKIP_1) | instid1(VALU_DEP_1)
	v_dual_mul_f32 v7, v10, v7 :: v_dual_lshlrev_b32 v4, 16, v13
	s_waitcnt vmcnt(1)
	v_dual_mul_f32 v4, v11, v4 :: v_dual_lshlrev_b32 v5, 16, v5
	v_lshlrev_b32_e32 v6, 16, v12
	s_waitcnt vmcnt(0)
	v_lshlrev_b32_e32 v3, 16, v3
	s_delay_alu instid0(VALU_DEP_2) | instskip(SKIP_1) | instid1(VALU_DEP_2)
	v_dual_mul_f32 v5, v14, v5 :: v_dual_mul_f32 v4, v4, v6
	v_lshlrev_b32_e32 v6, 16, v15
	v_mul_f32_e32 v3, v5, v3
	s_delay_alu instid0(VALU_DEP_2) | instskip(NEXT) | instid1(VALU_DEP_1)
	v_dual_fmac_f32 v9, s13, v4 :: v_dual_mul_f32 v4, v7, v6
	v_dual_fmac_f32 v9, s13, v4 :: v_dual_lshlrev_b32 v8, 16, v19
	s_delay_alu instid0(VALU_DEP_1) | instskip(NEXT) | instid1(VALU_DEP_1)
	v_dual_mul_f32 v7, v17, v8 :: v_dual_lshlrev_b32 v6, 16, v18
	v_dual_mul_f32 v4, v7, v6 :: v_dual_add_nc_u32 v1, s19, v1
	s_delay_alu instid0(VALU_DEP_1) | instskip(NEXT) | instid1(VALU_DEP_1)
	v_dual_fmac_f32 v9, s13, v4 :: v_dual_add_nc_u32 v6, 3, v1
	v_cmp_le_u32_e32 vcc_lo, s12, v6
	s_delay_alu instid0(VALU_DEP_2) | instskip(SKIP_1) | instid1(SALU_CYCLE_1)
	v_fmac_f32_e32 v9, s13, v3
	s_or_b32 s3, vcc_lo, s3
	s_and_not1_b32 exec_lo, exec_lo, s3
	s_cbranch_execz .LBB186_11
.LBB186_3:                              ; =>This Inner Loop Header: Depth=1
	v_lshlrev_b64 v[7:8], 1, v[1:2]
	v_dual_mov_b32 v10, 1.0 :: v_dual_mov_b32 v11, 1.0
	s_and_b32 vcc_lo, exec_lo, s18
	s_cbranch_vccz .LBB186_5
; %bb.4:                                ;   in Loop: Header=BB186_3 Depth=1
	s_delay_alu instid0(VALU_DEP_2) | instskip(NEXT) | instid1(VALU_DEP_3)
	v_add_co_u32 v3, vcc_lo, s6, v7
	v_add_co_ci_u32_e32 v4, vcc_lo, s7, v8, vcc_lo
	global_load_u16 v3, v[3:4], off
	s_waitcnt vmcnt(0)
	v_lshlrev_b32_e32 v11, 16, v3
.LBB186_5:                              ;   in Loop: Header=BB186_3 Depth=1
	s_delay_alu instid0(VALU_DEP_2) | instskip(NEXT) | instid1(VALU_DEP_3)
	v_add_co_u32 v3, vcc_lo, s14, v7
	v_add_co_ci_u32_e32 v4, vcc_lo, s15, v8, vcc_lo
	v_add_co_u32 v5, vcc_lo, s16, v7
	v_add_co_ci_u32_e32 v6, vcc_lo, s17, v8, vcc_lo
	s_and_not1_b32 vcc_lo, exec_lo, s18
	global_load_u16 v12, v[3:4], off
	global_load_u16 v13, v[5:6], off
	s_cbranch_vccnz .LBB186_7
; %bb.6:                                ;   in Loop: Header=BB186_3 Depth=1
	v_add_co_u32 v14, vcc_lo, s20, v7
	v_add_co_ci_u32_e32 v15, vcc_lo, s21, v8, vcc_lo
	global_load_u16 v10, v[14:15], off
	s_waitcnt vmcnt(0)
	v_lshlrev_b32_e32 v10, 16, v10
.LBB186_7:                              ;   in Loop: Header=BB186_3 Depth=1
	global_load_u16 v15, v[3:4], off offset:2
	global_load_u16 v16, v[5:6], off offset:2
	v_dual_mov_b32 v14, 1.0 :: v_dual_mov_b32 v17, 1.0
	s_and_not1_b32 vcc_lo, exec_lo, s18
	s_cbranch_vccnz .LBB186_9
; %bb.8:                                ;   in Loop: Header=BB186_3 Depth=1
	v_add_co_u32 v17, vcc_lo, s22, v7
	v_add_co_ci_u32_e32 v18, vcc_lo, s23, v8, vcc_lo
	global_load_u16 v17, v[17:18], off
	s_waitcnt vmcnt(0)
	v_lshlrev_b32_e32 v17, 16, v17
.LBB186_9:                              ;   in Loop: Header=BB186_3 Depth=1
	global_load_u16 v18, v[3:4], off offset:4
	global_load_u16 v19, v[5:6], off offset:4
	s_and_not1_b32 vcc_lo, exec_lo, s18
	s_cbranch_vccnz .LBB186_2
; %bb.10:                               ;   in Loop: Header=BB186_3 Depth=1
	v_add_co_u32 v7, vcc_lo, s24, v7
	v_add_co_ci_u32_e32 v8, vcc_lo, s25, v8, vcc_lo
	global_load_u16 v7, v[7:8], off
	s_waitcnt vmcnt(0)
	v_lshlrev_b32_e32 v14, 16, v7
	s_branch .LBB186_2
.LBB186_11:
	s_or_b32 exec_lo, exec_lo, s3
.LBB186_12:
	s_delay_alu instid0(SALU_CYCLE_1) | instskip(NEXT) | instid1(SALU_CYCLE_1)
	s_or_b32 exec_lo, exec_lo, s2
	s_mov_b32 s3, exec_lo
	v_cmpx_gt_u32_e64 s12, v1
	s_cbranch_execz .LBB186_19
; %bb.13:
	v_mov_b32_e32 v2, 0
	s_cmp_lg_u64 s[6:7], 0
	s_delay_alu instid0(VALU_DEP_1) | instskip(NEXT) | instid1(VALU_DEP_1)
	v_lshlrev_b64 v[2:3], 1, v[1:2]
	v_add_co_u32 v6, vcc_lo, s4, v2
	s_delay_alu instid0(VALU_DEP_2) | instskip(SKIP_2) | instid1(VALU_DEP_4)
	v_add_co_ci_u32_e32 v7, vcc_lo, s5, v3, vcc_lo
	v_add_co_u32 v2, vcc_lo, s6, v2
	v_add_co_ci_u32_e32 v3, vcc_lo, s7, v3, vcc_lo
	v_add_co_u32 v4, vcc_lo, s10, v6
	s_delay_alu instid0(VALU_DEP_4)
	v_add_co_ci_u32_e32 v5, vcc_lo, s11, v7, vcc_lo
	v_add_co_u32 v6, vcc_lo, s8, v6
	v_add_co_ci_u32_e32 v7, vcc_lo, s9, v7, vcc_lo
	s_cselect_b32 s8, -1, 0
	s_mov_b32 s9, 0
	s_set_inst_prefetch_distance 0x1
	s_branch .LBB186_16
	.p2align	6
.LBB186_14:                             ;   in Loop: Header=BB186_16 Depth=1
	global_load_u16 v8, v[2:3], off
	s_waitcnt vmcnt(0)
	v_lshlrev_b32_e32 v8, 16, v8
.LBB186_15:                             ;   in Loop: Header=BB186_16 Depth=1
	global_load_u16 v10, v[6:7], off
	global_load_u16 v11, v[4:5], off
	v_add_co_u32 v2, vcc_lo, v2, 2
	v_add_co_ci_u32_e32 v3, vcc_lo, 0, v3, vcc_lo
	v_add_co_u32 v4, vcc_lo, v4, 2
	v_add_co_ci_u32_e32 v5, vcc_lo, 0, v5, vcc_lo
	v_add_co_u32 v6, s2, v6, 2
	s_delay_alu instid0(VALU_DEP_1) | instskip(SKIP_4) | instid1(VALU_DEP_2)
	v_add_co_ci_u32_e64 v7, s2, 0, v7, s2
	s_waitcnt vmcnt(1)
	v_lshlrev_b32_e32 v10, 16, v10
	v_add_nc_u32_e32 v1, 1, v1
	s_waitcnt vmcnt(0)
	v_dual_mul_f32 v8, v8, v10 :: v_dual_lshlrev_b32 v11, 16, v11
	s_delay_alu instid0(VALU_DEP_2) | instskip(NEXT) | instid1(VALU_DEP_2)
	v_cmp_le_u32_e32 vcc_lo, s12, v1
	v_mul_f32_e32 v8, v8, v11
	s_or_b32 s9, vcc_lo, s9
	s_waitcnt lgkmcnt(0)
	s_delay_alu instid0(VALU_DEP_1)
	v_fmac_f32_e32 v9, s13, v8
	s_and_not1_b32 exec_lo, exec_lo, s9
	s_cbranch_execz .LBB186_18
.LBB186_16:                             ; =>This Inner Loop Header: Depth=1
	s_and_not1_b32 vcc_lo, exec_lo, s8
	s_cbranch_vccz .LBB186_14
; %bb.17:                               ;   in Loop: Header=BB186_16 Depth=1
	v_mov_b32_e32 v8, 1.0
	s_branch .LBB186_15
.LBB186_18:
	s_set_inst_prefetch_distance 0x2
	s_or_b32 exec_lo, exec_lo, s9
.LBB186_19:
	s_delay_alu instid0(SALU_CYCLE_1)
	s_or_b32 exec_lo, exec_lo, s3
	v_mbcnt_lo_u32_b32 v5, -1, 0
	s_mov_b32 s2, exec_lo
	s_waitcnt lgkmcnt(0)
	s_barrier
	buffer_gl0_inv
	v_cmp_gt_u32_e32 vcc_lo, 16, v5
	v_cndmask_b32_e64 v1, 0, 1, vcc_lo
	v_cmp_gt_u32_e32 vcc_lo, 24, v5
	s_delay_alu instid0(VALU_DEP_2) | instskip(SKIP_2) | instid1(VALU_DEP_3)
	v_lshlrev_b32_e32 v1, 4, v1
	v_cndmask_b32_e64 v2, 0, 1, vcc_lo
	v_cmp_gt_u32_e32 vcc_lo, 28, v5
	v_add_lshl_u32 v1, v1, v5, 2
	s_delay_alu instid0(VALU_DEP_3)
	v_lshlrev_b32_e32 v2, 3, v2
	ds_bpermute_b32 v3, v1, v9
	v_add_lshl_u32 v2, v2, v5, 2
	s_waitcnt lgkmcnt(0)
	v_add_f32_e32 v4, v9, v3
	v_cndmask_b32_e64 v3, 0, 1, vcc_lo
	v_cmp_gt_u32_e32 vcc_lo, 30, v5
	ds_bpermute_b32 v6, v2, v4
	s_waitcnt lgkmcnt(0)
	v_dual_add_f32 v6, v4, v6 :: v_dual_lshlrev_b32 v3, 2, v3
	s_delay_alu instid0(VALU_DEP_1) | instskip(SKIP_4) | instid1(VALU_DEP_1)
	v_add_lshl_u32 v3, v3, v5, 2
	v_cndmask_b32_e64 v4, 0, 1, vcc_lo
	v_cmp_ne_u32_e32 vcc_lo, 31, v5
	ds_bpermute_b32 v7, v3, v6
	v_lshlrev_b32_e32 v4, 1, v4
	v_add_lshl_u32 v4, v4, v5, 2
	v_add_co_ci_u32_e32 v5, vcc_lo, 0, v5, vcc_lo
	s_waitcnt lgkmcnt(0)
	s_delay_alu instid0(VALU_DEP_1)
	v_dual_add_f32 v6, v6, v7 :: v_dual_lshlrev_b32 v5, 2, v5
	ds_bpermute_b32 v7, v4, v6
	s_waitcnt lgkmcnt(0)
	v_dual_add_f32 v7, v6, v7 :: v_dual_and_b32 v6, 31, v0
	ds_bpermute_b32 v8, v5, v7
	v_cmpx_eq_u32_e32 0, v6
	s_cbranch_execz .LBB186_21
; %bb.20:
	v_lshrrev_b32_e32 v9, 3, v0
	s_waitcnt lgkmcnt(0)
	v_add_f32_e32 v7, v7, v8
	s_delay_alu instid0(VALU_DEP_2)
	v_add_nc_u32_e32 v9, 0, v9
	ds_store_b32 v9, v7
.LBB186_21:
	s_or_b32 exec_lo, exec_lo, s2
	s_waitcnt lgkmcnt(0)
	s_barrier
	buffer_gl0_inv
	s_load_b32 s2, s[0:1], 0x44
	v_mov_b32_e32 v7, 0
	s_waitcnt lgkmcnt(0)
	s_bfe_u32 s3, s2, 0xb0005
	s_delay_alu instid0(SALU_CYCLE_1)
	v_cmp_gt_u32_e32 vcc_lo, s3, v0
	s_and_saveexec_b32 s3, vcc_lo
	s_cbranch_execz .LBB186_23
; %bb.22:
	v_lshl_add_u32 v6, v6, 2, 0
	ds_load_b32 v7, v6
.LBB186_23:
	s_or_b32 exec_lo, exec_lo, s3
	s_delay_alu instid0(SALU_CYCLE_1)
	s_mov_b32 s3, exec_lo
	v_cmpx_gt_u32_e32 32, v0
	s_cbranch_execz .LBB186_25
; %bb.24:
	s_waitcnt lgkmcnt(0)
	ds_bpermute_b32 v1, v1, v7
	s_waitcnt lgkmcnt(0)
	v_add_f32_e32 v1, v7, v1
	ds_bpermute_b32 v2, v2, v1
	s_waitcnt lgkmcnt(0)
	v_add_f32_e32 v1, v1, v2
	;; [unrolled: 3-line block ×5, first 2 shown]
.LBB186_25:
	s_or_b32 exec_lo, exec_lo, s3
	s_delay_alu instid0(SALU_CYCLE_1)
	s_mov_b32 s3, exec_lo
	v_cmpx_eq_u32_e32 0, v0
	s_cbranch_execz .LBB186_27
; %bb.26:
	v_mov_b32_e32 v1, 0
	s_waitcnt lgkmcnt(0)
	ds_store_b32 v1, v7 offset:4
.LBB186_27:
	s_or_b32 exec_lo, exec_lo, s3
	s_waitcnt lgkmcnt(0)
	s_barrier
	buffer_gl0_inv
	s_mov_b32 s3, exec_lo
	v_cmpx_gt_i32_e64 s12, v0
	s_cbranch_execz .LBB186_33
; %bb.28:
	v_cvt_f32_i32_e32 v3, s12
	s_load_b64 s[8:9], s[0:1], 0x28
	s_and_b32 s1, s2, 0xffff
	s_delay_alu instid0(VALU_DEP_1) | instskip(SKIP_1) | instid1(VALU_DEP_2)
	v_div_scale_f32 v1, null, v3, v3, 1.0
	v_div_scale_f32 v5, vcc_lo, 1.0, v3, 1.0
	v_rcp_f32_e32 v2, v1
	s_waitcnt_depctr 0xfff
	v_fma_f32 v4, -v1, v2, 1.0
	s_waitcnt lgkmcnt(0)
	s_add_u32 s2, s8, s4
	s_addc_u32 s3, s9, s5
	s_cmp_lg_u64 s[6:7], 0
	s_mov_b32 s5, 0
	v_fmac_f32_e32 v2, v4, v2
	s_cselect_b32 s4, -1, 0
	s_delay_alu instid0(VALU_DEP_1) | instskip(NEXT) | instid1(VALU_DEP_1)
	v_mul_f32_e32 v6, v5, v2
	v_fma_f32 v4, -v1, v6, v5
	s_delay_alu instid0(VALU_DEP_1) | instskip(SKIP_1) | instid1(VALU_DEP_2)
	v_fmac_f32_e32 v6, v4, v2
	v_mov_b32_e32 v4, 0
	v_fma_f32 v1, -v1, v6, v5
	ds_load_b32 v4, v4 offset:4
	v_div_fmas_f32 v1, v1, v2, v6
	s_delay_alu instid0(VALU_DEP_1) | instskip(NEXT) | instid1(VALU_DEP_1)
	v_div_fixup_f32 v1, v1, v3, 1.0
	v_mul_f32_e32 v5, s13, v1
	s_branch .LBB186_31
.LBB186_29:                             ;   in Loop: Header=BB186_31 Depth=1
	v_add_co_u32 v8, vcc_lo, s6, v1
	v_add_co_ci_u32_e32 v9, vcc_lo, s7, v2, vcc_lo
	global_load_u16 v8, v[8:9], off
	s_waitcnt vmcnt(0)
	v_lshlrev_b32_e32 v8, 16, v8
.LBB186_30:                             ;   in Loop: Header=BB186_31 Depth=1
	s_waitcnt vmcnt(1)
	v_lshlrev_b32_e32 v6, 16, v6
	s_delay_alu instid0(VALU_DEP_2) | instskip(SKIP_2) | instid1(VALU_DEP_3)
	v_mul_f32_e32 v8, v8, v3
	v_add_nc_u32_e32 v0, s1, v0
	s_waitcnt vmcnt(0)
	v_dual_mul_f32 v6, s13, v6 :: v_dual_lshlrev_b32 v7, 16, v7
	s_delay_alu instid0(VALU_DEP_2) | instskip(SKIP_1) | instid1(VALU_DEP_2)
	v_cmp_le_i32_e32 vcc_lo, s12, v0
	s_waitcnt lgkmcnt(0)
	v_mul_f32_e32 v6, v4, v6
	s_or_b32 s5, vcc_lo, s5
	s_delay_alu instid0(VALU_DEP_1) | instskip(NEXT) | instid1(VALU_DEP_1)
	v_fma_f32 v6, v8, v7, -v6
	v_mul_f32_e32 v6, v5, v6
	s_delay_alu instid0(VALU_DEP_1) | instskip(SKIP_1) | instid1(VALU_DEP_2)
	v_bfe_u32 v7, v6, 16, 1
	v_cmp_o_f32_e64 s0, v6, v6
	v_add3_u32 v7, v6, v7, 0x7fff
	s_delay_alu instid0(VALU_DEP_1) | instskip(NEXT) | instid1(VALU_DEP_1)
	v_lshrrev_b32_e32 v7, 16, v7
	v_cndmask_b32_e64 v6, 0x7fc0, v7, s0
	v_add_co_u32 v1, s0, s2, v1
	s_delay_alu instid0(VALU_DEP_1)
	v_add_co_ci_u32_e64 v2, s0, s3, v2, s0
	global_store_b16 v[1:2], v6, off
	s_and_not1_b32 exec_lo, exec_lo, s5
	s_cbranch_execz .LBB186_33
.LBB186_31:                             ; =>This Inner Loop Header: Depth=1
	v_ashrrev_i32_e32 v1, 31, v0
	s_delay_alu instid0(VALU_DEP_1) | instskip(NEXT) | instid1(VALU_DEP_1)
	v_lshlrev_b64 v[1:2], 1, v[0:1]
	v_add_co_u32 v6, vcc_lo, s14, v1
	s_delay_alu instid0(VALU_DEP_2)
	v_add_co_ci_u32_e32 v7, vcc_lo, s15, v2, vcc_lo
	v_add_co_u32 v8, vcc_lo, s16, v1
	v_add_co_ci_u32_e32 v9, vcc_lo, s17, v2, vcc_lo
	s_and_not1_b32 vcc_lo, exec_lo, s4
	global_load_u16 v6, v[6:7], off
	global_load_u16 v7, v[8:9], off
	s_cbranch_vccz .LBB186_29
; %bb.32:                               ;   in Loop: Header=BB186_31 Depth=1
	v_mov_b32_e32 v8, 1.0
	s_branch .LBB186_30
.LBB186_33:
	s_nop 0
	s_sendmsg sendmsg(MSG_DEALLOC_VGPRS)
	s_endpgm
	.section	.rodata,"a",@progbits
	.p2align	6, 0x0
	.amdhsa_kernel _ZN2at6native12_GLOBAL__N_128layer_norm_grad_input_kernelIN3c108BFloat16EfLb1EEEvPKT_S7_PKT0_SA_S7_PS5_i
		.amdhsa_group_segment_fixed_size 0
		.amdhsa_private_segment_fixed_size 0
		.amdhsa_kernarg_size 312
		.amdhsa_user_sgpr_count 15
		.amdhsa_user_sgpr_dispatch_ptr 0
		.amdhsa_user_sgpr_queue_ptr 0
		.amdhsa_user_sgpr_kernarg_segment_ptr 1
		.amdhsa_user_sgpr_dispatch_id 0
		.amdhsa_user_sgpr_private_segment_size 0
		.amdhsa_wavefront_size32 1
		.amdhsa_uses_dynamic_stack 0
		.amdhsa_enable_private_segment 0
		.amdhsa_system_sgpr_workgroup_id_x 1
		.amdhsa_system_sgpr_workgroup_id_y 0
		.amdhsa_system_sgpr_workgroup_id_z 0
		.amdhsa_system_sgpr_workgroup_info 0
		.amdhsa_system_vgpr_workitem_id 0
		.amdhsa_next_free_vgpr 20
		.amdhsa_next_free_sgpr 26
		.amdhsa_reserve_vcc 1
		.amdhsa_float_round_mode_32 0
		.amdhsa_float_round_mode_16_64 0
		.amdhsa_float_denorm_mode_32 3
		.amdhsa_float_denorm_mode_16_64 3
		.amdhsa_dx10_clamp 1
		.amdhsa_ieee_mode 1
		.amdhsa_fp16_overflow 0
		.amdhsa_workgroup_processor_mode 1
		.amdhsa_memory_ordered 1
		.amdhsa_forward_progress 0
		.amdhsa_shared_vgpr_count 0
		.amdhsa_exception_fp_ieee_invalid_op 0
		.amdhsa_exception_fp_denorm_src 0
		.amdhsa_exception_fp_ieee_div_zero 0
		.amdhsa_exception_fp_ieee_overflow 0
		.amdhsa_exception_fp_ieee_underflow 0
		.amdhsa_exception_fp_ieee_inexact 0
		.amdhsa_exception_int_div_zero 0
	.end_amdhsa_kernel
	.section	.text._ZN2at6native12_GLOBAL__N_128layer_norm_grad_input_kernelIN3c108BFloat16EfLb1EEEvPKT_S7_PKT0_SA_S7_PS5_i,"axG",@progbits,_ZN2at6native12_GLOBAL__N_128layer_norm_grad_input_kernelIN3c108BFloat16EfLb1EEEvPKT_S7_PKT0_SA_S7_PS5_i,comdat
.Lfunc_end186:
	.size	_ZN2at6native12_GLOBAL__N_128layer_norm_grad_input_kernelIN3c108BFloat16EfLb1EEEvPKT_S7_PKT0_SA_S7_PS5_i, .Lfunc_end186-_ZN2at6native12_GLOBAL__N_128layer_norm_grad_input_kernelIN3c108BFloat16EfLb1EEEvPKT_S7_PKT0_SA_S7_PS5_i
                                        ; -- End function
	.section	.AMDGPU.csdata,"",@progbits
; Kernel info:
; codeLenInByte = 1844
; NumSgprs: 28
; NumVgprs: 20
; ScratchSize: 0
; MemoryBound: 0
; FloatMode: 240
; IeeeMode: 1
; LDSByteSize: 0 bytes/workgroup (compile time only)
; SGPRBlocks: 3
; VGPRBlocks: 2
; NumSGPRsForWavesPerEU: 28
; NumVGPRsForWavesPerEU: 20
; Occupancy: 16
; WaveLimiterHint : 0
; COMPUTE_PGM_RSRC2:SCRATCH_EN: 0
; COMPUTE_PGM_RSRC2:USER_SGPR: 15
; COMPUTE_PGM_RSRC2:TRAP_HANDLER: 0
; COMPUTE_PGM_RSRC2:TGID_X_EN: 1
; COMPUTE_PGM_RSRC2:TGID_Y_EN: 0
; COMPUTE_PGM_RSRC2:TGID_Z_EN: 0
; COMPUTE_PGM_RSRC2:TIDIG_COMP_CNT: 0
	.section	.text._ZN2at6native12_GLOBAL__N_133GammaBetaBackwardSimpleCUDAKernelIN3c108BFloat16EfLb1EEEvllPKT_S7_PKT0_SA_PS5_SB_,"axG",@progbits,_ZN2at6native12_GLOBAL__N_133GammaBetaBackwardSimpleCUDAKernelIN3c108BFloat16EfLb1EEEvllPKT_S7_PKT0_SA_PS5_SB_,comdat
	.globl	_ZN2at6native12_GLOBAL__N_133GammaBetaBackwardSimpleCUDAKernelIN3c108BFloat16EfLb1EEEvllPKT_S7_PKT0_SA_PS5_SB_ ; -- Begin function _ZN2at6native12_GLOBAL__N_133GammaBetaBackwardSimpleCUDAKernelIN3c108BFloat16EfLb1EEEvllPKT_S7_PKT0_SA_PS5_SB_
	.p2align	8
	.type	_ZN2at6native12_GLOBAL__N_133GammaBetaBackwardSimpleCUDAKernelIN3c108BFloat16EfLb1EEEvllPKT_S7_PKT0_SA_PS5_SB_,@function
_ZN2at6native12_GLOBAL__N_133GammaBetaBackwardSimpleCUDAKernelIN3c108BFloat16EfLb1EEEvllPKT_S7_PKT0_SA_PS5_SB_: ; @_ZN2at6native12_GLOBAL__N_133GammaBetaBackwardSimpleCUDAKernelIN3c108BFloat16EfLb1EEEvllPKT_S7_PKT0_SA_PS5_SB_
; %bb.0:
	s_clause 0x1
	s_load_b32 s2, s[0:1], 0x4c
	s_load_b256 s[4:11], s[0:1], 0x0
	v_mov_b32_e32 v1, 0
	s_waitcnt lgkmcnt(0)
	s_and_b32 s2, s2, 0xffff
	s_delay_alu instid0(VALU_DEP_1) | instid1(SALU_CYCLE_1)
	v_mad_u64_u32 v[2:3], null, s2, s15, v[0:1]
	s_mov_b32 s2, exec_lo
	s_delay_alu instid0(VALU_DEP_1)
	v_cmpx_gt_i64_e64 s[6:7], v[2:3]
	s_cbranch_execz .LBB187_8
; %bb.1:
	s_load_b128 s[0:3], s[0:1], 0x28
	v_cmp_lt_i64_e64 s12, s[4:5], 1
	v_lshlrev_b64 v[2:3], 1, v[2:3]
	s_delay_alu instid0(VALU_DEP_2)
	s_and_b32 vcc_lo, exec_lo, s12
	s_cbranch_vccnz .LBB187_6
; %bb.2:
	s_delay_alu instid0(VALU_DEP_1) | instskip(NEXT) | instid1(VALU_DEP_2)
	v_mov_b32_e32 v5, v3
	v_dual_mov_b32 v1, 0 :: v_dual_mov_b32 v4, v2
	s_waitcnt lgkmcnt(0)
	s_cmp_lg_u64 s[2:3], 0
	s_cselect_b32 s12, -1, 0
	s_lshl_b64 s[6:7], s[6:7], 1
	s_set_inst_prefetch_distance 0x1
	s_branch .LBB187_4
	.p2align	6
.LBB187_3:                              ;   in Loop: Header=BB187_4 Depth=1
	v_add_co_u32 v4, vcc_lo, v4, s6
	s_add_u32 s4, s4, -1
	s_delay_alu instid0(VALU_DEP_2)
	v_add_f32_e32 v1, v1, v0
	s_addc_u32 s5, s5, -1
	v_add_co_ci_u32_e32 v5, vcc_lo, s7, v5, vcc_lo
	s_add_u32 s0, s0, 4
	s_addc_u32 s1, s1, 0
	s_cmp_eq_u64 s[4:5], 0
	s_cbranch_scc1 .LBB187_6
.LBB187_4:                              ; =>This Inner Loop Header: Depth=1
	v_mov_b32_e32 v0, 0
	s_and_not1_b32 vcc_lo, exec_lo, s12
	s_cbranch_vccnz .LBB187_3
; %bb.5:                                ;   in Loop: Header=BB187_4 Depth=1
	v_add_co_u32 v6, vcc_lo, s10, v4
	v_add_co_ci_u32_e32 v7, vcc_lo, s11, v5, vcc_lo
	v_add_co_u32 v8, vcc_lo, s8, v4
	v_add_co_ci_u32_e32 v9, vcc_lo, s9, v5, vcc_lo
	global_load_u16 v0, v[6:7], off
	global_load_u16 v6, v[8:9], off
	s_load_b32 s13, s[0:1], 0x0
	s_waitcnt vmcnt(1)
	v_lshlrev_b32_e32 v0, 16, v0
	s_waitcnt vmcnt(0)
	v_lshlrev_b32_e32 v6, 16, v6
	s_delay_alu instid0(VALU_DEP_1) | instskip(SKIP_1) | instid1(VALU_DEP_1)
	v_mul_f32_e32 v0, v6, v0
	s_waitcnt lgkmcnt(0)
	v_mul_f32_e32 v0, s13, v0
	s_branch .LBB187_3
.LBB187_6:
	s_set_inst_prefetch_distance 0x2
	s_waitcnt lgkmcnt(0)
	s_cmp_lg_u64 s[2:3], 0
	s_cbranch_scc0 .LBB187_8
; %bb.7:
	v_bfe_u32 v0, v1, 16, 1
	v_cmp_o_f32_e32 vcc_lo, v1, v1
	s_delay_alu instid0(VALU_DEP_2) | instskip(NEXT) | instid1(VALU_DEP_1)
	v_add3_u32 v0, v1, v0, 0x7fff
	v_lshrrev_b32_e32 v0, 16, v0
	s_delay_alu instid0(VALU_DEP_1)
	v_cndmask_b32_e32 v4, 0x7fc0, v0, vcc_lo
	v_add_co_u32 v0, vcc_lo, s2, v2
	v_add_co_ci_u32_e32 v1, vcc_lo, s3, v3, vcc_lo
	global_store_b16 v[0:1], v4, off
.LBB187_8:
	s_nop 0
	s_sendmsg sendmsg(MSG_DEALLOC_VGPRS)
	s_endpgm
	.section	.rodata,"a",@progbits
	.p2align	6, 0x0
	.amdhsa_kernel _ZN2at6native12_GLOBAL__N_133GammaBetaBackwardSimpleCUDAKernelIN3c108BFloat16EfLb1EEEvllPKT_S7_PKT0_SA_PS5_SB_
		.amdhsa_group_segment_fixed_size 0
		.amdhsa_private_segment_fixed_size 0
		.amdhsa_kernarg_size 320
		.amdhsa_user_sgpr_count 15
		.amdhsa_user_sgpr_dispatch_ptr 0
		.amdhsa_user_sgpr_queue_ptr 0
		.amdhsa_user_sgpr_kernarg_segment_ptr 1
		.amdhsa_user_sgpr_dispatch_id 0
		.amdhsa_user_sgpr_private_segment_size 0
		.amdhsa_wavefront_size32 1
		.amdhsa_uses_dynamic_stack 0
		.amdhsa_enable_private_segment 0
		.amdhsa_system_sgpr_workgroup_id_x 1
		.amdhsa_system_sgpr_workgroup_id_y 0
		.amdhsa_system_sgpr_workgroup_id_z 0
		.amdhsa_system_sgpr_workgroup_info 0
		.amdhsa_system_vgpr_workitem_id 0
		.amdhsa_next_free_vgpr 10
		.amdhsa_next_free_sgpr 16
		.amdhsa_reserve_vcc 1
		.amdhsa_float_round_mode_32 0
		.amdhsa_float_round_mode_16_64 0
		.amdhsa_float_denorm_mode_32 3
		.amdhsa_float_denorm_mode_16_64 3
		.amdhsa_dx10_clamp 1
		.amdhsa_ieee_mode 1
		.amdhsa_fp16_overflow 0
		.amdhsa_workgroup_processor_mode 1
		.amdhsa_memory_ordered 1
		.amdhsa_forward_progress 0
		.amdhsa_shared_vgpr_count 0
		.amdhsa_exception_fp_ieee_invalid_op 0
		.amdhsa_exception_fp_denorm_src 0
		.amdhsa_exception_fp_ieee_div_zero 0
		.amdhsa_exception_fp_ieee_overflow 0
		.amdhsa_exception_fp_ieee_underflow 0
		.amdhsa_exception_fp_ieee_inexact 0
		.amdhsa_exception_int_div_zero 0
	.end_amdhsa_kernel
	.section	.text._ZN2at6native12_GLOBAL__N_133GammaBetaBackwardSimpleCUDAKernelIN3c108BFloat16EfLb1EEEvllPKT_S7_PKT0_SA_PS5_SB_,"axG",@progbits,_ZN2at6native12_GLOBAL__N_133GammaBetaBackwardSimpleCUDAKernelIN3c108BFloat16EfLb1EEEvllPKT_S7_PKT0_SA_PS5_SB_,comdat
.Lfunc_end187:
	.size	_ZN2at6native12_GLOBAL__N_133GammaBetaBackwardSimpleCUDAKernelIN3c108BFloat16EfLb1EEEvllPKT_S7_PKT0_SA_PS5_SB_, .Lfunc_end187-_ZN2at6native12_GLOBAL__N_133GammaBetaBackwardSimpleCUDAKernelIN3c108BFloat16EfLb1EEEvllPKT_S7_PKT0_SA_PS5_SB_
                                        ; -- End function
	.section	.AMDGPU.csdata,"",@progbits
; Kernel info:
; codeLenInByte = 376
; NumSgprs: 18
; NumVgprs: 10
; ScratchSize: 0
; MemoryBound: 0
; FloatMode: 240
; IeeeMode: 1
; LDSByteSize: 0 bytes/workgroup (compile time only)
; SGPRBlocks: 2
; VGPRBlocks: 1
; NumSGPRsForWavesPerEU: 18
; NumVGPRsForWavesPerEU: 10
; Occupancy: 16
; WaveLimiterHint : 0
; COMPUTE_PGM_RSRC2:SCRATCH_EN: 0
; COMPUTE_PGM_RSRC2:USER_SGPR: 15
; COMPUTE_PGM_RSRC2:TRAP_HANDLER: 0
; COMPUTE_PGM_RSRC2:TGID_X_EN: 1
; COMPUTE_PGM_RSRC2:TGID_Y_EN: 0
; COMPUTE_PGM_RSRC2:TGID_Z_EN: 0
; COMPUTE_PGM_RSRC2:TIDIG_COMP_CNT: 0
	.section	.text._ZN2at6native12_GLOBAL__N_135GammaBetaBackwardCUDAKernelTemplateIN3c108BFloat16EfLj64ELj1ELj32ELb1ELb1ELb1EEEvllPKT_S7_PKT0_SA_PS5_SB_,"axG",@progbits,_ZN2at6native12_GLOBAL__N_135GammaBetaBackwardCUDAKernelTemplateIN3c108BFloat16EfLj64ELj1ELj32ELb1ELb1ELb1EEEvllPKT_S7_PKT0_SA_PS5_SB_,comdat
	.globl	_ZN2at6native12_GLOBAL__N_135GammaBetaBackwardCUDAKernelTemplateIN3c108BFloat16EfLj64ELj1ELj32ELb1ELb1ELb1EEEvllPKT_S7_PKT0_SA_PS5_SB_ ; -- Begin function _ZN2at6native12_GLOBAL__N_135GammaBetaBackwardCUDAKernelTemplateIN3c108BFloat16EfLj64ELj1ELj32ELb1ELb1ELb1EEEvllPKT_S7_PKT0_SA_PS5_SB_
	.p2align	8
	.type	_ZN2at6native12_GLOBAL__N_135GammaBetaBackwardCUDAKernelTemplateIN3c108BFloat16EfLj64ELj1ELj32ELb1ELb1ELb1EEEvllPKT_S7_PKT0_SA_PS5_SB_,@function
_ZN2at6native12_GLOBAL__N_135GammaBetaBackwardCUDAKernelTemplateIN3c108BFloat16EfLj64ELj1ELj32ELb1ELb1ELb1EEEvllPKT_S7_PKT0_SA_PS5_SB_: ; @_ZN2at6native12_GLOBAL__N_135GammaBetaBackwardCUDAKernelTemplateIN3c108BFloat16EfLj64ELj1ELj32ELb1ELb1ELb1EEEvllPKT_S7_PKT0_SA_PS5_SB_
; %bb.0:
	s_clause 0x1
	s_load_b128 s[4:7], s[0:1], 0x0
	s_load_b64 s[2:3], s[0:1], 0x30
	s_mov_b32 s13, 0
	s_lshl_b32 s12, s15, 5
	v_mov_b32_e32 v26, 0
	v_bfe_u32 v1, v0, 10, 10
	v_and_b32_e32 v0, 0x3ff, v0
	s_waitcnt lgkmcnt(0)
	v_cmp_ge_i64_e64 s8, s[12:13], s[4:5]
	s_delay_alu instid0(VALU_DEP_1)
	s_and_b32 vcc_lo, exec_lo, s8
	s_cbranch_vccnz .LBB188_5
; %bb.1:
	s_clause 0x3
	s_load_b32 s16, s[0:1], 0x4c
	s_load_b32 s17, s[0:1], 0x44
	s_load_b128 s[8:11], s[0:1], 0x10
	s_load_b64 s[18:19], s[0:1], 0x28
	v_dual_mov_b32 v3, 0 :: v_dual_lshlrev_b32 v4, 5, v1
	v_lshl_or_b32 v2, s14, 6, v0
	v_dual_mov_b32 v8, 4 :: v_dual_mov_b32 v9, 8
	v_dual_mov_b32 v10, 12 :: v_dual_mov_b32 v11, 16
	;; [unrolled: 1-line block ×7, first 2 shown]
	s_waitcnt lgkmcnt(0)
	s_and_b32 s16, s16, 0xffff
	v_dual_mov_b32 v22, 60 :: v_dual_mov_b32 v23, 64
	v_mad_u32_u24 v5, v1, s16, v0
	v_add_co_u32 v40, s16, v4, s12
	s_delay_alu instid0(VALU_DEP_1) | instskip(NEXT) | instid1(VALU_DEP_3)
	v_add_co_ci_u32_e64 v41, null, 0, 0, s16
	v_dual_mov_b32 v25, 0x48 :: v_dual_and_b32 v26, 31, v5
	s_delay_alu instid0(VALU_DEP_3) | instskip(NEXT) | instid1(VALU_DEP_3)
	v_mul_lo_u32 v6, s7, v40
	v_mul_lo_u32 v7, s6, v41
	v_mad_u64_u32 v[4:5], null, s6, v40, 0
	s_lshl_b32 s16, s17, 5
	v_mov_b32_e32 v24, 0x44
	s_mul_i32 s20, s7, s16
	s_mul_hi_u32 s21, s6, s16
	v_mov_b32_e32 v27, 0x4c
	v_mov_b32_e32 v28, 0x50
	s_delay_alu instid0(VALU_DEP_4)
	v_add3_u32 v5, v5, v7, v6
	v_mov_b32_e32 v29, 0x54
	v_mov_b32_e32 v30, 0x58
	;; [unrolled: 1-line block ×4, first 2 shown]
	v_lshlrev_b64 v[6:7], 1, v[4:5]
	v_add_co_u32 v4, vcc_lo, v40, v26
	v_mov_b32_e32 v26, 0
	v_add_co_ci_u32_e32 v5, vcc_lo, 0, v41, vcc_lo
	v_lshlrev_b64 v[40:41], 1, v[2:3]
	v_mov_b32_e32 v33, 0x64
	v_mov_b32_e32 v34, 0x68
	s_delay_alu instid0(VALU_DEP_4)
	v_lshlrev_b64 v[42:43], 2, v[4:5]
	v_mov_b32_e32 v35, 0x6c
	v_mov_b32_e32 v36, 0x70
	v_add_co_u32 v2, vcc_lo, v6, v40
	v_add_co_ci_u32_e32 v40, vcc_lo, v7, v41, vcc_lo
	v_add_co_u32 v6, vcc_lo, s18, v42
	v_mov_b32_e32 v37, 0x74
	v_mov_b32_e32 v38, 0x78
	;; [unrolled: 1-line block ×3, first 2 shown]
	v_add_co_ci_u32_e32 v7, vcc_lo, s19, v43, vcc_lo
	s_mov_b32 s17, s13
	s_add_i32 s21, s21, s20
	s_mul_i32 s20, s6, s16
	s_lshl_b64 s[22:23], s[6:7], 1
	s_lshl_b64 s[18:19], s[20:21], 1
	s_lshl_b64 s[20:21], s[16:17], 2
	s_branch .LBB188_3
.LBB188_2:                              ;   in Loop: Header=BB188_3 Depth=1
	s_or_b32 exec_lo, exec_lo, s17
	v_add_co_u32 v42, vcc_lo, s8, v2
	v_add_co_ci_u32_e32 v43, vcc_lo, s9, v40, vcc_lo
	v_add_co_u32 v44, vcc_lo, s10, v2
	v_add_co_ci_u32_e32 v45, vcc_lo, s11, v40, vcc_lo
	s_add_u32 s12, s12, s16
	global_load_u16 v52, v[42:43], off
	global_load_u16 v53, v[44:45], off
	v_add_co_u32 v42, vcc_lo, v42, s22
	v_add_co_ci_u32_e32 v43, vcc_lo, s23, v43, vcc_lo
	v_add_co_u32 v44, vcc_lo, v44, s22
	v_add_co_ci_u32_e32 v45, vcc_lo, s23, v45, vcc_lo
	global_load_u16 v54, v[42:43], off
	global_load_u16 v55, v[44:45], off
	v_add_co_u32 v42, vcc_lo, v42, s22
	v_add_co_ci_u32_e32 v43, vcc_lo, s23, v43, vcc_lo
	v_add_co_u32 v44, vcc_lo, v44, s22
	v_add_co_ci_u32_e32 v45, vcc_lo, s23, v45, vcc_lo
	;; [unrolled: 6-line block ×4, first 2 shown]
	global_load_u16 v60, v[42:43], off
	v_add_co_u32 v42, vcc_lo, v42, s22
	v_add_co_ci_u32_e32 v43, vcc_lo, s23, v43, vcc_lo
	v_add_co_u32 v46, vcc_lo, v44, s22
	v_add_co_ci_u32_e32 v47, vcc_lo, s23, v45, vcc_lo
	s_delay_alu instid0(VALU_DEP_4) | instskip(NEXT) | instid1(VALU_DEP_4)
	v_add_co_u32 v48, vcc_lo, v42, s22
	v_add_co_ci_u32_e32 v49, vcc_lo, s23, v43, vcc_lo
	s_delay_alu instid0(VALU_DEP_4) | instskip(NEXT) | instid1(VALU_DEP_4)
	v_add_co_u32 v50, vcc_lo, v46, s22
	v_add_co_ci_u32_e32 v51, vcc_lo, s23, v47, vcc_lo
	global_load_u16 v61, v[44:45], off
	global_load_u16 v62, v[42:43], off
	global_load_u16 v63, v[46:47], off
	global_load_u16 v64, v[48:49], off
	global_load_u16 v65, v[50:51], off
	v_add_co_u32 v42, vcc_lo, v48, s22
	v_add_co_ci_u32_e32 v43, vcc_lo, s23, v49, vcc_lo
	v_add_co_u32 v44, vcc_lo, v50, s22
	v_add_co_ci_u32_e32 v45, vcc_lo, s23, v51, vcc_lo
	global_load_u16 v66, v[42:43], off
	v_add_co_u32 v42, vcc_lo, v42, s22
	v_add_co_ci_u32_e32 v43, vcc_lo, s23, v43, vcc_lo
	v_add_co_u32 v46, vcc_lo, v44, s22
	v_add_co_ci_u32_e32 v47, vcc_lo, s23, v45, vcc_lo
	s_delay_alu instid0(VALU_DEP_4) | instskip(NEXT) | instid1(VALU_DEP_4)
	v_add_co_u32 v48, vcc_lo, v42, s22
	v_add_co_ci_u32_e32 v49, vcc_lo, s23, v43, vcc_lo
	s_delay_alu instid0(VALU_DEP_4) | instskip(NEXT) | instid1(VALU_DEP_4)
	v_add_co_u32 v50, vcc_lo, v46, s22
	v_add_co_ci_u32_e32 v51, vcc_lo, s23, v47, vcc_lo
	global_load_u16 v67, v[44:45], off
	global_load_u16 v68, v[42:43], off
	global_load_u16 v69, v[46:47], off
	global_load_u16 v70, v[48:49], off
	global_load_u16 v71, v[50:51], off
	v_add_co_u32 v42, vcc_lo, v48, s22
	v_add_co_ci_u32_e32 v43, vcc_lo, s23, v49, vcc_lo
	v_add_co_u32 v44, vcc_lo, v50, s22
	v_add_co_ci_u32_e32 v45, vcc_lo, s23, v51, vcc_lo
	;; [unrolled: 20-line block ×6, first 2 shown]
	global_load_u16 v48, v[42:43], off
	v_add_co_u32 v42, vcc_lo, v42, s22
	global_load_u16 v49, v[44:45], off
	v_add_co_ci_u32_e32 v43, vcc_lo, s23, v43, vcc_lo
	v_add_co_u32 v46, vcc_lo, v44, s22
	v_add_co_ci_u32_e32 v47, vcc_lo, s23, v45, vcc_lo
	v_add_co_u32 v44, vcc_lo, v42, s22
	s_delay_alu instid0(VALU_DEP_4) | instskip(SKIP_3) | instid1(SALU_CYCLE_1)
	v_add_co_ci_u32_e32 v45, vcc_lo, s23, v43, vcc_lo
	global_load_u16 v51, v[46:47], off
	global_load_u16 v50, v[42:43], off
	s_addc_u32 s13, s13, 0
	v_cmp_lt_i64_e64 s17, s[12:13], s[4:5]
	s_waitcnt vmcnt(47)
	v_lshlrev_b32_e32 v42, 16, v52
	s_waitcnt vmcnt(46)
	v_lshlrev_b32_e32 v43, 16, v53
	global_load_u16 v52, v[44:45], off
	v_mul_f32_e32 v42, v42, v43
	ds_bpermute_b32 v43, v3, v41
	s_waitcnt lgkmcnt(0)
	v_fmac_f32_e32 v26, v42, v43
	v_add_co_u32 v42, vcc_lo, v46, s22
	v_add_co_ci_u32_e32 v43, vcc_lo, s23, v47, vcc_lo
	v_add_co_u32 v46, vcc_lo, v44, s22
	v_add_co_ci_u32_e32 v47, vcc_lo, s23, v45, vcc_lo
	s_waitcnt vmcnt(45)
	v_lshlrev_b32_e32 v45, 16, v55
	global_load_u16 v53, v[42:43], off
	s_waitcnt vmcnt(4)
	v_lshlrev_b32_e32 v49, 16, v49
	v_lshlrev_b32_e32 v44, 16, v54
	global_load_u16 v54, v[46:47], off
	v_mul_f32_e32 v44, v44, v45
	ds_bpermute_b32 v45, v8, v41
	s_waitcnt vmcnt(4) lgkmcnt(0)
	v_dual_fmac_f32 v26, v44, v45 :: v_dual_lshlrev_b32 v51, 16, v51
	v_add_co_u32 v44, vcc_lo, v42, s22
	v_add_co_ci_u32_e32 v45, vcc_lo, s23, v43, vcc_lo
	v_add_co_u32 v42, vcc_lo, v46, s22
	v_add_co_ci_u32_e32 v43, vcc_lo, s23, v47, vcc_lo
	v_lshlrev_b32_e32 v46, 16, v56
	v_lshlrev_b32_e32 v47, 16, v57
	global_load_u16 v55, v[44:45], off
	global_load_u16 v56, v[42:43], off
	v_mul_f32_e32 v46, v46, v47
	ds_bpermute_b32 v47, v9, v41
	s_waitcnt lgkmcnt(0)
	v_fmac_f32_e32 v26, v46, v47
	v_add_co_u32 v46, vcc_lo, v44, s22
	v_add_co_ci_u32_e32 v47, vcc_lo, s23, v45, vcc_lo
	v_add_co_u32 v44, vcc_lo, v42, s22
	v_add_co_ci_u32_e32 v45, vcc_lo, s23, v43, vcc_lo
	v_lshlrev_b32_e32 v42, 16, v58
	v_lshlrev_b32_e32 v43, 16, v59
	global_load_u16 v57, v[46:47], off
	global_load_u16 v58, v[44:45], off
	v_mul_f32_e32 v42, v42, v43
	ds_bpermute_b32 v43, v10, v41
	s_waitcnt lgkmcnt(0)
	v_fmac_f32_e32 v26, v42, v43
	v_add_co_u32 v42, vcc_lo, v46, s22
	v_add_co_ci_u32_e32 v43, vcc_lo, s23, v47, vcc_lo
	v_add_co_u32 v46, vcc_lo, v44, s22
	v_add_co_ci_u32_e32 v47, vcc_lo, s23, v45, vcc_lo
	v_lshlrev_b32_e32 v44, 16, v60
	v_lshlrev_b32_e32 v45, 16, v61
	global_load_u16 v59, v[42:43], off
	global_load_u16 v60, v[46:47], off
	v_mul_f32_e32 v44, v44, v45
	ds_bpermute_b32 v45, v11, v41
	s_waitcnt lgkmcnt(0)
	v_fmac_f32_e32 v26, v44, v45
	v_add_co_u32 v44, vcc_lo, v42, s22
	v_add_co_ci_u32_e32 v45, vcc_lo, s23, v43, vcc_lo
	v_add_co_u32 v42, vcc_lo, v46, s22
	v_add_co_ci_u32_e32 v43, vcc_lo, s23, v47, vcc_lo
	v_lshlrev_b32_e32 v46, 16, v62
	v_lshlrev_b32_e32 v47, 16, v63
	global_load_u16 v61, v[44:45], off
	global_load_u16 v62, v[42:43], off
	v_mul_f32_e32 v46, v46, v47
	ds_bpermute_b32 v47, v12, v41
	s_waitcnt lgkmcnt(0)
	v_fmac_f32_e32 v26, v46, v47
	v_add_co_u32 v46, vcc_lo, v44, s22
	v_add_co_ci_u32_e32 v47, vcc_lo, s23, v45, vcc_lo
	v_add_co_u32 v44, vcc_lo, v42, s22
	v_add_co_ci_u32_e32 v45, vcc_lo, s23, v43, vcc_lo
	v_lshlrev_b32_e32 v42, 16, v64
	v_lshlrev_b32_e32 v43, 16, v65
	global_load_u16 v63, v[46:47], off
	v_lshlrev_b32_e32 v65, 16, v69
	v_dual_mul_f32 v42, v42, v43 :: v_dual_lshlrev_b32 v69, 16, v72
	ds_bpermute_b32 v43, v13, v41
	s_waitcnt lgkmcnt(0)
	v_fmac_f32_e32 v26, v42, v43
	v_add_co_u32 v42, vcc_lo, v46, s22
	v_add_co_ci_u32_e32 v43, vcc_lo, s23, v47, vcc_lo
	s_delay_alu instid0(VALU_DEP_2) | instskip(NEXT) | instid1(VALU_DEP_2)
	v_add_co_u32 v46, vcc_lo, v42, s22
	v_add_co_ci_u32_e32 v47, vcc_lo, s23, v43, vcc_lo
	global_load_u16 v64, v[42:43], off
	v_add_co_u32 v42, vcc_lo, v44, s22
	v_add_co_ci_u32_e32 v43, vcc_lo, s23, v45, vcc_lo
	global_load_u16 v44, v[44:45], off
	global_load_u16 v45, v[46:47], off
	;; [unrolled: 1-line block ×3, first 2 shown]
	ds_bpermute_b32 v43, v14, v41
	v_lshlrev_b32_e32 v46, 16, v66
	v_lshlrev_b32_e32 v47, 16, v67
	ds_bpermute_b32 v66, v17, v41
	v_lshlrev_b32_e32 v67, 16, v70
	v_add_co_u32 v2, vcc_lo, v2, s18
	v_mul_f32_e32 v46, v46, v47
	ds_bpermute_b32 v47, v15, v41
	v_add_co_ci_u32_e32 v40, vcc_lo, s19, v40, vcc_lo
	v_add_co_u32 v6, vcc_lo, v6, s20
	v_add_co_ci_u32_e32 v7, vcc_lo, s21, v7, vcc_lo
	v_add_co_u32 v4, vcc_lo, v4, s16
	v_add_co_ci_u32_e32 v5, vcc_lo, 0, v5, vcc_lo
	s_and_b32 vcc_lo, exec_lo, s17
	s_waitcnt lgkmcnt(2)
	v_fmac_f32_e32 v26, v46, v43
	ds_bpermute_b32 v43, v16, v41
	v_lshlrev_b32_e32 v46, 16, v68
	ds_bpermute_b32 v68, v18, v41
	v_dual_mul_f32 v46, v46, v65 :: v_dual_lshlrev_b32 v65, 16, v71
	s_waitcnt lgkmcnt(2)
	s_delay_alu instid0(VALU_DEP_1) | instskip(NEXT) | instid1(VALU_DEP_2)
	v_fmac_f32_e32 v26, v46, v47
	v_mul_f32_e32 v46, v67, v65
	v_lshlrev_b32_e32 v47, 16, v73
	ds_bpermute_b32 v65, v19, v41
	s_waitcnt lgkmcnt(2)
	v_dual_fmac_f32 v26, v46, v43 :: v_dual_lshlrev_b32 v67, 16, v74
	v_mul_f32_e32 v43, v69, v47
	v_lshlrev_b32_e32 v46, 16, v75
	ds_bpermute_b32 v47, v20, v41
	v_dual_fmac_f32 v26, v43, v66 :: v_dual_lshlrev_b32 v69, 16, v76
	v_dual_mul_f32 v43, v67, v46 :: v_dual_lshlrev_b32 v46, 16, v77
	ds_bpermute_b32 v66, v21, v41
	s_waitcnt lgkmcnt(3)
	v_dual_fmac_f32 v26, v43, v68 :: v_dual_lshlrev_b32 v67, 16, v78
	v_dual_mul_f32 v43, v69, v46 :: v_dual_lshlrev_b32 v46, 16, v79
	ds_bpermute_b32 v68, v22, v41
	s_waitcnt lgkmcnt(3)
	;; [unrolled: 4-line block ×10, first 2 shown]
	v_fmac_f32_e32 v26, v43, v65
	v_dual_mul_f32 v43, v67, v46 :: v_dual_lshlrev_b32 v46, 16, v48
	ds_bpermute_b32 v48, v32, v41
	s_waitcnt lgkmcnt(3)
	v_dual_fmac_f32 v26, v43, v47 :: v_dual_mul_f32 v43, v46, v49
	s_waitcnt vmcnt(16)
	v_lshlrev_b32_e32 v46, 16, v50
	ds_bpermute_b32 v47, v33, v41
	s_waitcnt vmcnt(14)
	v_lshlrev_b32_e32 v49, 16, v53
	ds_bpermute_b32 v50, v34, v41
	s_waitcnt lgkmcnt(4)
	v_dual_fmac_f32 v26, v43, v66 :: v_dual_mul_f32 v43, v46, v51
	v_lshlrev_b32_e32 v46, 16, v52
	s_waitcnt lgkmcnt(3)
	s_delay_alu instid0(VALU_DEP_1)
	v_dual_fmac_f32 v26, v43, v68 :: v_dual_mul_f32 v43, v46, v49
	s_waitcnt vmcnt(13)
	v_lshlrev_b32_e32 v46, 16, v54
	ds_bpermute_b32 v49, v35, v41
	s_waitcnt lgkmcnt(3)
	v_fmac_f32_e32 v26, v43, v48
	ds_bpermute_b32 v48, v36, v41
	s_waitcnt vmcnt(12)
	v_lshlrev_b32_e32 v51, 16, v55
	s_waitcnt vmcnt(11)
	s_delay_alu instid0(VALU_DEP_1)
	v_dual_mul_f32 v43, v46, v51 :: v_dual_lshlrev_b32 v46, 16, v56
	s_waitcnt vmcnt(10)
	v_lshlrev_b32_e32 v52, 16, v57
	s_waitcnt vmcnt(8)
	v_lshlrev_b32_e32 v51, 16, v59
	s_waitcnt lgkmcnt(3)
	s_delay_alu instid0(VALU_DEP_2)
	v_dual_fmac_f32 v26, v43, v47 :: v_dual_mul_f32 v43, v46, v52
	v_lshlrev_b32_e32 v46, 16, v58
	ds_bpermute_b32 v47, v37, v41
	s_waitcnt lgkmcnt(3)
	v_dual_fmac_f32 v26, v43, v50 :: v_dual_mul_f32 v43, v46, v51
	s_waitcnt vmcnt(7)
	v_lshlrev_b32_e32 v46, 16, v60
	ds_bpermute_b32 v50, v38, v41
	ds_bpermute_b32 v41, v39, v41
	s_waitcnt vmcnt(6)
	v_lshlrev_b32_e32 v52, 16, v61
	s_waitcnt vmcnt(4) lgkmcnt(4)
	v_dual_fmac_f32 v26, v43, v49 :: v_dual_lshlrev_b32 v51, 16, v63
	s_delay_alu instid0(VALU_DEP_2) | instskip(SKIP_1) | instid1(VALU_DEP_1)
	v_dual_mul_f32 v43, v46, v52 :: v_dual_lshlrev_b32 v46, 16, v62
	s_waitcnt lgkmcnt(3)
	v_dual_fmac_f32 v26, v43, v48 :: v_dual_mul_f32 v43, v46, v51
	s_waitcnt vmcnt(3) lgkmcnt(2)
	s_delay_alu instid0(VALU_DEP_1) | instskip(SKIP_3) | instid1(VALU_DEP_1)
	v_dual_fmac_f32 v26, v43, v47 :: v_dual_lshlrev_b32 v49, 16, v64
	s_waitcnt vmcnt(2)
	v_lshlrev_b32_e32 v44, 16, v44
	s_waitcnt vmcnt(0)
	v_dual_mul_f32 v43, v44, v49 :: v_dual_lshlrev_b32 v42, 16, v42
	s_waitcnt lgkmcnt(1)
	s_delay_alu instid0(VALU_DEP_1) | instskip(NEXT) | instid1(VALU_DEP_1)
	v_dual_fmac_f32 v26, v43, v50 :: v_dual_lshlrev_b32 v45, 16, v45
	v_mul_f32_e32 v42, v42, v45
	s_waitcnt lgkmcnt(0)
	s_delay_alu instid0(VALU_DEP_1)
	v_fmac_f32_e32 v26, v42, v41
	s_cbranch_vccz .LBB188_5
.LBB188_3:                              ; =>This Inner Loop Header: Depth=1
	v_mov_b32_e32 v41, 0
	s_mov_b32 s17, exec_lo
	v_cmpx_gt_i64_e64 s[4:5], v[4:5]
	s_cbranch_execz .LBB188_2
; %bb.4:                                ;   in Loop: Header=BB188_3 Depth=1
	global_load_b32 v41, v[6:7], off
	s_branch .LBB188_2
.LBB188_5:
	s_cmp_eq_u64 s[2:3], 0
	s_cbranch_scc1 .LBB188_7
; %bb.6:
	s_load_b32 s0, s[0:1], 0x4c
	v_mov_b32_e32 v2, 0
	s_waitcnt lgkmcnt(0)
	s_lshr_b32 s0, s0, 16
	s_delay_alu instid0(VALU_DEP_1) | instid1(SALU_CYCLE_1)
	v_mad_u64_u32 v[3:4], null, s0, s15, v[1:2]
	s_mov_b32 s15, 0
	s_delay_alu instid0(SALU_CYCLE_1) | instskip(NEXT) | instid1(SALU_CYCLE_1)
	s_lshl_b64 s[0:1], s[14:15], 7
	s_add_u32 s0, s0, s2
	s_addc_u32 s1, s1, s3
	s_delay_alu instid0(VALU_DEP_1) | instskip(NEXT) | instid1(VALU_DEP_2)
	v_mul_lo_u32 v4, v4, s6
	v_mul_lo_u32 v5, v3, s7
	v_mad_u64_u32 v[1:2], null, v3, s6, 0
	v_bfe_u32 v3, v26, 16, 1
	s_delay_alu instid0(VALU_DEP_1) | instskip(NEXT) | instid1(VALU_DEP_3)
	v_add3_u32 v3, v26, v3, 0x7fff
	v_add3_u32 v2, v2, v5, v4
	v_lshlrev_b32_e32 v4, 1, v0
	s_delay_alu instid0(VALU_DEP_2) | instskip(NEXT) | instid1(VALU_DEP_4)
	v_lshlrev_b64 v[0:1], 1, v[1:2]
	v_lshrrev_b32_e32 v2, 16, v3
	s_delay_alu instid0(VALU_DEP_2) | instskip(NEXT) | instid1(VALU_DEP_3)
	v_add_co_u32 v0, vcc_lo, s0, v0
	v_add_co_ci_u32_e32 v1, vcc_lo, s1, v1, vcc_lo
	v_cmp_o_f32_e32 vcc_lo, v26, v26
	s_delay_alu instid0(VALU_DEP_4) | instskip(NEXT) | instid1(VALU_DEP_4)
	v_cndmask_b32_e32 v2, 0x7fc0, v2, vcc_lo
	v_add_co_u32 v0, vcc_lo, v0, v4
	s_delay_alu instid0(VALU_DEP_4)
	v_add_co_ci_u32_e32 v1, vcc_lo, 0, v1, vcc_lo
	global_store_b16 v[0:1], v2, off
.LBB188_7:
	s_nop 0
	s_sendmsg sendmsg(MSG_DEALLOC_VGPRS)
	s_endpgm
	.section	.rodata,"a",@progbits
	.p2align	6, 0x0
	.amdhsa_kernel _ZN2at6native12_GLOBAL__N_135GammaBetaBackwardCUDAKernelTemplateIN3c108BFloat16EfLj64ELj1ELj32ELb1ELb1ELb1EEEvllPKT_S7_PKT0_SA_PS5_SB_
		.amdhsa_group_segment_fixed_size 0
		.amdhsa_private_segment_fixed_size 0
		.amdhsa_kernarg_size 320
		.amdhsa_user_sgpr_count 14
		.amdhsa_user_sgpr_dispatch_ptr 0
		.amdhsa_user_sgpr_queue_ptr 0
		.amdhsa_user_sgpr_kernarg_segment_ptr 1
		.amdhsa_user_sgpr_dispatch_id 0
		.amdhsa_user_sgpr_private_segment_size 0
		.amdhsa_wavefront_size32 1
		.amdhsa_uses_dynamic_stack 0
		.amdhsa_enable_private_segment 0
		.amdhsa_system_sgpr_workgroup_id_x 1
		.amdhsa_system_sgpr_workgroup_id_y 1
		.amdhsa_system_sgpr_workgroup_id_z 0
		.amdhsa_system_sgpr_workgroup_info 0
		.amdhsa_system_vgpr_workitem_id 1
		.amdhsa_next_free_vgpr 96
		.amdhsa_next_free_sgpr 24
		.amdhsa_reserve_vcc 1
		.amdhsa_float_round_mode_32 0
		.amdhsa_float_round_mode_16_64 0
		.amdhsa_float_denorm_mode_32 3
		.amdhsa_float_denorm_mode_16_64 3
		.amdhsa_dx10_clamp 1
		.amdhsa_ieee_mode 1
		.amdhsa_fp16_overflow 0
		.amdhsa_workgroup_processor_mode 1
		.amdhsa_memory_ordered 1
		.amdhsa_forward_progress 0
		.amdhsa_shared_vgpr_count 0
		.amdhsa_exception_fp_ieee_invalid_op 0
		.amdhsa_exception_fp_denorm_src 0
		.amdhsa_exception_fp_ieee_div_zero 0
		.amdhsa_exception_fp_ieee_overflow 0
		.amdhsa_exception_fp_ieee_underflow 0
		.amdhsa_exception_fp_ieee_inexact 0
		.amdhsa_exception_int_div_zero 0
	.end_amdhsa_kernel
	.section	.text._ZN2at6native12_GLOBAL__N_135GammaBetaBackwardCUDAKernelTemplateIN3c108BFloat16EfLj64ELj1ELj32ELb1ELb1ELb1EEEvllPKT_S7_PKT0_SA_PS5_SB_,"axG",@progbits,_ZN2at6native12_GLOBAL__N_135GammaBetaBackwardCUDAKernelTemplateIN3c108BFloat16EfLj64ELj1ELj32ELb1ELb1ELb1EEEvllPKT_S7_PKT0_SA_PS5_SB_,comdat
.Lfunc_end188:
	.size	_ZN2at6native12_GLOBAL__N_135GammaBetaBackwardCUDAKernelTemplateIN3c108BFloat16EfLj64ELj1ELj32ELb1ELb1ELb1EEEvllPKT_S7_PKT0_SA_PS5_SB_, .Lfunc_end188-_ZN2at6native12_GLOBAL__N_135GammaBetaBackwardCUDAKernelTemplateIN3c108BFloat16EfLj64ELj1ELj32ELb1ELb1ELb1EEEvllPKT_S7_PKT0_SA_PS5_SB_
                                        ; -- End function
	.section	.AMDGPU.csdata,"",@progbits
; Kernel info:
; codeLenInByte = 3124
; NumSgprs: 26
; NumVgprs: 96
; ScratchSize: 0
; MemoryBound: 0
; FloatMode: 240
; IeeeMode: 1
; LDSByteSize: 0 bytes/workgroup (compile time only)
; SGPRBlocks: 3
; VGPRBlocks: 11
; NumSGPRsForWavesPerEU: 26
; NumVGPRsForWavesPerEU: 96
; Occupancy: 16
; WaveLimiterHint : 0
; COMPUTE_PGM_RSRC2:SCRATCH_EN: 0
; COMPUTE_PGM_RSRC2:USER_SGPR: 14
; COMPUTE_PGM_RSRC2:TRAP_HANDLER: 0
; COMPUTE_PGM_RSRC2:TGID_X_EN: 1
; COMPUTE_PGM_RSRC2:TGID_Y_EN: 1
; COMPUTE_PGM_RSRC2:TGID_Z_EN: 0
; COMPUTE_PGM_RSRC2:TIDIG_COMP_CNT: 1
	.section	.text._ZN2at6native12_GLOBAL__N_135GammaBetaBackwardCUDAKernelTemplateIN3c108BFloat16EfLj64ELj1ELj32ELb1ELb0ELb1EEEvllPKT_S7_PKT0_SA_PS5_SB_,"axG",@progbits,_ZN2at6native12_GLOBAL__N_135GammaBetaBackwardCUDAKernelTemplateIN3c108BFloat16EfLj64ELj1ELj32ELb1ELb0ELb1EEEvllPKT_S7_PKT0_SA_PS5_SB_,comdat
	.globl	_ZN2at6native12_GLOBAL__N_135GammaBetaBackwardCUDAKernelTemplateIN3c108BFloat16EfLj64ELj1ELj32ELb1ELb0ELb1EEEvllPKT_S7_PKT0_SA_PS5_SB_ ; -- Begin function _ZN2at6native12_GLOBAL__N_135GammaBetaBackwardCUDAKernelTemplateIN3c108BFloat16EfLj64ELj1ELj32ELb1ELb0ELb1EEEvllPKT_S7_PKT0_SA_PS5_SB_
	.p2align	8
	.type	_ZN2at6native12_GLOBAL__N_135GammaBetaBackwardCUDAKernelTemplateIN3c108BFloat16EfLj64ELj1ELj32ELb1ELb0ELb1EEEvllPKT_S7_PKT0_SA_PS5_SB_,@function
_ZN2at6native12_GLOBAL__N_135GammaBetaBackwardCUDAKernelTemplateIN3c108BFloat16EfLj64ELj1ELj32ELb1ELb0ELb1EEEvllPKT_S7_PKT0_SA_PS5_SB_: ; @_ZN2at6native12_GLOBAL__N_135GammaBetaBackwardCUDAKernelTemplateIN3c108BFloat16EfLj64ELj1ELj32ELb1ELb0ELb1EEEvllPKT_S7_PKT0_SA_PS5_SB_
; %bb.0:
	s_clause 0x1
	s_load_b256 s[16:23], s[0:1], 0x0
	s_load_b64 s[6:7], s[0:1], 0x28
	s_mov_b32 s2, s15
	s_lshl_b32 s15, s14, 6
	s_mov_b32 s9, 0
	s_or_b32 s8, s15, 63
	v_mov_b32_e32 v207, v0
	s_waitcnt lgkmcnt(0)
	v_cmp_ge_i64_e64 s3, s[8:9], s[18:19]
	s_lshl_b32 s8, s2, 5
	s_delay_alu instid0(SALU_CYCLE_1) | instskip(NEXT) | instid1(VALU_DEP_2)
	v_cmp_lt_i64_e64 s26, s[8:9], s[16:17]
	s_and_b32 vcc_lo, exec_lo, s3
	s_delay_alu instid0(VALU_DEP_1) | instskip(NEXT) | instid1(VALU_DEP_1)
	v_cndmask_b32_e64 v0, 0, 1, s26
	v_cmp_ne_u32_e64 s3, 1, v0
	s_cbranch_vccz .LBB189_141
; %bb.1:
	v_mov_b32_e32 v144, 0
	s_delay_alu instid0(VALU_DEP_2)
	s_and_b32 vcc_lo, exec_lo, s3
	s_cbranch_vccnz .LBB189_142
; %bb.2:
	v_bfe_u32 v9, v207, 10, 10
	s_load_b32 s4, s[0:1], 0x44
	v_dual_mov_b32 v2, 0 :: v_dual_and_b32 v11, 0x3ff, v207
	s_add_u32 s10, s0, 64
	s_delay_alu instid0(VALU_DEP_2) | instskip(NEXT) | instid1(VALU_DEP_2)
	v_dual_mov_b32 v139, 0 :: v_dual_lshlrev_b32 v10, 5, v9
	v_dual_mov_b32 v12, v2 :: v_dual_add_nc_u32 v1, s15, v11
	s_addc_u32 s11, s1, 0
	s_delay_alu instid0(VALU_DEP_2) | instskip(NEXT) | instid1(VALU_DEP_1)
	v_add_co_u32 v5, s3, v10, s8
	v_add_co_ci_u32_e64 v6, null, 0, 0, s3
	s_delay_alu instid0(VALU_DEP_3) | instskip(NEXT) | instid1(VALU_DEP_3)
	v_cmp_gt_i64_e64 s3, s[18:19], v[1:2]
	v_add_co_u32 v0, vcc_lo, v5, 31
	s_delay_alu instid0(VALU_DEP_3) | instskip(SKIP_1) | instid1(VALU_DEP_3)
	v_add_co_ci_u32_e32 v3, vcc_lo, 0, v6, vcc_lo
	v_mul_lo_u32 v130, s19, v5
	v_mul_lo_u32 v4, s19, v0
	v_mad_u64_u32 v[7:8], null, s18, v0, 0
	s_delay_alu instid0(VALU_DEP_4) | instskip(SKIP_4) | instid1(VALU_DEP_2)
	v_mul_lo_u32 v3, s18, v3
	v_add_co_u32 v0, vcc_lo, v5, 30
	v_add_co_ci_u32_e32 v13, vcc_lo, 0, v6, vcc_lo
	s_waitcnt lgkmcnt(0)
	s_lshl_b32 s27, s4, 5
	v_mul_lo_u32 v14, s19, v0
	v_mad_u64_u32 v[16:17], null, s18, v0, 0
	v_add3_u32 v8, v8, v3, v4
	v_mul_lo_u32 v15, s18, v13
	v_lshlrev_b64 v[3:4], 1, v[1:2]
	s_mul_i32 s4, s19, s27
	s_mul_hi_u32 s5, s18, s27
	v_lshlrev_b64 v[7:8], 1, v[7:8]
	s_add_i32 s13, s5, s4
	v_mad_u64_u32 v[133:134], null, s18, v5, 0
	s_delay_alu instid0(VALU_DEP_4) | instskip(SKIP_1) | instid1(VALU_DEP_3)
	v_add3_u32 v17, v17, v15, v14
	s_mul_i32 s12, s18, s27
	v_add_co_u32 v1, vcc_lo, s20, v7
	v_add_co_ci_u32_e32 v13, vcc_lo, s21, v8, vcc_lo
	v_add_co_u32 v0, vcc_lo, v5, 29
	v_add_co_u32 v14, s4, s22, v7
	s_delay_alu instid0(VALU_DEP_1)
	v_add_co_ci_u32_e64 v15, s4, s23, v8, s4
	v_lshlrev_b64 v[7:8], 1, v[16:17]
	v_add_co_ci_u32_e32 v16, vcc_lo, 0, v6, vcc_lo
	v_add_co_u32 v17, vcc_lo, v5, 28
	v_add_co_ci_u32_e32 v19, vcc_lo, 0, v6, vcc_lo
	v_mul_lo_u32 v18, s19, v0
	s_delay_alu instid0(VALU_DEP_4)
	v_mul_lo_u32 v24, s18, v16
	v_mad_u64_u32 v[20:21], null, s18, v0, 0
	v_mul_lo_u32 v0, s19, v17
	v_mul_lo_u32 v25, s18, v19
	v_mad_u64_u32 v[22:23], null, s18, v17, 0
	v_add_co_u32 v16, vcc_lo, s20, v7
	v_add_co_ci_u32_e32 v17, vcc_lo, s21, v8, vcc_lo
	v_add3_u32 v21, v21, v24, v18
	v_add_co_u32 v18, vcc_lo, s22, v7
	v_add_co_ci_u32_e32 v19, vcc_lo, s23, v8, vcc_lo
	v_add3_u32 v23, v23, v25, v0
	v_add_co_u32 v0, vcc_lo, v5, 27
	v_add_co_ci_u32_e32 v24, vcc_lo, 0, v6, vcc_lo
	v_lshlrev_b64 v[7:8], 1, v[20:21]
	s_delay_alu instid0(VALU_DEP_3) | instskip(SKIP_1) | instid1(VALU_DEP_4)
	v_mul_lo_u32 v30, s19, v0
	v_mad_u64_u32 v[28:29], null, s18, v0, 0
	v_mul_lo_u32 v31, s18, v24
	v_lshlrev_b64 v[26:27], 1, v[22:23]
	v_add_co_u32 v20, vcc_lo, s20, v7
	v_add_co_ci_u32_e32 v21, vcc_lo, s21, v8, vcc_lo
	v_add_co_u32 v22, vcc_lo, s22, v7
	v_add_co_ci_u32_e32 v23, vcc_lo, s23, v8, vcc_lo
	v_add_co_u32 v24, vcc_lo, s20, v26
	v_add3_u32 v29, v29, v31, v30
	v_add_co_ci_u32_e32 v25, vcc_lo, s21, v27, vcc_lo
	v_add_co_u32 v0, vcc_lo, v5, 26
	s_delay_alu instid0(VALU_DEP_3) | instskip(SKIP_4) | instid1(VALU_DEP_4)
	v_lshlrev_b64 v[7:8], 1, v[28:29]
	v_add_co_ci_u32_e32 v28, vcc_lo, 0, v6, vcc_lo
	v_add_co_u32 v29, vcc_lo, v5, 25
	v_add_co_ci_u32_e32 v31, vcc_lo, 0, v6, vcc_lo
	v_mul_lo_u32 v30, s19, v0
	v_mul_lo_u32 v36, s18, v28
	v_mad_u64_u32 v[32:33], null, s18, v0, 0
	v_mul_lo_u32 v0, s19, v29
	v_mul_lo_u32 v37, s18, v31
	v_mad_u64_u32 v[34:35], null, s18, v29, 0
	v_add_co_u32 v28, vcc_lo, s20, v7
	v_add_co_ci_u32_e32 v29, vcc_lo, s21, v8, vcc_lo
	v_add3_u32 v33, v33, v36, v30
	v_add_co_u32 v30, vcc_lo, s22, v7
	v_add_co_ci_u32_e32 v31, vcc_lo, s23, v8, vcc_lo
	v_add3_u32 v35, v35, v37, v0
	v_add_co_u32 v0, vcc_lo, v5, 24
	v_add_co_ci_u32_e32 v36, vcc_lo, 0, v6, vcc_lo
	v_lshlrev_b64 v[7:8], 1, v[32:33]
	s_delay_alu instid0(VALU_DEP_3) | instskip(SKIP_1) | instid1(VALU_DEP_4)
	v_mul_lo_u32 v42, s19, v0
	v_mad_u64_u32 v[40:41], null, s18, v0, 0
	v_mul_lo_u32 v43, s18, v36
	v_lshlrev_b64 v[38:39], 1, v[34:35]
	v_add_co_u32 v32, vcc_lo, s20, v7
	v_add_co_ci_u32_e32 v33, vcc_lo, s21, v8, vcc_lo
	v_add_co_u32 v34, vcc_lo, s22, v7
	v_add_co_ci_u32_e32 v35, vcc_lo, s23, v8, vcc_lo
	v_add_co_u32 v36, vcc_lo, s20, v38
	v_add3_u32 v41, v41, v43, v42
	v_add_co_ci_u32_e32 v37, vcc_lo, s21, v39, vcc_lo
	v_add_co_u32 v0, vcc_lo, v5, 23
	s_delay_alu instid0(VALU_DEP_3) | instskip(SKIP_4) | instid1(VALU_DEP_4)
	v_lshlrev_b64 v[7:8], 1, v[40:41]
	v_add_co_ci_u32_e32 v40, vcc_lo, 0, v6, vcc_lo
	v_add_co_u32 v41, vcc_lo, v5, 22
	v_add_co_ci_u32_e32 v43, vcc_lo, 0, v6, vcc_lo
	v_mul_lo_u32 v42, s19, v0
	;; [unrolled: 33-line block ×3, first 2 shown]
	v_mul_lo_u32 v60, s18, v52
	v_mad_u64_u32 v[56:57], null, s18, v0, 0
	v_mul_lo_u32 v0, s19, v53
	v_mul_lo_u32 v61, s18, v55
	v_mad_u64_u32 v[58:59], null, s18, v53, 0
	v_add_co_u32 v52, vcc_lo, s20, v7
	v_add_co_ci_u32_e32 v53, vcc_lo, s21, v8, vcc_lo
	v_add3_u32 v57, v57, v60, v54
	v_add_co_u32 v54, vcc_lo, s22, v7
	v_add_co_ci_u32_e32 v55, vcc_lo, s23, v8, vcc_lo
	v_add3_u32 v59, v59, v61, v0
	v_add_co_u32 v0, vcc_lo, v5, 18
	v_add_co_ci_u32_e32 v60, vcc_lo, 0, v6, vcc_lo
	v_lshlrev_b64 v[7:8], 1, v[56:57]
	s_delay_alu instid0(VALU_DEP_3) | instskip(SKIP_1) | instid1(VALU_DEP_4)
	v_mul_lo_u32 v66, s19, v0
	v_mad_u64_u32 v[64:65], null, s18, v0, 0
	v_mul_lo_u32 v67, s18, v60
	v_lshlrev_b64 v[62:63], 1, v[58:59]
	v_add_co_u32 v56, vcc_lo, s20, v7
	v_add_co_ci_u32_e32 v57, vcc_lo, s21, v8, vcc_lo
	v_add_co_u32 v58, vcc_lo, s22, v7
	v_add_co_ci_u32_e32 v59, vcc_lo, s23, v8, vcc_lo
	v_add_co_u32 v60, vcc_lo, s20, v62
	v_add3_u32 v65, v65, v67, v66
	v_add_co_ci_u32_e32 v61, vcc_lo, s21, v63, vcc_lo
	v_add_co_u32 v0, vcc_lo, v5, 17
	s_delay_alu instid0(VALU_DEP_3) | instskip(SKIP_1) | instid1(VALU_DEP_3)
	v_lshlrev_b64 v[7:8], 1, v[64:65]
	v_add_co_ci_u32_e32 v64, vcc_lo, 0, v6, vcc_lo
	v_mul_lo_u32 v66, s19, v0
	v_mad_u64_u32 v[68:69], null, s18, v0, 0
	s_delay_alu instid0(VALU_DEP_3) | instskip(SKIP_3) | instid1(VALU_DEP_3)
	v_mul_lo_u32 v72, s18, v64
	v_add_co_u32 v65, vcc_lo, v5, 16
	v_add_co_ci_u32_e32 v67, vcc_lo, 0, v6, vcc_lo
	v_add_co_u32 v64, vcc_lo, s20, v7
	v_mul_lo_u32 v0, s19, v65
	v_add3_u32 v69, v69, v72, v66
	s_delay_alu instid0(VALU_DEP_4)
	v_mul_lo_u32 v73, s18, v67
	v_mad_u64_u32 v[70:71], null, s18, v65, 0
	v_add_co_ci_u32_e32 v65, vcc_lo, s21, v8, vcc_lo
	v_add_co_u32 v66, vcc_lo, s22, v7
	v_add_co_ci_u32_e32 v67, vcc_lo, s23, v8, vcc_lo
	v_lshlrev_b64 v[7:8], 1, v[68:69]
	v_add_co_u32 v69, vcc_lo, v5, 15
	v_add_co_ci_u32_e32 v72, vcc_lo, 0, v6, vcc_lo
	v_add3_u32 v71, v71, v73, v0
	s_delay_alu instid0(VALU_DEP_3) | instskip(SKIP_1) | instid1(VALU_DEP_4)
	v_mul_lo_u32 v77, s19, v69
	v_mad_u64_u32 v[75:76], null, s18, v69, 0
	v_mul_lo_u32 v78, s18, v72
	v_add_co_u32 v0, vcc_lo, s20, v7
	v_lshlrev_b64 v[73:74], 1, v[70:71]
	v_add_co_ci_u32_e32 v68, vcc_lo, s21, v8, vcc_lo
	v_add_co_u32 v69, vcc_lo, s22, v7
	v_add_co_ci_u32_e32 v70, vcc_lo, s23, v8, vcc_lo
	s_delay_alu instid0(VALU_DEP_4) | instskip(SKIP_3) | instid1(VALU_DEP_3)
	v_add_co_u32 v71, vcc_lo, s20, v73
	v_add3_u32 v76, v76, v78, v77
	v_add_co_ci_u32_e32 v72, vcc_lo, s21, v74, vcc_lo
	v_add_co_u32 v77, vcc_lo, v5, 14
	v_lshlrev_b64 v[7:8], 1, v[75:76]
	v_add_co_ci_u32_e32 v75, vcc_lo, 0, v6, vcc_lo
	v_add_co_u32 v76, vcc_lo, v5, 13
	v_add_co_ci_u32_e32 v81, vcc_lo, 0, v6, vcc_lo
	v_mul_lo_u32 v78, s19, v77
	s_delay_alu instid0(VALU_DEP_4)
	v_mul_lo_u32 v83, s18, v75
	v_mad_u64_u32 v[79:80], null, s18, v77, 0
	v_mul_lo_u32 v84, s19, v76
	v_mul_lo_u32 v85, s18, v81
	v_mad_u64_u32 v[81:82], null, s18, v76, 0
	v_add_co_u32 v75, vcc_lo, s20, v7
	v_add_co_ci_u32_e32 v76, vcc_lo, s21, v8, vcc_lo
	v_add_co_u32 v77, vcc_lo, s22, v7
	v_add3_u32 v80, v80, v83, v78
	v_add_co_ci_u32_e32 v78, vcc_lo, s23, v8, vcc_lo
	v_add_co_u32 v83, vcc_lo, v5, 12
	v_add3_u32 v82, v82, v85, v84
	v_add_co_ci_u32_e32 v84, vcc_lo, 0, v6, vcc_lo
	v_lshlrev_b64 v[7:8], 1, v[79:80]
	s_delay_alu instid0(VALU_DEP_4) | instskip(SKIP_1) | instid1(VALU_DEP_4)
	v_mul_lo_u32 v89, s19, v83
	v_mad_u64_u32 v[87:88], null, s18, v83, 0
	v_mul_lo_u32 v90, s18, v84
	v_lshlrev_b64 v[85:86], 1, v[81:82]
	v_add_co_u32 v79, vcc_lo, s20, v7
	v_add_co_ci_u32_e32 v80, vcc_lo, s21, v8, vcc_lo
	v_add_co_u32 v81, vcc_lo, s22, v7
	v_add_co_ci_u32_e32 v82, vcc_lo, s23, v8, vcc_lo
	v_add_co_u32 v83, vcc_lo, s20, v85
	v_add3_u32 v88, v88, v90, v89
	v_add_co_ci_u32_e32 v84, vcc_lo, s21, v86, vcc_lo
	v_add_co_u32 v89, vcc_lo, v5, 11
	s_delay_alu instid0(VALU_DEP_3) | instskip(SKIP_4) | instid1(VALU_DEP_4)
	v_lshlrev_b64 v[7:8], 1, v[87:88]
	v_add_co_ci_u32_e32 v87, vcc_lo, 0, v6, vcc_lo
	v_add_co_u32 v88, vcc_lo, v5, 10
	v_add_co_ci_u32_e32 v93, vcc_lo, 0, v6, vcc_lo
	v_mul_lo_u32 v90, s19, v89
	v_mul_lo_u32 v95, s18, v87
	v_mad_u64_u32 v[91:92], null, s18, v89, 0
	v_mul_lo_u32 v96, s19, v88
	v_mul_lo_u32 v97, s18, v93
	v_mad_u64_u32 v[93:94], null, s18, v88, 0
	v_add_co_u32 v87, vcc_lo, s20, v7
	v_add_co_ci_u32_e32 v88, vcc_lo, s21, v8, vcc_lo
	v_add_co_u32 v89, vcc_lo, s22, v7
	v_add3_u32 v92, v92, v95, v90
	v_add_co_ci_u32_e32 v90, vcc_lo, s23, v8, vcc_lo
	v_add_co_u32 v95, vcc_lo, v5, 9
	v_add3_u32 v94, v94, v97, v96
	v_add_co_ci_u32_e32 v96, vcc_lo, 0, v6, vcc_lo
	v_lshlrev_b64 v[7:8], 1, v[91:92]
	s_delay_alu instid0(VALU_DEP_4) | instskip(SKIP_1) | instid1(VALU_DEP_4)
	v_mul_lo_u32 v101, s19, v95
	v_mad_u64_u32 v[99:100], null, s18, v95, 0
	v_mul_lo_u32 v102, s18, v96
	v_lshlrev_b64 v[97:98], 1, v[93:94]
	v_add_co_u32 v91, vcc_lo, s20, v7
	v_add_co_ci_u32_e32 v92, vcc_lo, s21, v8, vcc_lo
	v_add_co_u32 v93, vcc_lo, s22, v7
	v_add_co_ci_u32_e32 v94, vcc_lo, s23, v8, vcc_lo
	v_add_co_u32 v95, vcc_lo, s20, v97
	v_add3_u32 v100, v100, v102, v101
	v_add_co_ci_u32_e32 v96, vcc_lo, s21, v98, vcc_lo
	v_add_co_u32 v101, vcc_lo, v5, 8
	s_delay_alu instid0(VALU_DEP_3) | instskip(SKIP_4) | instid1(VALU_DEP_4)
	v_lshlrev_b64 v[7:8], 1, v[99:100]
	v_add_co_ci_u32_e32 v99, vcc_lo, 0, v6, vcc_lo
	v_add_co_u32 v100, vcc_lo, v5, 7
	v_add_co_ci_u32_e32 v105, vcc_lo, 0, v6, vcc_lo
	v_mul_lo_u32 v102, s19, v101
	v_mul_lo_u32 v107, s18, v99
	v_mad_u64_u32 v[103:104], null, s18, v101, 0
	v_mul_lo_u32 v108, s19, v100
	v_mul_lo_u32 v109, s18, v105
	v_mad_u64_u32 v[105:106], null, s18, v100, 0
	v_add_co_u32 v99, vcc_lo, s20, v7
	v_add_co_ci_u32_e32 v100, vcc_lo, s21, v8, vcc_lo
	v_add_co_u32 v101, vcc_lo, s22, v7
	v_add3_u32 v104, v104, v107, v102
	v_add_co_ci_u32_e32 v102, vcc_lo, s23, v8, vcc_lo
	v_add_co_u32 v107, vcc_lo, v5, 6
	v_add3_u32 v106, v106, v109, v108
	v_add_co_ci_u32_e32 v108, vcc_lo, 0, v6, vcc_lo
	v_lshlrev_b64 v[7:8], 1, v[103:104]
	s_delay_alu instid0(VALU_DEP_4) | instskip(SKIP_1) | instid1(VALU_DEP_4)
	v_mul_lo_u32 v113, s19, v107
	v_mad_u64_u32 v[111:112], null, s18, v107, 0
	v_mul_lo_u32 v114, s18, v108
	v_lshlrev_b64 v[109:110], 1, v[105:106]
	v_add_co_u32 v103, vcc_lo, s20, v7
	v_add_co_ci_u32_e32 v104, vcc_lo, s21, v8, vcc_lo
	v_add_co_u32 v105, vcc_lo, s22, v7
	v_add_co_ci_u32_e32 v106, vcc_lo, s23, v8, vcc_lo
	v_add_co_u32 v107, vcc_lo, s20, v109
	v_add3_u32 v112, v112, v114, v113
	v_add_co_ci_u32_e32 v108, vcc_lo, s21, v110, vcc_lo
	v_add_co_u32 v113, vcc_lo, v5, 5
	s_delay_alu instid0(VALU_DEP_3) | instskip(SKIP_2) | instid1(VALU_DEP_4)
	v_lshlrev_b64 v[7:8], 1, v[111:112]
	v_add_co_ci_u32_e32 v111, vcc_lo, 0, v6, vcc_lo
	v_add_co_u32 v112, vcc_lo, v5, 4
	v_mul_lo_u32 v114, s19, v113
	s_delay_alu instid0(VALU_DEP_3) | instskip(SKIP_4) | instid1(VALU_DEP_3)
	v_mul_lo_u32 v119, s18, v111
	v_mad_u64_u32 v[115:116], null, s18, v113, 0
	v_add_co_ci_u32_e32 v117, vcc_lo, 0, v6, vcc_lo
	v_mul_lo_u32 v120, s19, v112
	v_add_co_u32 v111, vcc_lo, s20, v7
	v_mul_lo_u32 v121, s18, v117
	v_mad_u64_u32 v[117:118], null, s18, v112, 0
	v_add3_u32 v116, v116, v119, v114
	v_add_co_ci_u32_e32 v112, vcc_lo, s21, v8, vcc_lo
	v_add_co_u32 v113, vcc_lo, s22, v7
	v_add_co_ci_u32_e32 v114, vcc_lo, s23, v8, vcc_lo
	s_delay_alu instid0(VALU_DEP_4) | instskip(SKIP_3) | instid1(VALU_DEP_4)
	v_lshlrev_b64 v[7:8], 1, v[115:116]
	v_add_co_u32 v119, vcc_lo, v5, 3
	v_add3_u32 v118, v118, v121, v120
	v_add_co_ci_u32_e32 v120, vcc_lo, 0, v6, vcc_lo
	v_add_co_u32 v115, vcc_lo, s20, v7
	s_delay_alu instid0(VALU_DEP_3) | instskip(SKIP_1) | instid1(VALU_DEP_4)
	v_lshlrev_b64 v[121:122], 1, v[117:118]
	v_mul_lo_u32 v125, s19, v119
	v_mul_lo_u32 v126, s18, v120
	v_mad_u64_u32 v[123:124], null, s18, v119, 0
	v_add_co_ci_u32_e32 v116, vcc_lo, s21, v8, vcc_lo
	v_add_co_u32 v117, vcc_lo, s22, v7
	v_add_co_ci_u32_e32 v118, vcc_lo, s23, v8, vcc_lo
	v_add_co_u32 v119, vcc_lo, s20, v121
	v_add_co_ci_u32_e32 v120, vcc_lo, s21, v122, vcc_lo
	v_add3_u32 v124, v124, v126, v125
	v_add_co_u32 v125, vcc_lo, v5, 2
	v_add_co_ci_u32_e32 v126, vcc_lo, 0, v6, vcc_lo
	s_delay_alu instid0(VALU_DEP_3) | instskip(NEXT) | instid1(VALU_DEP_3)
	v_lshlrev_b64 v[7:8], 1, v[123:124]
	v_mul_lo_u32 v129, s19, v125
	v_mad_u64_u32 v[127:128], null, s18, v125, 0
	s_delay_alu instid0(VALU_DEP_4)
	v_mul_lo_u32 v126, s18, v126
	v_mul_lo_u32 v6, s18, v6
	v_add_co_u32 v121, vcc_lo, s22, v121
	v_add_co_ci_u32_e32 v122, vcc_lo, s23, v122, vcc_lo
	v_add_co_u32 v123, vcc_lo, s20, v7
	v_add_co_ci_u32_e32 v124, vcc_lo, s21, v8, vcc_lo
	v_add3_u32 v128, v128, v126, v129
	v_add_co_u32 v125, vcc_lo, s22, v7
	v_add3_u32 v134, v134, v6, v130
	v_add_co_ci_u32_e32 v126, vcc_lo, s23, v8, vcc_lo
	v_add_co_u32 v7, vcc_lo, v133, s18
	v_add_co_u32 v26, s4, s22, v26
	v_lshlrev_b64 v[5:6], 1, v[127:128]
	v_add_co_ci_u32_e32 v8, vcc_lo, s19, v134, vcc_lo
	v_add_co_ci_u32_e64 v27, s4, s23, v27, s4
	v_add_co_u32 v38, s4, s22, v38
	s_delay_alu instid0(VALU_DEP_1)
	v_add_co_ci_u32_e64 v39, s4, s23, v39, s4
	v_add_co_u32 v50, s4, s22, v50
	v_add_co_u32 v127, vcc_lo, s20, v5
	v_lshlrev_b64 v[7:8], 1, v[7:8]
	v_add_co_ci_u32_e64 v51, s4, s23, v51, s4
	v_add_co_ci_u32_e32 v128, vcc_lo, s21, v6, vcc_lo
	v_add_co_u32 v62, s4, s22, v62
	v_add_co_u32 v129, vcc_lo, s22, v5
	v_add_co_ci_u32_e64 v63, s4, s23, v63, s4
	v_add_co_ci_u32_e32 v130, vcc_lo, s23, v6, vcc_lo
	v_add_co_u32 v73, s4, s22, v73
	v_add_co_u32 v131, vcc_lo, s20, v7
	v_lshlrev_b64 v[5:6], 1, v[133:134]
	v_add_co_ci_u32_e64 v74, s4, s23, v74, s4
	v_add_co_ci_u32_e32 v132, vcc_lo, s21, v8, vcc_lo
	v_add_co_u32 v85, s4, s22, v85
	v_add_co_u32 v133, vcc_lo, s22, v7
	v_add_co_ci_u32_e64 v86, s4, s23, v86, s4
	v_add_co_ci_u32_e32 v134, vcc_lo, s23, v8, vcc_lo
	v_add_co_u32 v97, s4, s22, v97
	v_add_co_u32 v135, vcc_lo, s20, v5
	;; [unrolled: 4-line block ×3, first 2 shown]
	v_add_co_ci_u32_e64 v110, s4, s23, v110, s4
	v_add_co_ci_u32_e32 v138, vcc_lo, s23, v6, vcc_lo
	s_mov_b64 s[4:5], 31
	s_lshl_b64 s[12:13], s[12:13], 1
	s_mov_b64 s[24:25], s[8:9]
.LBB189_3:                              ; =>This Inner Loop Header: Depth=1
	s_add_u32 s28, s8, s4
	s_addc_u32 s29, 0, s5
	v_add_co_u32 v5, vcc_lo, s8, v10
	v_cmp_ge_i64_e64 s28, s[28:29], s[16:17]
	v_add_co_ci_u32_e32 v6, vcc_lo, 0, v12, vcc_lo
	s_delay_alu instid0(VALU_DEP_2)
	s_and_b32 vcc_lo, exec_lo, s28
	s_cbranch_vccz .LBB189_71
; %bb.4:                                ;   in Loop: Header=BB189_3 Depth=1
	s_load_b32 s28, s[10:11], 0xc
	v_dual_mov_b32 v141, 0 :: v_dual_mov_b32 v140, 0
	s_waitcnt lgkmcnt(0)
	s_and_b32 s28, s28, 0xffff
	s_delay_alu instid0(SALU_CYCLE_1) | instskip(SKIP_1) | instid1(VALU_DEP_1)
	v_mad_u32_u24 v7, v9, s28, v11
	s_mov_b32 s28, exec_lo
	v_and_b32_e32 v7, 31, v7
	s_delay_alu instid0(VALU_DEP_1) | instskip(SKIP_1) | instid1(VALU_DEP_1)
	v_add_co_u32 v7, vcc_lo, v5, v7
	v_add_co_ci_u32_e32 v8, vcc_lo, 0, v6, vcc_lo
	v_cmpx_gt_i64_e64 s[16:17], v[7:8]
	s_cbranch_execz .LBB189_6
; %bb.5:                                ;   in Loop: Header=BB189_3 Depth=1
	v_lshlrev_b64 v[7:8], 2, v[7:8]
	s_delay_alu instid0(VALU_DEP_1) | instskip(NEXT) | instid1(VALU_DEP_2)
	v_add_co_u32 v7, vcc_lo, s6, v7
	v_add_co_ci_u32_e32 v8, vcc_lo, s7, v8, vcc_lo
	global_load_b32 v140, v[7:8], off
.LBB189_6:                              ;   in Loop: Header=BB189_3 Depth=1
	s_or_b32 exec_lo, exec_lo, s28
	v_cmp_gt_i64_e32 vcc_lo, s[16:17], v[5:6]
	v_mov_b32_e32 v7, 0
	s_and_b32 s29, s3, vcc_lo
	s_delay_alu instid0(SALU_CYCLE_1)
	s_and_saveexec_b32 s28, s29
	s_cbranch_execz .LBB189_8
; %bb.7:                                ;   in Loop: Header=BB189_3 Depth=1
	v_add_co_u32 v7, vcc_lo, v135, v3
	v_add_co_ci_u32_e32 v8, vcc_lo, v136, v4, vcc_lo
	v_add_co_u32 v141, vcc_lo, v137, v3
	v_add_co_ci_u32_e32 v142, vcc_lo, v138, v4, vcc_lo
	global_load_u16 v7, v[7:8], off
	global_load_u16 v8, v[141:142], off
	s_waitcnt vmcnt(1)
	v_lshlrev_b32_e32 v141, 16, v7
	s_waitcnt vmcnt(0)
	v_lshlrev_b32_e32 v7, 16, v8
.LBB189_8:                              ;   in Loop: Header=BB189_3 Depth=1
	s_or_b32 exec_lo, exec_lo, s28
	v_add_co_u32 v142, vcc_lo, v5, 1
	v_add_co_ci_u32_e32 v143, vcc_lo, 0, v6, vcc_lo
	v_mov_b32_e32 v8, 0
	s_delay_alu instid0(VALU_DEP_2) | instskip(SKIP_2) | instid1(SALU_CYCLE_1)
	v_cmp_gt_i64_e32 vcc_lo, s[16:17], v[142:143]
	v_dual_mov_b32 v143, 0 :: v_dual_mov_b32 v142, 0
	s_and_b32 s29, s3, vcc_lo
	s_and_saveexec_b32 s28, s29
	s_cbranch_execz .LBB189_10
; %bb.9:                                ;   in Loop: Header=BB189_3 Depth=1
	v_add_co_u32 v142, vcc_lo, v131, v3
	v_add_co_ci_u32_e32 v143, vcc_lo, v132, v4, vcc_lo
	v_add_co_u32 v144, vcc_lo, v133, v3
	v_add_co_ci_u32_e32 v145, vcc_lo, v134, v4, vcc_lo
	global_load_u16 v142, v[142:143], off
	global_load_u16 v143, v[144:145], off
	s_waitcnt vmcnt(1)
	v_lshlrev_b32_e32 v142, 16, v142
	s_waitcnt vmcnt(0)
	v_lshlrev_b32_e32 v143, 16, v143
.LBB189_10:                             ;   in Loop: Header=BB189_3 Depth=1
	s_or_b32 exec_lo, exec_lo, s28
	v_add_co_u32 v144, vcc_lo, v5, 2
	v_add_co_ci_u32_e32 v145, vcc_lo, 0, v6, vcc_lo
	s_delay_alu instid0(VALU_DEP_1) | instskip(SKIP_2) | instid1(SALU_CYCLE_1)
	v_cmp_gt_i64_e32 vcc_lo, s[16:17], v[144:145]
	v_mov_b32_e32 v145, 0
	s_and_b32 s29, s3, vcc_lo
	s_and_saveexec_b32 s28, s29
	s_cbranch_execz .LBB189_12
; %bb.11:                               ;   in Loop: Header=BB189_3 Depth=1
	v_add_co_u32 v144, vcc_lo, v127, v3
	v_add_co_ci_u32_e32 v145, vcc_lo, v128, v4, vcc_lo
	v_add_co_u32 v146, vcc_lo, v129, v3
	v_add_co_ci_u32_e32 v147, vcc_lo, v130, v4, vcc_lo
	global_load_u16 v8, v[144:145], off
	global_load_u16 v144, v[146:147], off
	s_waitcnt vmcnt(1)
	v_lshlrev_b32_e32 v8, 16, v8
	s_waitcnt vmcnt(0)
	v_lshlrev_b32_e32 v145, 16, v144
.LBB189_12:                             ;   in Loop: Header=BB189_3 Depth=1
	s_or_b32 exec_lo, exec_lo, s28
	v_add_co_u32 v146, vcc_lo, v5, 3
	v_add_co_ci_u32_e32 v147, vcc_lo, 0, v6, vcc_lo
	v_mov_b32_e32 v148, 0
	s_delay_alu instid0(VALU_DEP_2) | instskip(SKIP_2) | instid1(SALU_CYCLE_1)
	v_cmp_gt_i64_e32 vcc_lo, s[16:17], v[146:147]
	v_dual_mov_b32 v146, 0 :: v_dual_mov_b32 v147, 0
	s_and_b32 s29, s3, vcc_lo
	s_and_saveexec_b32 s28, s29
	s_cbranch_execz .LBB189_14
; %bb.13:                               ;   in Loop: Header=BB189_3 Depth=1
	v_add_co_u32 v147, vcc_lo, v123, v3
	v_add_co_ci_u32_e32 v148, vcc_lo, v124, v4, vcc_lo
	v_add_co_u32 v149, vcc_lo, v125, v3
	v_add_co_ci_u32_e32 v150, vcc_lo, v126, v4, vcc_lo
	global_load_u16 v144, v[147:148], off
	global_load_u16 v148, v[149:150], off
	s_waitcnt vmcnt(1)
	v_lshlrev_b32_e32 v147, 16, v144
	s_waitcnt vmcnt(0)
	v_lshlrev_b32_e32 v148, 16, v148
.LBB189_14:                             ;   in Loop: Header=BB189_3 Depth=1
	s_or_b32 exec_lo, exec_lo, s28
	v_add_co_u32 v149, vcc_lo, v5, 4
	v_add_co_ci_u32_e32 v150, vcc_lo, 0, v6, vcc_lo
	s_delay_alu instid0(VALU_DEP_1) | instskip(SKIP_2) | instid1(SALU_CYCLE_1)
	v_cmp_gt_i64_e32 vcc_lo, s[16:17], v[149:150]
	v_mov_b32_e32 v149, 0
	s_and_b32 s29, s3, vcc_lo
	s_and_saveexec_b32 s28, s29
	s_cbranch_execz .LBB189_16
; %bb.15:                               ;   in Loop: Header=BB189_3 Depth=1
	v_add_co_u32 v149, vcc_lo, v119, v3
	v_add_co_ci_u32_e32 v150, vcc_lo, v120, v4, vcc_lo
	v_add_co_u32 v151, vcc_lo, v121, v3
	v_add_co_ci_u32_e32 v152, vcc_lo, v122, v4, vcc_lo
	global_load_u16 v144, v[149:150], off
	global_load_u16 v149, v[151:152], off
	s_waitcnt vmcnt(1)
	v_lshlrev_b32_e32 v146, 16, v144
	s_waitcnt vmcnt(0)
	v_lshlrev_b32_e32 v149, 16, v149
.LBB189_16:                             ;   in Loop: Header=BB189_3 Depth=1
	s_or_b32 exec_lo, exec_lo, s28
	v_add_co_u32 v150, vcc_lo, v5, 5
	v_add_co_ci_u32_e32 v151, vcc_lo, 0, v6, vcc_lo
	v_mov_b32_e32 v152, 0
	s_delay_alu instid0(VALU_DEP_2) | instskip(SKIP_2) | instid1(SALU_CYCLE_1)
	v_cmp_gt_i64_e32 vcc_lo, s[16:17], v[150:151]
	v_dual_mov_b32 v150, 0 :: v_dual_mov_b32 v151, 0
	s_and_b32 s29, s3, vcc_lo
	s_and_saveexec_b32 s28, s29
	s_cbranch_execz .LBB189_18
; %bb.17:                               ;   in Loop: Header=BB189_3 Depth=1
	v_add_co_u32 v151, vcc_lo, v115, v3
	v_add_co_ci_u32_e32 v152, vcc_lo, v116, v4, vcc_lo
	v_add_co_u32 v153, vcc_lo, v117, v3
	v_add_co_ci_u32_e32 v154, vcc_lo, v118, v4, vcc_lo
	global_load_u16 v144, v[151:152], off
	global_load_u16 v152, v[153:154], off
	s_waitcnt vmcnt(1)
	v_lshlrev_b32_e32 v151, 16, v144
	s_waitcnt vmcnt(0)
	v_lshlrev_b32_e32 v152, 16, v152
.LBB189_18:                             ;   in Loop: Header=BB189_3 Depth=1
	;; [unrolled: 43-line block ×14, first 2 shown]
	s_or_b32 exec_lo, exec_lo, s28
	v_add_co_u32 v202, vcc_lo, v5, 30
	v_add_co_ci_u32_e32 v203, vcc_lo, 0, v6, vcc_lo
	s_delay_alu instid0(VALU_DEP_1) | instskip(SKIP_2) | instid1(SALU_CYCLE_1)
	v_cmp_gt_i64_e32 vcc_lo, s[16:17], v[202:203]
	v_mov_b32_e32 v202, 0
	s_and_b32 s29, s3, vcc_lo
	s_and_saveexec_b32 s28, s29
	s_cbranch_execz .LBB189_68
; %bb.67:                               ;   in Loop: Header=BB189_3 Depth=1
	v_add_co_u32 v202, vcc_lo, v16, v3
	v_add_co_ci_u32_e32 v203, vcc_lo, v17, v4, vcc_lo
	v_add_co_u32 v204, vcc_lo, v18, v3
	v_add_co_ci_u32_e32 v205, vcc_lo, v19, v4, vcc_lo
	global_load_u16 v144, v[202:203], off
	global_load_u16 v189, v[204:205], off
	s_waitcnt vmcnt(1)
	v_lshlrev_b32_e32 v199, 16, v144
	s_waitcnt vmcnt(0)
	v_lshlrev_b32_e32 v202, 16, v189
.LBB189_68:                             ;   in Loop: Header=BB189_3 Depth=1
	s_or_b32 exec_lo, exec_lo, s28
	v_add_co_u32 v203, vcc_lo, v5, 31
	v_add_co_ci_u32_e32 v204, vcc_lo, 0, v6, vcc_lo
	v_mov_b32_e32 v189, 0
	s_delay_alu instid0(VALU_DEP_2) | instskip(SKIP_1) | instid1(SALU_CYCLE_1)
	v_cmp_gt_i64_e32 vcc_lo, s[16:17], v[203:204]
	s_and_b32 s29, s3, vcc_lo
	s_and_saveexec_b32 s28, s29
	s_cbranch_execz .LBB189_70
; %bb.69:                               ;   in Loop: Header=BB189_3 Depth=1
	v_add_co_u32 v203, vcc_lo, v14, v3
	v_add_co_ci_u32_e32 v204, vcc_lo, v15, v4, vcc_lo
	v_add_co_u32 v205, vcc_lo, v1, v3
	v_add_co_ci_u32_e32 v206, vcc_lo, v13, v4, vcc_lo
	global_load_u16 v144, v[203:204], off
	global_load_u16 v189, v[205:206], off
	s_waitcnt vmcnt(1)
	v_lshlrev_b32_e32 v144, 16, v144
	s_waitcnt vmcnt(0)
	v_lshlrev_b32_e32 v189, 16, v189
	s_delay_alu instid0(VALU_DEP_1)
	v_mul_f32_e32 v189, v189, v144
.LBB189_70:                             ;   in Loop: Header=BB189_3 Depth=1
	s_or_b32 exec_lo, exec_lo, s28
	s_waitcnt vmcnt(0)
	ds_bpermute_b32 v144, v2, v140
	ds_bpermute_b32 v203, v2, v140 offset:4
	ds_bpermute_b32 v204, v2, v140 offset:8
	v_mul_f32_e32 v7, v141, v7
	ds_bpermute_b32 v141, v2, v140 offset:12
	v_mul_f32_e32 v142, v142, v143
	ds_bpermute_b32 v143, v2, v140 offset:16
	s_waitcnt lgkmcnt(4)
	v_fma_f32 v144, v7, v144, v139
	v_mul_f32_e32 v7, v8, v145
	ds_bpermute_b32 v8, v2, v140 offset:20
	ds_bpermute_b32 v145, v2, v140 offset:24
	s_waitcnt lgkmcnt(5)
	v_fmac_f32_e32 v144, v142, v203
	v_mul_f32_e32 v142, v147, v148
	s_waitcnt lgkmcnt(4)
	s_delay_alu instid0(VALU_DEP_2)
	v_dual_fmac_f32 v144, v7, v204 :: v_dual_mul_f32 v7, v146, v149
	ds_bpermute_b32 v146, v2, v140 offset:28
	s_waitcnt lgkmcnt(4)
	v_dual_fmac_f32 v144, v142, v141 :: v_dual_mul_f32 v141, v151, v152
	ds_bpermute_b32 v142, v2, v140 offset:32
	s_waitcnt lgkmcnt(4)
	;; [unrolled: 3-line block ×3, first 2 shown]
	v_fmac_f32_e32 v144, v141, v8
	v_mul_f32_e32 v8, v155, v156
	ds_bpermute_b32 v141, v2, v140 offset:40
	s_waitcnt lgkmcnt(4)
	v_fmac_f32_e32 v144, v7, v145
	v_mul_f32_e32 v7, v154, v157
	ds_bpermute_b32 v145, v2, v140 offset:44
	s_waitcnt lgkmcnt(4)
	v_fmac_f32_e32 v144, v8, v146
	v_mul_f32_e32 v8, v159, v160
	ds_bpermute_b32 v146, v2, v140 offset:48
	s_waitcnt lgkmcnt(4)
	v_dual_fmac_f32 v144, v7, v142 :: v_dual_mul_f32 v7, v158, v161
	ds_bpermute_b32 v142, v2, v140 offset:52
	s_waitcnt lgkmcnt(4)
	v_fmac_f32_e32 v144, v8, v143
	v_mul_f32_e32 v8, v163, v164
	ds_bpermute_b32 v143, v2, v140 offset:56
	s_waitcnt lgkmcnt(4)
	v_fmac_f32_e32 v144, v7, v141
	v_mul_f32_e32 v7, v162, v165
	;; [unrolled: 4-line block ×3, first 2 shown]
	ds_bpermute_b32 v145, v2, v140 offset:64
	s_waitcnt lgkmcnt(4)
	v_dual_fmac_f32 v144, v7, v146 :: v_dual_mul_f32 v7, v166, v169
	ds_bpermute_b32 v146, v2, v140 offset:68
	s_waitcnt lgkmcnt(4)
	v_fmac_f32_e32 v144, v8, v142
	v_mul_f32_e32 v8, v171, v172
	ds_bpermute_b32 v142, v2, v140 offset:72
	s_waitcnt lgkmcnt(4)
	v_dual_fmac_f32 v144, v7, v143 :: v_dual_mul_f32 v7, v170, v173
	ds_bpermute_b32 v143, v2, v140 offset:76
	s_waitcnt lgkmcnt(4)
	v_fmac_f32_e32 v144, v8, v141
	v_mul_f32_e32 v8, v175, v176
	ds_bpermute_b32 v141, v2, v140 offset:80
	s_waitcnt lgkmcnt(4)
	v_fmac_f32_e32 v144, v7, v145
	v_mul_f32_e32 v7, v174, v177
	;; [unrolled: 4-line block ×3, first 2 shown]
	ds_bpermute_b32 v146, v2, v140 offset:88
	s_waitcnt lgkmcnt(4)
	v_dual_fmac_f32 v144, v7, v142 :: v_dual_mul_f32 v7, v178, v181
	ds_bpermute_b32 v142, v2, v140 offset:92
	s_waitcnt lgkmcnt(4)
	v_fmac_f32_e32 v144, v8, v143
	v_mul_f32_e32 v8, v183, v184
	ds_bpermute_b32 v143, v2, v140 offset:96
	s_waitcnt lgkmcnt(4)
	v_fmac_f32_e32 v144, v7, v141
	v_mul_f32_e32 v7, v182, v185
	;; [unrolled: 4-line block ×9, first 2 shown]
	s_waitcnt lgkmcnt(3)
	s_delay_alu instid0(VALU_DEP_2) | instskip(SKIP_1) | instid1(VALU_DEP_1)
	v_fmac_f32_e32 v144, v145, v142
	s_waitcnt lgkmcnt(2)
	v_fmac_f32_e32 v144, v8, v143
	v_mul_f32_e32 v8, v199, v202
	s_waitcnt lgkmcnt(1)
	s_delay_alu instid0(VALU_DEP_1)
	v_fmac_f32_e32 v144, v8, v141
	s_branch .LBB189_137
.LBB189_71:                             ;   in Loop: Header=BB189_3 Depth=1
                                        ; implicit-def: $vgpr144
                                        ; implicit-def: $vgpr189
                                        ; implicit-def: $vgpr7
	s_cbranch_execz .LBB189_137
; %bb.72:                               ;   in Loop: Header=BB189_3 Depth=1
	s_load_b32 s28, s[10:11], 0x0
	v_mov_b32_e32 v8, 0
	s_waitcnt lgkmcnt(0)
	s_cmp_lt_u32 s14, s28
	s_cselect_b32 s28, 12, 18
	s_delay_alu instid0(SALU_CYCLE_1)
	s_add_u32 s28, s10, s28
	s_addc_u32 s29, s11, 0
	global_load_u16 v7, v2, s[28:29]
	s_mov_b32 s28, exec_lo
	s_waitcnt vmcnt(0)
	v_mad_u32_u24 v7, v9, v7, v11
	s_delay_alu instid0(VALU_DEP_1) | instskip(NEXT) | instid1(VALU_DEP_1)
	v_and_b32_e32 v7, 31, v7
	v_add_co_u32 v5, vcc_lo, v5, v7
	v_add_co_ci_u32_e32 v6, vcc_lo, 0, v6, vcc_lo
	v_mov_b32_e32 v7, 0
	s_delay_alu instid0(VALU_DEP_2)
	v_cmpx_gt_i64_e64 s[16:17], v[5:6]
	s_cbranch_execz .LBB189_74
; %bb.73:                               ;   in Loop: Header=BB189_3 Depth=1
	v_lshlrev_b64 v[5:6], 2, v[5:6]
	s_delay_alu instid0(VALU_DEP_1) | instskip(NEXT) | instid1(VALU_DEP_2)
	v_add_co_u32 v5, vcc_lo, s6, v5
	v_add_co_ci_u32_e32 v6, vcc_lo, s7, v6, vcc_lo
	global_load_b32 v7, v[5:6], off
.LBB189_74:                             ;   in Loop: Header=BB189_3 Depth=1
	s_or_b32 exec_lo, exec_lo, s28
	v_mov_b32_e32 v5, 0
	s_and_saveexec_b32 s28, s3
	s_cbranch_execz .LBB189_76
; %bb.75:                               ;   in Loop: Header=BB189_3 Depth=1
	v_add_co_u32 v5, vcc_lo, v135, v3
	v_add_co_ci_u32_e32 v6, vcc_lo, v136, v4, vcc_lo
	v_add_co_u32 v140, vcc_lo, v137, v3
	v_add_co_ci_u32_e32 v141, vcc_lo, v138, v4, vcc_lo
	global_load_u16 v5, v[5:6], off
	global_load_u16 v6, v[140:141], off
	s_waitcnt vmcnt(1)
	v_lshlrev_b32_e32 v8, 16, v5
	s_waitcnt vmcnt(0)
	v_lshlrev_b32_e32 v5, 16, v6
.LBB189_76:                             ;   in Loop: Header=BB189_3 Depth=1
	s_or_b32 exec_lo, exec_lo, s28
	v_dual_mov_b32 v6, 0 :: v_dual_mov_b32 v141, 0
	v_mov_b32_e32 v140, 0
	s_and_saveexec_b32 s28, s3
	s_cbranch_execz .LBB189_78
; %bb.77:                               ;   in Loop: Header=BB189_3 Depth=1
	v_add_co_u32 v140, vcc_lo, v131, v3
	v_add_co_ci_u32_e32 v141, vcc_lo, v132, v4, vcc_lo
	v_add_co_u32 v142, vcc_lo, v133, v3
	v_add_co_ci_u32_e32 v143, vcc_lo, v134, v4, vcc_lo
	global_load_u16 v140, v[140:141], off
	global_load_u16 v141, v[142:143], off
	s_waitcnt vmcnt(1)
	v_lshlrev_b32_e32 v140, 16, v140
	s_waitcnt vmcnt(0)
	v_lshlrev_b32_e32 v141, 16, v141
.LBB189_78:                             ;   in Loop: Header=BB189_3 Depth=1
	s_or_b32 exec_lo, exec_lo, s28
	v_mov_b32_e32 v142, 0
	s_and_saveexec_b32 s28, s3
	s_cbranch_execz .LBB189_80
; %bb.79:                               ;   in Loop: Header=BB189_3 Depth=1
	v_add_co_u32 v142, vcc_lo, v127, v3
	v_add_co_ci_u32_e32 v143, vcc_lo, v128, v4, vcc_lo
	v_add_co_u32 v144, vcc_lo, v129, v3
	v_add_co_ci_u32_e32 v145, vcc_lo, v130, v4, vcc_lo
	global_load_u16 v6, v[142:143], off
	global_load_u16 v142, v[144:145], off
	s_waitcnt vmcnt(1)
	v_lshlrev_b32_e32 v6, 16, v6
	s_waitcnt vmcnt(0)
	v_lshlrev_b32_e32 v142, 16, v142
.LBB189_80:                             ;   in Loop: Header=BB189_3 Depth=1
	s_or_b32 exec_lo, exec_lo, s28
	v_dual_mov_b32 v143, 0 :: v_dual_mov_b32 v144, 0
	v_mov_b32_e32 v145, 0
	s_and_saveexec_b32 s28, s3
	s_cbranch_execz .LBB189_82
; %bb.81:                               ;   in Loop: Header=BB189_3 Depth=1
	v_add_co_u32 v144, vcc_lo, v123, v3
	v_add_co_ci_u32_e32 v145, vcc_lo, v124, v4, vcc_lo
	v_add_co_u32 v146, vcc_lo, v125, v3
	v_add_co_ci_u32_e32 v147, vcc_lo, v126, v4, vcc_lo
	global_load_u16 v144, v[144:145], off
	global_load_u16 v145, v[146:147], off
	s_waitcnt vmcnt(1)
	v_lshlrev_b32_e32 v144, 16, v144
	s_waitcnt vmcnt(0)
	v_lshlrev_b32_e32 v145, 16, v145
.LBB189_82:                             ;   in Loop: Header=BB189_3 Depth=1
	;; [unrolled: 33-line block ×6, first 2 shown]
	s_or_b32 exec_lo, exec_lo, s28
	v_mov_b32_e32 v162, 0
	s_and_saveexec_b32 s28, s3
	s_cbranch_execz .LBB189_100
; %bb.99:                               ;   in Loop: Header=BB189_3 Depth=1
	v_add_co_u32 v162, vcc_lo, v87, v3
	v_add_co_ci_u32_e32 v163, vcc_lo, v88, v4, vcc_lo
	v_add_co_u32 v164, vcc_lo, v89, v3
	v_add_co_ci_u32_e32 v165, vcc_lo, v90, v4, vcc_lo
	global_load_u16 v159, v[162:163], off
	global_load_u16 v162, v[164:165], off
	s_waitcnt vmcnt(1)
	v_lshlrev_b32_e32 v159, 16, v159
	s_waitcnt vmcnt(0)
	v_lshlrev_b32_e32 v162, 16, v162
.LBB189_100:                            ;   in Loop: Header=BB189_3 Depth=1
	s_or_b32 exec_lo, exec_lo, s28
	v_dual_mov_b32 v163, 0 :: v_dual_mov_b32 v164, 0
	v_mov_b32_e32 v165, 0
	s_and_saveexec_b32 s28, s3
	s_cbranch_execz .LBB189_102
; %bb.101:                              ;   in Loop: Header=BB189_3 Depth=1
	v_add_co_u32 v164, vcc_lo, v83, v3
	v_add_co_ci_u32_e32 v165, vcc_lo, v84, v4, vcc_lo
	v_add_co_u32 v166, vcc_lo, v85, v3
	v_add_co_ci_u32_e32 v167, vcc_lo, v86, v4, vcc_lo
	global_load_u16 v164, v[164:165], off
	global_load_u16 v165, v[166:167], off
	s_waitcnt vmcnt(1)
	v_lshlrev_b32_e32 v164, 16, v164
	s_waitcnt vmcnt(0)
	v_lshlrev_b32_e32 v165, 16, v165
.LBB189_102:                            ;   in Loop: Header=BB189_3 Depth=1
	s_or_b32 exec_lo, exec_lo, s28
	v_mov_b32_e32 v166, 0
	s_and_saveexec_b32 s28, s3
	s_cbranch_execz .LBB189_104
; %bb.103:                              ;   in Loop: Header=BB189_3 Depth=1
	v_add_co_u32 v166, vcc_lo, v79, v3
	v_add_co_ci_u32_e32 v167, vcc_lo, v80, v4, vcc_lo
	v_add_co_u32 v168, vcc_lo, v81, v3
	v_add_co_ci_u32_e32 v169, vcc_lo, v82, v4, vcc_lo
	global_load_u16 v163, v[166:167], off
	global_load_u16 v166, v[168:169], off
	s_waitcnt vmcnt(1)
	v_lshlrev_b32_e32 v163, 16, v163
	s_waitcnt vmcnt(0)
	v_lshlrev_b32_e32 v166, 16, v166
.LBB189_104:                            ;   in Loop: Header=BB189_3 Depth=1
	s_or_b32 exec_lo, exec_lo, s28
	v_dual_mov_b32 v167, 0 :: v_dual_mov_b32 v168, 0
	v_mov_b32_e32 v169, 0
	s_and_saveexec_b32 s28, s3
	s_cbranch_execz .LBB189_106
; %bb.105:                              ;   in Loop: Header=BB189_3 Depth=1
	v_add_co_u32 v168, vcc_lo, v75, v3
	v_add_co_ci_u32_e32 v169, vcc_lo, v76, v4, vcc_lo
	v_add_co_u32 v170, vcc_lo, v77, v3
	v_add_co_ci_u32_e32 v171, vcc_lo, v78, v4, vcc_lo
	global_load_u16 v168, v[168:169], off
	global_load_u16 v169, v[170:171], off
	s_waitcnt vmcnt(1)
	v_lshlrev_b32_e32 v168, 16, v168
	s_waitcnt vmcnt(0)
	v_lshlrev_b32_e32 v169, 16, v169
.LBB189_106:                            ;   in Loop: Header=BB189_3 Depth=1
	s_or_b32 exec_lo, exec_lo, s28
	v_mov_b32_e32 v170, 0
	s_and_saveexec_b32 s28, s3
	s_cbranch_execz .LBB189_108
; %bb.107:                              ;   in Loop: Header=BB189_3 Depth=1
	v_add_co_u32 v170, vcc_lo, v71, v3
	v_add_co_ci_u32_e32 v171, vcc_lo, v72, v4, vcc_lo
	v_add_co_u32 v172, vcc_lo, v73, v3
	v_add_co_ci_u32_e32 v173, vcc_lo, v74, v4, vcc_lo
	global_load_u16 v167, v[170:171], off
	global_load_u16 v170, v[172:173], off
	s_waitcnt vmcnt(1)
	v_lshlrev_b32_e32 v167, 16, v167
	s_waitcnt vmcnt(0)
	v_lshlrev_b32_e32 v170, 16, v170
.LBB189_108:                            ;   in Loop: Header=BB189_3 Depth=1
	;; [unrolled: 33-line block ×8, first 2 shown]
	s_or_b32 exec_lo, exec_lo, s28
	v_dual_mov_b32 v196, 0 :: v_dual_mov_b32 v197, 0
	v_mov_b32_e32 v198, 0
	s_and_saveexec_b32 s28, s3
	s_cbranch_execnz .LBB189_139
; %bb.133:                              ;   in Loop: Header=BB189_3 Depth=1
	s_or_b32 exec_lo, exec_lo, s28
	v_mov_b32_e32 v199, 0
	s_and_saveexec_b32 s28, s3
	s_cbranch_execnz .LBB189_140
.LBB189_134:                            ;   in Loop: Header=BB189_3 Depth=1
	s_or_b32 exec_lo, exec_lo, s28
	v_mov_b32_e32 v189, 0
	s_and_saveexec_b32 s28, s3
	s_cbranch_execz .LBB189_136
.LBB189_135:                            ;   in Loop: Header=BB189_3 Depth=1
	v_add_co_u32 v200, vcc_lo, v14, v3
	v_add_co_ci_u32_e32 v201, vcc_lo, v15, v4, vcc_lo
	v_add_co_u32 v202, vcc_lo, v1, v3
	v_add_co_ci_u32_e32 v203, vcc_lo, v13, v4, vcc_lo
	global_load_u16 v189, v[200:201], off
	global_load_u16 v200, v[202:203], off
	s_waitcnt vmcnt(1)
	v_lshlrev_b32_e32 v189, 16, v189
	s_waitcnt vmcnt(0)
	v_lshlrev_b32_e32 v200, 16, v200
	s_delay_alu instid0(VALU_DEP_1)
	v_mul_f32_e32 v189, v200, v189
.LBB189_136:                            ;   in Loop: Header=BB189_3 Depth=1
	s_or_b32 exec_lo, exec_lo, s28
	s_waitcnt vmcnt(0)
	ds_bpermute_b32 v200, v2, v7
	ds_bpermute_b32 v201, v2, v7 offset:4
	ds_bpermute_b32 v202, v2, v7 offset:8
	v_mul_f32_e32 v5, v8, v5
	ds_bpermute_b32 v8, v2, v7 offset:12
	v_mul_f32_e32 v140, v140, v141
	ds_bpermute_b32 v141, v2, v7 offset:16
	s_waitcnt lgkmcnt(4)
	v_fmac_f32_e32 v139, v5, v200
	v_mul_f32_e32 v5, v6, v142
	ds_bpermute_b32 v6, v2, v7 offset:20
	ds_bpermute_b32 v142, v2, v7 offset:24
	s_waitcnt lgkmcnt(5)
	v_fmac_f32_e32 v139, v140, v201
	s_waitcnt lgkmcnt(4)
	s_delay_alu instid0(VALU_DEP_1)
	v_dual_mul_f32 v140, v144, v145 :: v_dual_fmac_f32 v139, v5, v202
	v_mul_f32_e32 v5, v143, v146
	ds_bpermute_b32 v143, v2, v7 offset:28
	s_waitcnt lgkmcnt(4)
	v_fmac_f32_e32 v139, v140, v8
	v_mul_f32_e32 v8, v148, v149
	ds_bpermute_b32 v140, v2, v7 offset:32
	s_waitcnt lgkmcnt(4)
	v_fmac_f32_e32 v139, v5, v141
	;; [unrolled: 4-line block ×4, first 2 shown]
	v_mul_f32_e32 v5, v151, v154
	ds_bpermute_b32 v142, v2, v7 offset:44
	s_waitcnt lgkmcnt(4)
	v_dual_fmac_f32 v139, v6, v143 :: v_dual_mul_f32 v6, v156, v157
	ds_bpermute_b32 v143, v2, v7 offset:48
	s_waitcnt lgkmcnt(4)
	v_fmac_f32_e32 v139, v5, v140
	v_mul_f32_e32 v5, v155, v158
	ds_bpermute_b32 v140, v2, v7 offset:52
	s_waitcnt lgkmcnt(4)
	v_fmac_f32_e32 v139, v6, v141
	v_mul_f32_e32 v6, v160, v161
	;; [unrolled: 4-line block ×3, first 2 shown]
	ds_bpermute_b32 v8, v2, v7 offset:60
	s_waitcnt lgkmcnt(4)
	v_dual_fmac_f32 v139, v6, v142 :: v_dual_mul_f32 v6, v164, v165
	ds_bpermute_b32 v142, v2, v7 offset:64
	s_waitcnt lgkmcnt(4)
	v_fmac_f32_e32 v139, v5, v143
	v_mul_f32_e32 v5, v163, v166
	ds_bpermute_b32 v143, v2, v7 offset:68
	s_waitcnt lgkmcnt(4)
	v_dual_fmac_f32 v139, v6, v140 :: v_dual_mul_f32 v6, v168, v169
	ds_bpermute_b32 v140, v2, v7 offset:72
	s_waitcnt lgkmcnt(4)
	v_fmac_f32_e32 v139, v5, v141
	v_mul_f32_e32 v5, v167, v170
	;; [unrolled: 7-line block ×4, first 2 shown]
	ds_bpermute_b32 v140, v2, v7 offset:92
	s_waitcnt lgkmcnt(4)
	v_fmac_f32_e32 v139, v6, v141
	v_mul_f32_e32 v6, v180, v181
	ds_bpermute_b32 v141, v2, v7 offset:96
	s_waitcnt lgkmcnt(4)
	v_fmac_f32_e32 v139, v5, v8
	v_mul_f32_e32 v5, v179, v182
	ds_bpermute_b32 v8, v2, v7 offset:100
	s_waitcnt lgkmcnt(4)
	v_dual_fmac_f32 v139, v6, v142 :: v_dual_mul_f32 v6, v184, v185
	ds_bpermute_b32 v142, v2, v7 offset:104
	s_waitcnt lgkmcnt(4)
	v_fmac_f32_e32 v139, v5, v143
	v_mul_f32_e32 v5, v183, v186
	ds_bpermute_b32 v143, v2, v7 offset:108
	s_waitcnt lgkmcnt(4)
	v_dual_fmac_f32 v139, v6, v140 :: v_dual_mul_f32 v6, v188, v190
	;; [unrolled: 7-line block ×3, first 2 shown]
	s_waitcnt lgkmcnt(3)
	s_delay_alu instid0(VALU_DEP_1)
	v_dual_mul_f32 v8, v192, v195 :: v_dual_fmac_f32 v139, v5, v142
	ds_bpermute_b32 v5, v2, v7 offset:120
	ds_bpermute_b32 v7, v2, v7 offset:124
	s_waitcnt lgkmcnt(4)
	v_dual_fmac_f32 v139, v6, v143 :: v_dual_mul_f32 v6, v197, v198
	s_waitcnt lgkmcnt(3)
	s_delay_alu instid0(VALU_DEP_1) | instskip(SKIP_1) | instid1(VALU_DEP_1)
	v_fmac_f32_e32 v139, v8, v140
	s_waitcnt lgkmcnt(2)
	v_dual_fmac_f32 v139, v6, v141 :: v_dual_mul_f32 v6, v196, v199
	s_waitcnt lgkmcnt(1)
	s_delay_alu instid0(VALU_DEP_1) | instskip(NEXT) | instid1(VALU_DEP_1)
	v_fmac_f32_e32 v139, v6, v5
	v_mov_b32_e32 v144, v139
.LBB189_137:                            ;   in Loop: Header=BB189_3 Depth=1
	v_add_co_u32 v1, vcc_lo, v1, s12
	v_add_co_ci_u32_e32 v13, vcc_lo, s13, v13, vcc_lo
	v_add_co_u32 v14, vcc_lo, v14, s12
	v_add_co_ci_u32_e32 v15, vcc_lo, s13, v15, vcc_lo
	;; [unrolled: 2-line block ×62, first 2 shown]
	v_add_co_u32 v135, vcc_lo, v135, s12
	s_add_u32 s24, s24, s27
	v_add_co_ci_u32_e32 v136, vcc_lo, s13, v136, vcc_lo
	s_addc_u32 s25, s25, 0
	v_add_co_u32 v137, vcc_lo, v137, s12
	v_add_co_ci_u32_e32 v138, vcc_lo, s13, v138, vcc_lo
	v_cmp_lt_i64_e64 s28, s[24:25], s[16:17]
	v_add_co_u32 v10, vcc_lo, v10, s27
	s_waitcnt lgkmcnt(0)
	v_fmac_f32_e32 v144, v189, v7
	v_add_co_ci_u32_e32 v12, vcc_lo, 0, v12, vcc_lo
	s_add_u32 s4, s4, s27
	s_addc_u32 s5, s5, 0
	s_and_b32 vcc_lo, exec_lo, s28
	s_cbranch_vccz .LBB189_142
; %bb.138:                              ;   in Loop: Header=BB189_3 Depth=1
	v_mov_b32_e32 v139, v144
	s_branch .LBB189_3
.LBB189_139:                            ;   in Loop: Header=BB189_3 Depth=1
	v_add_co_u32 v197, vcc_lo, v20, v3
	v_add_co_ci_u32_e32 v198, vcc_lo, v21, v4, vcc_lo
	v_add_co_u32 v199, vcc_lo, v22, v3
	v_add_co_ci_u32_e32 v200, vcc_lo, v23, v4, vcc_lo
	global_load_u16 v189, v[197:198], off
	global_load_u16 v198, v[199:200], off
	s_waitcnt vmcnt(1)
	v_lshlrev_b32_e32 v197, 16, v189
	s_waitcnt vmcnt(0)
	v_lshlrev_b32_e32 v198, 16, v198
	s_or_b32 exec_lo, exec_lo, s28
	v_mov_b32_e32 v199, 0
	s_and_saveexec_b32 s28, s3
	s_cbranch_execz .LBB189_134
.LBB189_140:                            ;   in Loop: Header=BB189_3 Depth=1
	v_add_co_u32 v199, vcc_lo, v16, v3
	v_add_co_ci_u32_e32 v200, vcc_lo, v17, v4, vcc_lo
	v_add_co_u32 v201, vcc_lo, v18, v3
	v_add_co_ci_u32_e32 v202, vcc_lo, v19, v4, vcc_lo
	global_load_u16 v189, v[199:200], off
	global_load_u16 v199, v[201:202], off
	s_waitcnt vmcnt(1)
	v_lshlrev_b32_e32 v196, 16, v189
	s_waitcnt vmcnt(0)
	v_lshlrev_b32_e32 v199, 16, v199
	s_or_b32 exec_lo, exec_lo, s28
	v_mov_b32_e32 v189, 0
	s_and_saveexec_b32 s28, s3
	s_cbranch_execnz .LBB189_135
	s_branch .LBB189_136
.LBB189_141:
                                        ; implicit-def: $vgpr144
	s_load_b64 s[4:5], s[0:1], 0x30
	s_branch .LBB189_143
.LBB189_142:
	s_load_b64 s[4:5], s[0:1], 0x30
	s_cbranch_execnz .LBB189_220
.LBB189_143:
	v_mov_b32_e32 v144, 0
	s_and_not1_b32 vcc_lo, exec_lo, s26
	s_cbranch_vccnz .LBB189_220
; %bb.144:
	v_bfe_u32 v7, v207, 10, 10
	s_add_u32 s10, s0, 64
	s_addc_u32 s11, s1, 0
	s_lshl_b64 s[12:13], s[8:9], 1
	s_delay_alu instid0(VALU_DEP_1) | instskip(NEXT) | instid1(VALU_DEP_1)
	v_lshlrev_b32_e32 v0, 6, v7
	v_add_co_u32 v121, s3, v0, s12
	s_delay_alu instid0(VALU_DEP_1) | instskip(NEXT) | instid1(VALU_DEP_2)
	v_add_co_ci_u32_e64 v122, null, 0, s13, s3
	v_add_co_u32 v11, vcc_lo, v121, 2
	s_delay_alu instid0(VALU_DEP_2) | instskip(SKIP_3) | instid1(VALU_DEP_4)
	v_add_co_ci_u32_e32 v0, vcc_lo, 0, v122, vcc_lo
	v_add_co_u32 v15, vcc_lo, v121, 4
	v_add_co_ci_u32_e32 v5, vcc_lo, 0, v122, vcc_lo
	v_add_co_u32 v19, vcc_lo, v121, 6
	v_mul_lo_u32 v18, s18, v0
	v_add_co_ci_u32_e32 v0, vcc_lo, 0, v122, vcc_lo
	v_add_co_u32 v24, vcc_lo, v121, 8
	v_add_co_ci_u32_e32 v9, vcc_lo, 0, v122, vcc_lo
	s_delay_alu instid0(VALU_DEP_3)
	v_mul_lo_u32 v22, s18, v0
	v_lshlrev_b32_e32 v0, 5, v7
	scratch_store_b32 off, v7, off offset:288 ; 4-byte Folded Spill
	v_add_co_u32 v25, vcc_lo, v121, 10
	v_mad_u64_u32 v[1:2], null, s18, v11, s[20:21]
	scratch_store_b32 off, v0, off          ; 4-byte Folded Spill
	v_add_co_u32 v0, s3, v0, s8
	s_delay_alu instid0(VALU_DEP_1) | instskip(SKIP_1) | instid1(VALU_DEP_3)
	v_add_co_ci_u32_e64 v133, null, 0, 0, s3
	v_mul_lo_u32 v17, s19, v11
	v_mul_lo_u32 v14, s19, v0
	v_mad_u64_u32 v[135:136], null, s18, v0, 0
	s_delay_alu instid0(VALU_DEP_4)
	v_mul_lo_u32 v16, s18, v133
	v_add_co_ci_u32_e32 v13, vcc_lo, 0, v122, vcc_lo
	v_mul_lo_u32 v26, s18, v9
	v_mad_u64_u32 v[9:10], null, s18, v11, s[22:23]
	v_mad_u64_u32 v[3:4], null, s18, v15, s[20:21]
	v_mul_lo_u32 v20, s18, v5
	v_mul_lo_u32 v21, s19, v15
	v_mad_u64_u32 v[5:6], null, s18, v19, s[20:21]
	v_mul_lo_u32 v23, s19, v19
	v_mul_lo_u32 v28, s18, v13
	v_add3_u32 v136, v136, v16, v14
	v_mad_u64_u32 v[13:14], null, s18, v15, s[22:23]
	v_mad_u64_u32 v[15:16], null, s18, v19, s[22:23]
	v_add3_u32 v2, v17, v2, v18
	v_mad_u64_u32 v[7:8], null, s18, v24, s[20:21]
	v_mul_lo_u32 v27, s19, v24
	v_add3_u32 v10, v17, v10, v18
	v_mad_u64_u32 v[17:18], null, s18, v24, s[22:23]
	v_add_co_u32 v30, vcc_lo, v121, 12
	v_add3_u32 v4, v21, v4, v20
	v_add3_u32 v6, v23, v6, v22
	v_mad_u64_u32 v[11:12], null, s18, v25, s[20:21]
	v_mul_lo_u32 v29, s19, v25
	v_add_co_ci_u32_e32 v31, vcc_lo, 0, v122, vcc_lo
	v_add3_u32 v14, v21, v14, v20
	v_add3_u32 v16, v23, v16, v22
	v_mad_u64_u32 v[21:22], null, s18, v25, s[22:23]
	v_mad_u64_u32 v[19:20], null, s18, v30, s[20:21]
	v_mul_lo_u32 v32, s19, v30
	v_mad_u64_u32 v[23:24], null, s18, v30, s[22:23]
	v_add_co_u32 v30, vcc_lo, v121, 14
	v_add3_u32 v8, v27, v8, v26
	v_add3_u32 v18, v27, v18, v26
	v_add_co_ci_u32_e32 v27, vcc_lo, 0, v122, vcc_lo
	v_mul_lo_u32 v31, s18, v31
	v_add3_u32 v12, v29, v12, v28
	v_add3_u32 v22, v29, v22, v28
	v_mad_u64_u32 v[25:26], null, s18, v30, s[20:21]
	v_mul_lo_u32 v29, s18, v27
	v_mul_lo_u32 v33, s19, v30
	v_mad_u64_u32 v[27:28], null, s18, v30, s[22:23]
	v_add_co_u32 v34, vcc_lo, v121, 16
	v_add_co_ci_u32_e32 v30, vcc_lo, 0, v122, vcc_lo
	v_add3_u32 v20, v32, v20, v31
	v_add3_u32 v24, v32, v24, v31
	;; [unrolled: 1-line block ×4, first 2 shown]
	v_mul_lo_u32 v33, s18, v30
	v_mul_lo_u32 v35, s19, v34
	v_mad_u64_u32 v[29:30], null, s18, v34, s[20:21]
	v_mad_u64_u32 v[31:32], null, s18, v34, s[22:23]
	v_add_co_u32 v37, vcc_lo, v121, 18
	v_lshlrev_b64 v[137:138], 1, v[135:136]
	s_load_b32 s3, s[0:1], 0x44
	s_delay_alu instid0(VALU_DEP_4) | instskip(NEXT) | instid1(VALU_DEP_3)
	v_add3_u32 v30, v35, v30, v33
	v_mul_lo_u32 v39, s19, v37
	v_add3_u32 v32, v35, v32, v33
	v_add_co_ci_u32_e32 v33, vcc_lo, 0, v122, vcc_lo
	v_mad_u64_u32 v[35:36], null, s18, v37, s[22:23]
	v_add_co_u32 v41, vcc_lo, v121, 20
	s_delay_alu instid0(VALU_DEP_3) | instskip(SKIP_2) | instid1(VALU_DEP_4)
	v_mul_lo_u32 v38, s18, v33
	v_mad_u64_u32 v[33:34], null, s18, v37, s[20:21]
	v_add_co_ci_u32_e32 v37, vcc_lo, 0, v122, vcc_lo
	v_mul_lo_u32 v43, s19, v41
	v_add_co_u32 v45, vcc_lo, v121, 22
	v_add3_u32 v36, v39, v36, v38
	v_add3_u32 v34, v39, v34, v38
	v_mul_lo_u32 v42, s18, v37
	v_mad_u64_u32 v[37:38], null, s18, v41, s[20:21]
	v_mad_u64_u32 v[39:40], null, s18, v41, s[22:23]
	v_add_co_ci_u32_e32 v41, vcc_lo, 0, v122, vcc_lo
	v_mul_lo_u32 v47, s19, v45
	v_add_co_u32 v49, vcc_lo, v121, 24
	v_add3_u32 v38, v43, v38, v42
	v_add3_u32 v40, v43, v40, v42
	v_mul_lo_u32 v46, s18, v41
	v_mad_u64_u32 v[41:42], null, s18, v45, s[20:21]
	;; [unrolled: 8-line block ×20, first 2 shown]
	v_mad_u64_u32 v[115:116], null, s18, v117, s[22:23]
	v_add_co_ci_u32_e32 v117, vcc_lo, 0, v122, vcc_lo
	v_mul_lo_u32 v125, s19, v123
	s_waitcnt lgkmcnt(0)
	s_lshl_b32 s3, s3, 5
	s_delay_alu instid0(VALU_DEP_4)
	v_add3_u32 v114, v119, v114, v118
	v_mul_lo_u32 v124, s18, v117
	v_add3_u32 v116, v119, v116, v118
	v_mad_u64_u32 v[117:118], null, s18, v123, s[20:21]
	v_mad_u64_u32 v[119:120], null, s18, v123, s[22:23]
	s_mul_i32 s12, s19, s3
	s_mul_hi_u32 s13, s18, s3
	s_delay_alu instid0(SALU_CYCLE_1) | instskip(NEXT) | instid1(VALU_DEP_2)
	s_add_i32 s13, s13, s12
	v_add3_u32 v118, v125, v118, v124
	s_mul_i32 s12, s18, s3
	s_delay_alu instid0(VALU_DEP_2) | instskip(SKIP_3) | instid1(VALU_DEP_2)
	v_add3_u32 v120, v125, v120, v124
	v_add_co_u32 v125, vcc_lo, v121, 62
	v_add_co_ci_u32_e32 v121, vcc_lo, 0, v122, vcc_lo
	s_lshl_b64 s[12:13], s[12:13], 1
	v_mul_lo_u32 v127, s19, v125
	v_mad_u64_u32 v[123:124], null, s18, v125, s[22:23]
	s_delay_alu instid0(VALU_DEP_3) | instskip(SKIP_2) | instid1(VALU_DEP_3)
	v_mul_lo_u32 v126, s18, v121
	v_mad_u64_u32 v[121:122], null, s18, v125, s[20:21]
	v_add_co_u32 v125, vcc_lo, v0, 31
	v_add3_u32 v124, v127, v124, v126
	s_delay_alu instid0(VALU_DEP_3) | instskip(SKIP_1) | instid1(VALU_DEP_4)
	v_add3_u32 v122, v127, v122, v126
	v_add_co_ci_u32_e32 v126, vcc_lo, 0, v133, vcc_lo
	v_mul_lo_u32 v129, s19, v125
	v_mad_u64_u32 v[127:128], null, s18, v125, 0
	s_delay_alu instid0(VALU_DEP_3) | instskip(SKIP_1) | instid1(VALU_DEP_1)
	v_mul_lo_u32 v126, s18, v126
	v_add_co_u32 v125, vcc_lo, v0, 30
	v_mul_lo_u32 v131, s19, v125
	s_delay_alu instid0(VALU_DEP_3) | instskip(SKIP_3) | instid1(VALU_DEP_3)
	v_add3_u32 v128, v128, v126, v129
	v_add_co_ci_u32_e32 v126, vcc_lo, 0, v133, vcc_lo
	v_mad_u64_u32 v[129:130], null, s18, v125, 0
	v_add_co_u32 v125, vcc_lo, v0, 29
	v_mul_lo_u32 v126, s18, v126
	v_lshlrev_b64 v[127:128], 1, v[127:128]
	s_delay_alu instid0(VALU_DEP_3) | instskip(NEXT) | instid1(VALU_DEP_3)
	v_mul_lo_u32 v134, s19, v125
	v_add3_u32 v130, v130, v126, v131
	v_add_co_ci_u32_e32 v126, vcc_lo, 0, v133, vcc_lo
	v_mad_u64_u32 v[131:132], null, s18, v125, 0
	v_add_co_u32 v125, vcc_lo, v0, 28
	s_delay_alu instid0(VALU_DEP_3) | instskip(NEXT) | instid1(VALU_DEP_2)
	v_mul_lo_u32 v126, s18, v126
	v_mad_u64_u32 v[139:140], null, s18, v125, 0
	s_delay_alu instid0(VALU_DEP_2) | instskip(SKIP_3) | instid1(VALU_DEP_3)
	v_add3_u32 v132, v132, v126, v134
	v_add_co_ci_u32_e32 v126, vcc_lo, 0, v133, vcc_lo
	v_mul_lo_u32 v134, s19, v125
	v_add_co_u32 v125, vcc_lo, v0, 27
	v_mul_lo_u32 v126, s18, v126
	s_delay_alu instid0(VALU_DEP_2) | instskip(NEXT) | instid1(VALU_DEP_2)
	v_mad_u64_u32 v[141:142], null, s18, v125, 0
	v_add3_u32 v140, v140, v126, v134
	v_add_co_ci_u32_e32 v126, vcc_lo, 0, v133, vcc_lo
	v_mul_lo_u32 v134, s19, v125
	v_add_co_u32 v125, vcc_lo, v0, 26
	s_delay_alu instid0(VALU_DEP_3) | instskip(NEXT) | instid1(VALU_DEP_2)
	v_mul_lo_u32 v126, s18, v126
	v_mad_u64_u32 v[143:144], null, s18, v125, 0
	s_delay_alu instid0(VALU_DEP_2) | instskip(SKIP_3) | instid1(VALU_DEP_3)
	v_add3_u32 v142, v142, v126, v134
	v_add_co_ci_u32_e32 v126, vcc_lo, 0, v133, vcc_lo
	v_mul_lo_u32 v134, s19, v125
	v_add_co_u32 v125, vcc_lo, v0, 25
	v_mul_lo_u32 v126, s18, v126
	s_delay_alu instid0(VALU_DEP_2) | instskip(NEXT) | instid1(VALU_DEP_2)
	v_mad_u64_u32 v[145:146], null, s18, v125, 0
	v_add3_u32 v144, v144, v126, v134
	v_add_co_ci_u32_e32 v126, vcc_lo, 0, v133, vcc_lo
	v_mul_lo_u32 v134, s19, v125
	;; [unrolled: 15-line block ×13, first 2 shown]
	v_add_co_u32 v0, vcc_lo, v0, 2
	s_delay_alu instid0(VALU_DEP_3) | instskip(SKIP_1) | instid1(VALU_DEP_1)
	v_mul_lo_u32 v126, s18, v126
	v_add_co_ci_u32_e32 v125, vcc_lo, 0, v133, vcc_lo
	v_mul_lo_u32 v125, s18, v125
	s_delay_alu instid0(VALU_DEP_3) | instskip(SKIP_2) | instid1(VALU_DEP_1)
	v_add3_u32 v252, v252, v126, v134
	v_mul_lo_u32 v126, s19, v0
	v_mad_u64_u32 v[133:134], null, s18, v0, 0
	v_add3_u32 v134, v134, v125, v126
	v_add_co_u32 v125, vcc_lo, v135, s18
	v_add_co_ci_u32_e32 v126, vcc_lo, s19, v136, vcc_lo
	v_add_co_u32 v0, vcc_lo, s20, v137
	v_add_co_ci_u32_e32 v136, vcc_lo, s21, v138, vcc_lo
	;; [unrolled: 2-line block ×3, first 2 shown]
	scratch_store_b32 off, v0, off offset:4 ; 4-byte Folded Spill
	v_add_co_u32 v0, vcc_lo, s20, v127
	v_lshlrev_b64 v[125:126], 1, v[125:126]
	scratch_store_b32 off, v0, off offset:8 ; 4-byte Folded Spill
	v_add_co_ci_u32_e32 v0, vcc_lo, s21, v128, vcc_lo
	scratch_store_b32 off, v0, off offset:12 ; 4-byte Folded Spill
	v_add_co_u32 v0, vcc_lo, s22, v127
	scratch_store_b32 off, v0, off offset:16 ; 4-byte Folded Spill
	v_add_co_ci_u32_e32 v0, vcc_lo, s23, v128, vcc_lo
	v_lshlrev_b64 v[127:128], 1, v[129:130]
	v_mov_b32_e32 v129, v207
	s_clause 0x1
	scratch_store_b32 off, v0, off offset:20
	scratch_store_b32 off, v129, off offset:296
	v_add_co_u32 v0, vcc_lo, s20, v127
	scratch_store_b32 off, v0, off offset:24 ; 4-byte Folded Spill
	v_add_co_ci_u32_e32 v0, vcc_lo, s21, v128, vcc_lo
	scratch_store_b32 off, v0, off offset:28 ; 4-byte Folded Spill
	v_add_co_u32 v0, vcc_lo, s22, v127
	scratch_store_b32 off, v0, off offset:32 ; 4-byte Folded Spill
	v_add_co_ci_u32_e32 v0, vcc_lo, s23, v128, vcc_lo
	v_lshlrev_b64 v[127:128], 1, v[131:132]
	scratch_store_b32 off, v0, off offset:36 ; 4-byte Folded Spill
	v_add_co_u32 v0, vcc_lo, s20, v127
	scratch_store_b32 off, v0, off offset:40 ; 4-byte Folded Spill
	v_add_co_ci_u32_e32 v0, vcc_lo, s21, v128, vcc_lo
	scratch_store_b32 off, v0, off offset:44 ; 4-byte Folded Spill
	v_add_co_u32 v0, vcc_lo, s22, v127
	scratch_store_b32 off, v0, off offset:48 ; 4-byte Folded Spill
	v_add_co_ci_u32_e32 v0, vcc_lo, s23, v128, vcc_lo
	v_lshlrev_b64 v[127:128], 1, v[139:140]
	scratch_store_b32 off, v0, off offset:52 ; 4-byte Folded Spill
	;; [unrolled: 9-line block ×4, first 2 shown]
	v_add_co_u32 v0, vcc_lo, s20, v127
	scratch_store_b32 off, v0, off offset:88 ; 4-byte Folded Spill
	v_add_co_ci_u32_e32 v0, vcc_lo, s21, v128, vcc_lo
	scratch_store_b32 off, v0, off offset:92 ; 4-byte Folded Spill
	v_add_co_u32 v0, vcc_lo, s22, v127
	scratch_store_b32 off, v0, off offset:96 ; 4-byte Folded Spill
	v_add_co_ci_u32_e32 v0, vcc_lo, s23, v128, vcc_lo
	v_lshlrev_b64 v[127:128], 1, v[145:146]
	v_mov_b32_e32 v145, 0
	scratch_store_b32 off, v0, off offset:100 ; 4-byte Folded Spill
	v_add_co_u32 v0, vcc_lo, s20, v127
	scratch_store_b32 off, v0, off offset:104 ; 4-byte Folded Spill
	v_add_co_ci_u32_e32 v0, vcc_lo, s21, v128, vcc_lo
	scratch_store_b32 off, v0, off offset:108 ; 4-byte Folded Spill
	v_add_co_u32 v0, vcc_lo, s22, v127
	scratch_store_b32 off, v0, off offset:112 ; 4-byte Folded Spill
	v_add_co_ci_u32_e32 v0, vcc_lo, s23, v128, vcc_lo
	v_lshlrev_b64 v[127:128], 1, v[147:148]
	scratch_store_b32 off, v0, off offset:116 ; 4-byte Folded Spill
	v_add_co_u32 v0, vcc_lo, s20, v127
	scratch_store_b32 off, v0, off offset:120 ; 4-byte Folded Spill
	v_add_co_ci_u32_e32 v0, vcc_lo, s21, v128, vcc_lo
	scratch_store_b32 off, v0, off offset:124 ; 4-byte Folded Spill
	v_add_co_u32 v0, vcc_lo, s22, v127
	scratch_store_b32 off, v0, off offset:128 ; 4-byte Folded Spill
	v_add_co_ci_u32_e32 v0, vcc_lo, s23, v128, vcc_lo
	v_lshlrev_b64 v[127:128], 1, v[149:150]
	;; [unrolled: 9-line block ×4, first 2 shown]
	scratch_store_b32 off, v0, off offset:164 ; 4-byte Folded Spill
	v_add_co_u32 v0, vcc_lo, s20, v127
	v_add_co_ci_u32_e32 v180, vcc_lo, s21, v128, vcc_lo
	v_add_co_u32 v181, vcc_lo, s22, v127
	v_add_co_ci_u32_e32 v182, vcc_lo, s23, v128, vcc_lo
	v_lshlrev_b64 v[127:128], 1, v[155:156]
	scratch_store_b32 off, v0, off offset:168 ; 4-byte Folded Spill
	v_add_co_u32 v183, vcc_lo, s20, v127
	v_add_co_ci_u32_e32 v184, vcc_lo, s21, v128, vcc_lo
	v_add_co_u32 v185, vcc_lo, s22, v127
	v_add_co_ci_u32_e32 v186, vcc_lo, s23, v128, vcc_lo
	v_lshlrev_b64 v[127:128], 1, v[157:158]
	s_delay_alu instid0(VALU_DEP_1) | instskip(NEXT) | instid1(VALU_DEP_2)
	v_add_co_u32 v187, vcc_lo, s20, v127
	v_add_co_ci_u32_e32 v188, vcc_lo, s21, v128, vcc_lo
	v_add_co_u32 v189, vcc_lo, s22, v127
	v_add_co_ci_u32_e32 v190, vcc_lo, s23, v128, vcc_lo
	v_lshlrev_b64 v[127:128], 1, v[159:160]
	s_delay_alu instid0(VALU_DEP_1) | instskip(NEXT) | instid1(VALU_DEP_2)
	;; [unrolled: 6-line block ×18, first 2 shown]
	v_add_co_u32 v255, vcc_lo, s20, v127
	v_add_co_ci_u32_e32 v133, vcc_lo, s21, v128, vcc_lo
	v_add_co_u32 v0, vcc_lo, s22, v127
	v_add_co_ci_u32_e32 v134, vcc_lo, s23, v128, vcc_lo
	;; [unrolled: 2-line block ×3, first 2 shown]
	v_add_co_u32 v141, vcc_lo, s22, v125
	v_and_b32_e32 v125, 0x3ff, v129
	v_add_co_ci_u32_e32 v142, vcc_lo, s23, v126, vcc_lo
	v_mov_b32_e32 v126, 0
	s_mov_b64 s[20:21], 31
	scratch_store_b32 off, v125, off offset:292 ; 4-byte Folded Spill
	v_add_nc_u32_e32 v125, s15, v125
	s_mov_b64 s[22:23], s[8:9]
	v_mov_b32_e32 v143, v126
	s_delay_alu instid0(VALU_DEP_2)
	v_lshlrev_b64 v[127:128], 1, v[125:126]
.LBB189_145:                            ; =>This Inner Loop Header: Depth=1
	scratch_load_b32 v125, off, off         ; 4-byte Folded Reload
	s_add_u32 s24, s8, s20
	s_addc_u32 s25, 0, s21
	s_delay_alu instid0(SALU_CYCLE_1) | instskip(SKIP_3) | instid1(VALU_DEP_3)
	v_cmp_ge_i64_e64 s9, s[24:25], s[16:17]
	s_waitcnt vmcnt(0)
	v_add_co_u32 v129, vcc_lo, s8, v125
	v_add_co_ci_u32_e32 v130, vcc_lo, 0, v143, vcc_lo
	s_and_b32 vcc_lo, exec_lo, s9
	s_cbranch_vccz .LBB189_213
; %bb.146:                              ;   in Loop: Header=BB189_145 Depth=1
	s_load_b32 s9, s[10:11], 0xc
	s_clause 0x1
	scratch_load_b32 v125, off, off offset:288
	scratch_load_b32 v131, off, off offset:292
	v_mov_b32_e32 v177, 0
	s_waitcnt lgkmcnt(0)
	s_and_b32 s9, s9, 0xffff
	s_waitcnt vmcnt(0)
	v_mad_u32_u24 v125, v125, s9, v131
	s_mov_b32 s9, exec_lo
	s_delay_alu instid0(VALU_DEP_1) | instskip(NEXT) | instid1(VALU_DEP_1)
	v_and_b32_e32 v125, 31, v125
	v_add_co_u32 v131, vcc_lo, v129, v125
	v_add_co_ci_u32_e32 v132, vcc_lo, 0, v130, vcc_lo
	v_mov_b32_e32 v125, 0
	s_delay_alu instid0(VALU_DEP_2)
	v_cmpx_gt_i64_e64 s[16:17], v[131:132]
	s_cbranch_execz .LBB189_148
; %bb.147:                              ;   in Loop: Header=BB189_145 Depth=1
	v_lshlrev_b64 v[131:132], 2, v[131:132]
	s_delay_alu instid0(VALU_DEP_1) | instskip(NEXT) | instid1(VALU_DEP_2)
	v_add_co_u32 v131, vcc_lo, s6, v131
	v_add_co_ci_u32_e32 v132, vcc_lo, s7, v132, vcc_lo
	global_load_b32 v125, v[131:132], off
.LBB189_148:                            ;   in Loop: Header=BB189_145 Depth=1
	s_or_b32 exec_lo, exec_lo, s9
	v_mov_b32_e32 v178, 0
	s_mov_b32 s9, exec_lo
	v_cmpx_gt_i64_e64 s[16:17], v[129:130]
	s_cbranch_execz .LBB189_150
; %bb.149:                              ;   in Loop: Header=BB189_145 Depth=1
	scratch_load_b32 v131, off, off offset:4 ; 4-byte Folded Reload
	s_waitcnt vmcnt(0)
	v_add_co_u32 v131, vcc_lo, v131, v127
	v_add_co_ci_u32_e32 v132, vcc_lo, v136, v128, vcc_lo
	v_add_co_u32 v146, vcc_lo, v137, v127
	v_add_co_ci_u32_e32 v147, vcc_lo, v138, v128, vcc_lo
	global_load_u16 v131, v[131:132], off
	global_load_u16 v132, v[146:147], off
	s_waitcnt vmcnt(1)
	v_lshlrev_b32_e32 v177, 16, v131
	s_waitcnt vmcnt(0)
	v_lshlrev_b32_e32 v178, 16, v132
.LBB189_150:                            ;   in Loop: Header=BB189_145 Depth=1
	s_or_b32 exec_lo, exec_lo, s9
	v_add_co_u32 v131, vcc_lo, v129, 1
	v_add_co_ci_u32_e32 v132, vcc_lo, 0, v130, vcc_lo
	v_dual_mov_b32 v179, 0 :: v_dual_mov_b32 v176, 0
	v_mov_b32_e32 v144, 0
	s_mov_b32 s9, exec_lo
	s_delay_alu instid0(VALU_DEP_3)
	v_cmpx_gt_i64_e64 s[16:17], v[131:132]
	s_cbranch_execz .LBB189_152
; %bb.151:                              ;   in Loop: Header=BB189_145 Depth=1
	v_add_co_u32 v131, vcc_lo, v139, v127
	v_add_co_ci_u32_e32 v132, vcc_lo, v140, v128, vcc_lo
	v_add_co_u32 v146, vcc_lo, v141, v127
	v_add_co_ci_u32_e32 v147, vcc_lo, v142, v128, vcc_lo
	global_load_u16 v131, v[131:132], off
	global_load_u16 v132, v[146:147], off
	s_waitcnt vmcnt(1)
	v_lshlrev_b32_e32 v176, 16, v131
	s_waitcnt vmcnt(0)
	v_lshlrev_b32_e32 v144, 16, v132
.LBB189_152:                            ;   in Loop: Header=BB189_145 Depth=1
	s_or_b32 exec_lo, exec_lo, s9
	v_add_co_u32 v131, vcc_lo, v129, 2
	v_add_co_ci_u32_e32 v132, vcc_lo, 0, v130, vcc_lo
	v_mov_b32_e32 v175, 0
	s_mov_b32 s9, exec_lo
	s_delay_alu instid0(VALU_DEP_2)
	v_cmpx_gt_i64_e64 s[16:17], v[131:132]
	s_cbranch_execz .LBB189_154
; %bb.153:                              ;   in Loop: Header=BB189_145 Depth=1
	v_add_co_u32 v131, vcc_lo, v255, v127
	v_add_co_ci_u32_e32 v132, vcc_lo, v133, v128, vcc_lo
	v_add_co_u32 v146, vcc_lo, v0, v127
	v_add_co_ci_u32_e32 v147, vcc_lo, v134, v128, vcc_lo
	global_load_u16 v131, v[131:132], off
	global_load_u16 v132, v[146:147], off
	s_waitcnt vmcnt(1)
	v_lshlrev_b32_e32 v179, 16, v131
	s_waitcnt vmcnt(0)
	v_lshlrev_b32_e32 v175, 16, v132
.LBB189_154:                            ;   in Loop: Header=BB189_145 Depth=1
	s_or_b32 exec_lo, exec_lo, s9
	v_add_co_u32 v131, vcc_lo, v129, 3
	v_add_co_ci_u32_e32 v132, vcc_lo, 0, v130, vcc_lo
	v_mov_b32_e32 v146, 0
	s_delay_alu instid0(VALU_DEP_2)
	v_cmp_gt_i64_e32 vcc_lo, s[16:17], v[131:132]
	v_mov_b32_e32 v131, 0
	s_clause 0x1
	scratch_store_b32 off, v146, off offset:172
	scratch_store_b32 off, v131, off offset:176
	v_mov_b32_e32 v131, 0
	scratch_store_b32 off, v131, off offset:180 ; 4-byte Folded Spill
	s_and_saveexec_b32 s9, vcc_lo
	s_cbranch_execz .LBB189_156
; %bb.155:                              ;   in Loop: Header=BB189_145 Depth=1
	v_add_co_u32 v131, vcc_lo, v251, v127
	v_add_co_ci_u32_e32 v132, vcc_lo, v252, v128, vcc_lo
	v_add_co_u32 v146, vcc_lo, v253, v127
	v_add_co_ci_u32_e32 v147, vcc_lo, v254, v128, vcc_lo
	global_load_u16 v131, v[131:132], off
	global_load_u16 v132, v[146:147], off
	s_waitcnt vmcnt(1)
	v_lshlrev_b32_e32 v131, 16, v131
	scratch_store_b32 off, v131, off offset:176 ; 4-byte Folded Spill
	s_waitcnt vmcnt(0)
	v_lshlrev_b32_e32 v131, 16, v132
	scratch_store_b32 off, v131, off offset:180 ; 4-byte Folded Spill
.LBB189_156:                            ;   in Loop: Header=BB189_145 Depth=1
	s_or_b32 exec_lo, exec_lo, s9
	v_add_co_u32 v131, vcc_lo, v129, 4
	v_add_co_ci_u32_e32 v132, vcc_lo, 0, v130, vcc_lo
	s_delay_alu instid0(VALU_DEP_1)
	v_cmp_gt_i64_e32 vcc_lo, s[16:17], v[131:132]
	v_mov_b32_e32 v131, 0
	scratch_store_b32 off, v131, off offset:184 ; 4-byte Folded Spill
	s_and_saveexec_b32 s9, vcc_lo
	s_cbranch_execz .LBB189_158
; %bb.157:                              ;   in Loop: Header=BB189_145 Depth=1
	v_add_co_u32 v131, vcc_lo, v247, v127
	v_add_co_ci_u32_e32 v132, vcc_lo, v248, v128, vcc_lo
	v_add_co_u32 v146, vcc_lo, v249, v127
	v_add_co_ci_u32_e32 v147, vcc_lo, v250, v128, vcc_lo
	global_load_u16 v131, v[131:132], off
	global_load_u16 v132, v[146:147], off
	s_waitcnt vmcnt(1)
	v_lshlrev_b32_e32 v131, 16, v131
	scratch_store_b32 off, v131, off offset:172 ; 4-byte Folded Spill
	s_waitcnt vmcnt(0)
	v_lshlrev_b32_e32 v131, 16, v132
	scratch_store_b32 off, v131, off offset:184 ; 4-byte Folded Spill
.LBB189_158:                            ;   in Loop: Header=BB189_145 Depth=1
	s_or_b32 exec_lo, exec_lo, s9
	v_add_co_u32 v131, vcc_lo, v129, 5
	v_add_co_ci_u32_e32 v132, vcc_lo, 0, v130, vcc_lo
	v_mov_b32_e32 v146, 0
	s_delay_alu instid0(VALU_DEP_2)
	v_cmp_gt_i64_e32 vcc_lo, s[16:17], v[131:132]
	v_mov_b32_e32 v131, 0
	s_clause 0x1
	scratch_store_b32 off, v146, off offset:188
	scratch_store_b32 off, v131, off offset:192
	v_mov_b32_e32 v131, 0
	scratch_store_b32 off, v131, off offset:196 ; 4-byte Folded Spill
	s_and_saveexec_b32 s9, vcc_lo
	s_cbranch_execz .LBB189_160
; %bb.159:                              ;   in Loop: Header=BB189_145 Depth=1
	v_add_co_u32 v131, vcc_lo, v243, v127
	v_add_co_ci_u32_e32 v132, vcc_lo, v244, v128, vcc_lo
	v_add_co_u32 v146, vcc_lo, v245, v127
	v_add_co_ci_u32_e32 v147, vcc_lo, v246, v128, vcc_lo
	global_load_u16 v131, v[131:132], off
	global_load_u16 v132, v[146:147], off
	s_waitcnt vmcnt(1)
	v_lshlrev_b32_e32 v131, 16, v131
	scratch_store_b32 off, v131, off offset:192 ; 4-byte Folded Spill
	s_waitcnt vmcnt(0)
	v_lshlrev_b32_e32 v131, 16, v132
	scratch_store_b32 off, v131, off offset:196 ; 4-byte Folded Spill
.LBB189_160:                            ;   in Loop: Header=BB189_145 Depth=1
	s_or_b32 exec_lo, exec_lo, s9
	v_add_co_u32 v131, vcc_lo, v129, 6
	v_add_co_ci_u32_e32 v132, vcc_lo, 0, v130, vcc_lo
	s_delay_alu instid0(VALU_DEP_1)
	v_cmp_gt_i64_e32 vcc_lo, s[16:17], v[131:132]
	v_mov_b32_e32 v131, 0
	scratch_store_b32 off, v131, off offset:200 ; 4-byte Folded Spill
	s_and_saveexec_b32 s9, vcc_lo
	s_cbranch_execz .LBB189_162
; %bb.161:                              ;   in Loop: Header=BB189_145 Depth=1
	v_add_co_u32 v131, vcc_lo, v239, v127
	v_add_co_ci_u32_e32 v132, vcc_lo, v240, v128, vcc_lo
	v_add_co_u32 v146, vcc_lo, v241, v127
	v_add_co_ci_u32_e32 v147, vcc_lo, v242, v128, vcc_lo
	global_load_u16 v131, v[131:132], off
	global_load_u16 v132, v[146:147], off
	s_waitcnt vmcnt(1)
	v_lshlrev_b32_e32 v131, 16, v131
	scratch_store_b32 off, v131, off offset:188 ; 4-byte Folded Spill
	s_waitcnt vmcnt(0)
	v_lshlrev_b32_e32 v131, 16, v132
	scratch_store_b32 off, v131, off offset:200 ; 4-byte Folded Spill
.LBB189_162:                            ;   in Loop: Header=BB189_145 Depth=1
	;; [unrolled: 51-line block ×7, first 2 shown]
	s_or_b32 exec_lo, exec_lo, s9
	v_add_co_u32 v146, vcc_lo, v129, 17
	v_add_co_ci_u32_e32 v147, vcc_lo, 0, v130, vcc_lo
	v_dual_mov_b32 v135, 0 :: v_dual_mov_b32 v132, 0
	s_delay_alu instid0(VALU_DEP_2)
	v_cmp_gt_i64_e32 vcc_lo, s[16:17], v[146:147]
	v_mov_b32_e32 v146, 0
	scratch_store_b32 off, v132, off offset:284 ; 4-byte Folded Spill
	s_and_saveexec_b32 s9, vcc_lo
	s_cbranch_execz .LBB189_184
; %bb.183:                              ;   in Loop: Header=BB189_145 Depth=1
	v_add_co_u32 v146, vcc_lo, v195, v127
	v_add_co_ci_u32_e32 v147, vcc_lo, v196, v128, vcc_lo
	v_add_co_u32 v148, vcc_lo, v197, v127
	v_add_co_ci_u32_e32 v149, vcc_lo, v198, v128, vcc_lo
	global_load_u16 v132, v[146:147], off
	global_load_u16 v147, v[148:149], off
	s_waitcnt vmcnt(1)
	v_lshlrev_b32_e32 v146, 16, v132
	s_waitcnt vmcnt(0)
	v_lshlrev_b32_e32 v132, 16, v147
	scratch_store_b32 off, v132, off offset:284 ; 4-byte Folded Spill
.LBB189_184:                            ;   in Loop: Header=BB189_145 Depth=1
	s_or_b32 exec_lo, exec_lo, s9
	v_add_co_u32 v148, vcc_lo, v129, 18
	v_add_co_ci_u32_e32 v149, vcc_lo, 0, v130, vcc_lo
	s_delay_alu instid0(VALU_DEP_1)
	v_cmp_gt_i64_e32 vcc_lo, s[16:17], v[148:149]
	v_mov_b32_e32 v148, 0
	s_and_saveexec_b32 s9, vcc_lo
	s_cbranch_execz .LBB189_186
; %bb.185:                              ;   in Loop: Header=BB189_145 Depth=1
	v_add_co_u32 v131, vcc_lo, v191, v127
	v_add_co_ci_u32_e32 v132, vcc_lo, v192, v128, vcc_lo
	v_add_co_u32 v148, vcc_lo, v193, v127
	v_add_co_ci_u32_e32 v149, vcc_lo, v194, v128, vcc_lo
	global_load_u16 v131, v[131:132], off
	global_load_u16 v132, v[148:149], off
	s_waitcnt vmcnt(1)
	v_lshlrev_b32_e32 v135, 16, v131
	s_waitcnt vmcnt(0)
	v_lshlrev_b32_e32 v148, 16, v132
.LBB189_186:                            ;   in Loop: Header=BB189_145 Depth=1
	s_or_b32 exec_lo, exec_lo, s9
	v_add_co_u32 v150, vcc_lo, v129, 19
	v_add_co_ci_u32_e32 v151, vcc_lo, 0, v130, vcc_lo
	v_mov_b32_e32 v149, 0
	s_delay_alu instid0(VALU_DEP_2)
	v_cmp_gt_i64_e32 vcc_lo, s[16:17], v[150:151]
	v_dual_mov_b32 v150, 0 :: v_dual_mov_b32 v151, 0
	s_and_saveexec_b32 s9, vcc_lo
	s_cbranch_execz .LBB189_188
; %bb.187:                              ;   in Loop: Header=BB189_145 Depth=1
	v_add_co_u32 v150, vcc_lo, v187, v127
	v_add_co_ci_u32_e32 v151, vcc_lo, v188, v128, vcc_lo
	v_add_co_u32 v152, vcc_lo, v189, v127
	v_add_co_ci_u32_e32 v153, vcc_lo, v190, v128, vcc_lo
	global_load_u16 v132, v[150:151], off
	global_load_u16 v151, v[152:153], off
	s_waitcnt vmcnt(1)
	v_lshlrev_b32_e32 v150, 16, v132
	s_waitcnt vmcnt(0)
	v_lshlrev_b32_e32 v151, 16, v151
.LBB189_188:                            ;   in Loop: Header=BB189_145 Depth=1
	s_or_b32 exec_lo, exec_lo, s9
	v_add_co_u32 v152, vcc_lo, v129, 20
	v_add_co_ci_u32_e32 v153, vcc_lo, 0, v130, vcc_lo
	s_delay_alu instid0(VALU_DEP_1)
	v_cmp_gt_i64_e32 vcc_lo, s[16:17], v[152:153]
	v_mov_b32_e32 v152, 0
	s_and_saveexec_b32 s9, vcc_lo
	s_cbranch_execz .LBB189_190
; %bb.189:                              ;   in Loop: Header=BB189_145 Depth=1
	v_add_co_u32 v152, vcc_lo, v183, v127
	v_add_co_ci_u32_e32 v153, vcc_lo, v184, v128, vcc_lo
	v_add_co_u32 v154, vcc_lo, v185, v127
	v_add_co_ci_u32_e32 v155, vcc_lo, v186, v128, vcc_lo
	global_load_u16 v132, v[152:153], off
	global_load_u16 v152, v[154:155], off
	s_waitcnt vmcnt(1)
	v_lshlrev_b32_e32 v149, 16, v132
	s_waitcnt vmcnt(0)
	v_lshlrev_b32_e32 v152, 16, v152
.LBB189_190:                            ;   in Loop: Header=BB189_145 Depth=1
	s_or_b32 exec_lo, exec_lo, s9
	v_add_co_u32 v154, vcc_lo, v129, 21
	v_add_co_ci_u32_e32 v155, vcc_lo, 0, v130, vcc_lo
	v_mov_b32_e32 v153, 0
	s_delay_alu instid0(VALU_DEP_2)
	v_cmp_gt_i64_e32 vcc_lo, s[16:17], v[154:155]
	v_dual_mov_b32 v154, 0 :: v_dual_mov_b32 v155, 0
	s_and_saveexec_b32 s9, vcc_lo
	s_cbranch_execz .LBB189_192
; %bb.191:                              ;   in Loop: Header=BB189_145 Depth=1
	scratch_load_b32 v132, off, off offset:168 ; 4-byte Folded Reload
	s_waitcnt vmcnt(0)
	v_add_co_u32 v154, vcc_lo, v132, v127
	v_add_co_ci_u32_e32 v155, vcc_lo, v180, v128, vcc_lo
	v_add_co_u32 v156, vcc_lo, v181, v127
	v_add_co_ci_u32_e32 v157, vcc_lo, v182, v128, vcc_lo
	global_load_u16 v132, v[154:155], off
	global_load_u16 v155, v[156:157], off
	s_waitcnt vmcnt(1)
	v_lshlrev_b32_e32 v154, 16, v132
	s_waitcnt vmcnt(0)
	v_lshlrev_b32_e32 v155, 16, v155
.LBB189_192:                            ;   in Loop: Header=BB189_145 Depth=1
	s_or_b32 exec_lo, exec_lo, s9
	v_add_co_u32 v156, vcc_lo, v129, 22
	v_add_co_ci_u32_e32 v157, vcc_lo, 0, v130, vcc_lo
	s_delay_alu instid0(VALU_DEP_1)
	v_cmp_gt_i64_e32 vcc_lo, s[16:17], v[156:157]
	v_mov_b32_e32 v156, 0
	s_and_saveexec_b32 s9, vcc_lo
	s_cbranch_execz .LBB189_194
; %bb.193:                              ;   in Loop: Header=BB189_145 Depth=1
	scratch_load_b32 v132, off, off offset:152 ; 4-byte Folded Reload
	s_waitcnt vmcnt(0)
	v_add_co_u32 v156, vcc_lo, v132, v127
	scratch_load_b32 v132, off, off offset:156 ; 4-byte Folded Reload
	s_waitcnt vmcnt(0)
	v_add_co_ci_u32_e32 v157, vcc_lo, v132, v128, vcc_lo
	scratch_load_b32 v132, off, off offset:160 ; 4-byte Folded Reload
	s_waitcnt vmcnt(0)
	v_add_co_u32 v158, vcc_lo, v132, v127
	scratch_load_b32 v132, off, off offset:164 ; 4-byte Folded Reload
	s_waitcnt vmcnt(0)
	v_add_co_ci_u32_e32 v159, vcc_lo, v132, v128, vcc_lo
	global_load_u16 v132, v[156:157], off
	global_load_u16 v156, v[158:159], off
	s_waitcnt vmcnt(1)
	v_lshlrev_b32_e32 v153, 16, v132
	s_waitcnt vmcnt(0)
	v_lshlrev_b32_e32 v156, 16, v156
.LBB189_194:                            ;   in Loop: Header=BB189_145 Depth=1
	s_or_b32 exec_lo, exec_lo, s9
	v_add_co_u32 v158, vcc_lo, v129, 23
	v_add_co_ci_u32_e32 v159, vcc_lo, 0, v130, vcc_lo
	v_mov_b32_e32 v157, 0
	s_delay_alu instid0(VALU_DEP_2)
	v_cmp_gt_i64_e32 vcc_lo, s[16:17], v[158:159]
	v_dual_mov_b32 v158, 0 :: v_dual_mov_b32 v159, 0
	s_and_saveexec_b32 s9, vcc_lo
	s_cbranch_execz .LBB189_196
; %bb.195:                              ;   in Loop: Header=BB189_145 Depth=1
	scratch_load_b32 v132, off, off offset:136 ; 4-byte Folded Reload
	s_waitcnt vmcnt(0)
	v_add_co_u32 v158, vcc_lo, v132, v127
	scratch_load_b32 v132, off, off offset:140 ; 4-byte Folded Reload
	s_waitcnt vmcnt(0)
	v_add_co_ci_u32_e32 v159, vcc_lo, v132, v128, vcc_lo
	scratch_load_b32 v132, off, off offset:144 ; 4-byte Folded Reload
	s_waitcnt vmcnt(0)
	v_add_co_u32 v160, vcc_lo, v132, v127
	scratch_load_b32 v132, off, off offset:148 ; 4-byte Folded Reload
	s_waitcnt vmcnt(0)
	v_add_co_ci_u32_e32 v161, vcc_lo, v132, v128, vcc_lo
	global_load_u16 v132, v[158:159], off
	global_load_u16 v159, v[160:161], off
	s_waitcnt vmcnt(1)
	v_lshlrev_b32_e32 v158, 16, v132
	s_waitcnt vmcnt(0)
	v_lshlrev_b32_e32 v159, 16, v159
.LBB189_196:                            ;   in Loop: Header=BB189_145 Depth=1
	s_or_b32 exec_lo, exec_lo, s9
	v_add_co_u32 v160, vcc_lo, v129, 24
	v_add_co_ci_u32_e32 v161, vcc_lo, 0, v130, vcc_lo
	s_delay_alu instid0(VALU_DEP_1)
	v_cmp_gt_i64_e32 vcc_lo, s[16:17], v[160:161]
	v_mov_b32_e32 v160, 0
	s_and_saveexec_b32 s9, vcc_lo
	s_cbranch_execz .LBB189_198
; %bb.197:                              ;   in Loop: Header=BB189_145 Depth=1
	scratch_load_b32 v132, off, off offset:120 ; 4-byte Folded Reload
	s_waitcnt vmcnt(0)
	v_add_co_u32 v160, vcc_lo, v132, v127
	scratch_load_b32 v132, off, off offset:124 ; 4-byte Folded Reload
	s_waitcnt vmcnt(0)
	v_add_co_ci_u32_e32 v161, vcc_lo, v132, v128, vcc_lo
	scratch_load_b32 v132, off, off offset:128 ; 4-byte Folded Reload
	s_waitcnt vmcnt(0)
	v_add_co_u32 v162, vcc_lo, v132, v127
	scratch_load_b32 v132, off, off offset:132 ; 4-byte Folded Reload
	s_waitcnt vmcnt(0)
	v_add_co_ci_u32_e32 v163, vcc_lo, v132, v128, vcc_lo
	global_load_u16 v132, v[160:161], off
	global_load_u16 v160, v[162:163], off
	s_waitcnt vmcnt(1)
	v_lshlrev_b32_e32 v157, 16, v132
	s_waitcnt vmcnt(0)
	v_lshlrev_b32_e32 v160, 16, v160
.LBB189_198:                            ;   in Loop: Header=BB189_145 Depth=1
	s_or_b32 exec_lo, exec_lo, s9
	v_add_co_u32 v162, vcc_lo, v129, 25
	v_add_co_ci_u32_e32 v163, vcc_lo, 0, v130, vcc_lo
	v_mov_b32_e32 v161, 0
	s_delay_alu instid0(VALU_DEP_2)
	v_cmp_gt_i64_e32 vcc_lo, s[16:17], v[162:163]
	v_dual_mov_b32 v162, 0 :: v_dual_mov_b32 v163, 0
	s_and_saveexec_b32 s9, vcc_lo
	s_cbranch_execz .LBB189_200
; %bb.199:                              ;   in Loop: Header=BB189_145 Depth=1
	scratch_load_b32 v132, off, off offset:104 ; 4-byte Folded Reload
	s_waitcnt vmcnt(0)
	v_add_co_u32 v162, vcc_lo, v132, v127
	scratch_load_b32 v132, off, off offset:108 ; 4-byte Folded Reload
	s_waitcnt vmcnt(0)
	v_add_co_ci_u32_e32 v163, vcc_lo, v132, v128, vcc_lo
	scratch_load_b32 v132, off, off offset:112 ; 4-byte Folded Reload
	s_waitcnt vmcnt(0)
	v_add_co_u32 v164, vcc_lo, v132, v127
	scratch_load_b32 v132, off, off offset:116 ; 4-byte Folded Reload
	s_waitcnt vmcnt(0)
	v_add_co_ci_u32_e32 v165, vcc_lo, v132, v128, vcc_lo
	global_load_u16 v132, v[162:163], off
	global_load_u16 v163, v[164:165], off
	s_waitcnt vmcnt(1)
	v_lshlrev_b32_e32 v162, 16, v132
	s_waitcnt vmcnt(0)
	v_lshlrev_b32_e32 v163, 16, v163
.LBB189_200:                            ;   in Loop: Header=BB189_145 Depth=1
	s_or_b32 exec_lo, exec_lo, s9
	v_add_co_u32 v164, vcc_lo, v129, 26
	v_add_co_ci_u32_e32 v165, vcc_lo, 0, v130, vcc_lo
	s_delay_alu instid0(VALU_DEP_1)
	v_cmp_gt_i64_e32 vcc_lo, s[16:17], v[164:165]
	v_mov_b32_e32 v164, 0
	s_and_saveexec_b32 s9, vcc_lo
	s_cbranch_execz .LBB189_202
; %bb.201:                              ;   in Loop: Header=BB189_145 Depth=1
	scratch_load_b32 v132, off, off offset:88 ; 4-byte Folded Reload
	s_waitcnt vmcnt(0)
	v_add_co_u32 v164, vcc_lo, v132, v127
	scratch_load_b32 v132, off, off offset:92 ; 4-byte Folded Reload
	s_waitcnt vmcnt(0)
	v_add_co_ci_u32_e32 v165, vcc_lo, v132, v128, vcc_lo
	scratch_load_b32 v132, off, off offset:96 ; 4-byte Folded Reload
	s_waitcnt vmcnt(0)
	v_add_co_u32 v166, vcc_lo, v132, v127
	scratch_load_b32 v132, off, off offset:100 ; 4-byte Folded Reload
	s_waitcnt vmcnt(0)
	v_add_co_ci_u32_e32 v167, vcc_lo, v132, v128, vcc_lo
	global_load_u16 v132, v[164:165], off
	global_load_u16 v164, v[166:167], off
	s_waitcnt vmcnt(1)
	v_lshlrev_b32_e32 v161, 16, v132
	s_waitcnt vmcnt(0)
	v_lshlrev_b32_e32 v164, 16, v164
.LBB189_202:                            ;   in Loop: Header=BB189_145 Depth=1
	s_or_b32 exec_lo, exec_lo, s9
	v_add_co_u32 v166, vcc_lo, v129, 27
	v_add_co_ci_u32_e32 v167, vcc_lo, 0, v130, vcc_lo
	v_mov_b32_e32 v165, 0
	s_delay_alu instid0(VALU_DEP_2)
	v_cmp_gt_i64_e32 vcc_lo, s[16:17], v[166:167]
	v_dual_mov_b32 v166, 0 :: v_dual_mov_b32 v167, 0
	s_and_saveexec_b32 s9, vcc_lo
	s_cbranch_execz .LBB189_204
; %bb.203:                              ;   in Loop: Header=BB189_145 Depth=1
	scratch_load_b32 v132, off, off offset:72 ; 4-byte Folded Reload
	s_waitcnt vmcnt(0)
	v_add_co_u32 v166, vcc_lo, v132, v127
	scratch_load_b32 v132, off, off offset:76 ; 4-byte Folded Reload
	s_waitcnt vmcnt(0)
	v_add_co_ci_u32_e32 v167, vcc_lo, v132, v128, vcc_lo
	scratch_load_b32 v132, off, off offset:80 ; 4-byte Folded Reload
	s_waitcnt vmcnt(0)
	v_add_co_u32 v168, vcc_lo, v132, v127
	scratch_load_b32 v132, off, off offset:84 ; 4-byte Folded Reload
	s_waitcnt vmcnt(0)
	v_add_co_ci_u32_e32 v169, vcc_lo, v132, v128, vcc_lo
	global_load_u16 v132, v[166:167], off
	global_load_u16 v167, v[168:169], off
	s_waitcnt vmcnt(1)
	v_lshlrev_b32_e32 v166, 16, v132
	s_waitcnt vmcnt(0)
	v_lshlrev_b32_e32 v167, 16, v167
.LBB189_204:                            ;   in Loop: Header=BB189_145 Depth=1
	s_or_b32 exec_lo, exec_lo, s9
	v_add_co_u32 v168, vcc_lo, v129, 28
	v_add_co_ci_u32_e32 v169, vcc_lo, 0, v130, vcc_lo
	s_delay_alu instid0(VALU_DEP_1)
	v_cmp_gt_i64_e32 vcc_lo, s[16:17], v[168:169]
	v_mov_b32_e32 v168, 0
	s_and_saveexec_b32 s9, vcc_lo
	s_cbranch_execz .LBB189_206
; %bb.205:                              ;   in Loop: Header=BB189_145 Depth=1
	scratch_load_b32 v132, off, off offset:56 ; 4-byte Folded Reload
	s_waitcnt vmcnt(0)
	v_add_co_u32 v168, vcc_lo, v132, v127
	scratch_load_b32 v132, off, off offset:60 ; 4-byte Folded Reload
	s_waitcnt vmcnt(0)
	v_add_co_ci_u32_e32 v169, vcc_lo, v132, v128, vcc_lo
	scratch_load_b32 v132, off, off offset:64 ; 4-byte Folded Reload
	s_waitcnt vmcnt(0)
	v_add_co_u32 v170, vcc_lo, v132, v127
	scratch_load_b32 v132, off, off offset:68 ; 4-byte Folded Reload
	s_waitcnt vmcnt(0)
	v_add_co_ci_u32_e32 v171, vcc_lo, v132, v128, vcc_lo
	global_load_u16 v132, v[168:169], off
	global_load_u16 v168, v[170:171], off
	s_waitcnt vmcnt(1)
	v_lshlrev_b32_e32 v165, 16, v132
	s_waitcnt vmcnt(0)
	v_lshlrev_b32_e32 v168, 16, v168
.LBB189_206:                            ;   in Loop: Header=BB189_145 Depth=1
	s_or_b32 exec_lo, exec_lo, s9
	v_add_co_u32 v170, vcc_lo, v129, 29
	v_add_co_ci_u32_e32 v171, vcc_lo, 0, v130, vcc_lo
	v_mov_b32_e32 v169, 0
	s_delay_alu instid0(VALU_DEP_2)
	v_cmp_gt_i64_e32 vcc_lo, s[16:17], v[170:171]
	v_dual_mov_b32 v170, 0 :: v_dual_mov_b32 v171, 0
	s_and_saveexec_b32 s9, vcc_lo
	s_cbranch_execz .LBB189_208
; %bb.207:                              ;   in Loop: Header=BB189_145 Depth=1
	scratch_load_b32 v132, off, off offset:40 ; 4-byte Folded Reload
	s_waitcnt vmcnt(0)
	v_add_co_u32 v170, vcc_lo, v132, v127
	scratch_load_b32 v132, off, off offset:44 ; 4-byte Folded Reload
	s_waitcnt vmcnt(0)
	v_add_co_ci_u32_e32 v171, vcc_lo, v132, v128, vcc_lo
	scratch_load_b32 v132, off, off offset:48 ; 4-byte Folded Reload
	s_waitcnt vmcnt(0)
	v_add_co_u32 v172, vcc_lo, v132, v127
	scratch_load_b32 v132, off, off offset:52 ; 4-byte Folded Reload
	s_waitcnt vmcnt(0)
	v_add_co_ci_u32_e32 v173, vcc_lo, v132, v128, vcc_lo
	global_load_u16 v132, v[170:171], off
	global_load_u16 v171, v[172:173], off
	s_waitcnt vmcnt(1)
	v_lshlrev_b32_e32 v170, 16, v132
	s_waitcnt vmcnt(0)
	v_lshlrev_b32_e32 v171, 16, v171
.LBB189_208:                            ;   in Loop: Header=BB189_145 Depth=1
	s_or_b32 exec_lo, exec_lo, s9
	v_add_co_u32 v172, vcc_lo, v129, 30
	v_add_co_ci_u32_e32 v173, vcc_lo, 0, v130, vcc_lo
	s_delay_alu instid0(VALU_DEP_1)
	v_cmp_gt_i64_e32 vcc_lo, s[16:17], v[172:173]
	v_mov_b32_e32 v172, 0
	s_and_saveexec_b32 s9, vcc_lo
	s_cbranch_execz .LBB189_210
; %bb.209:                              ;   in Loop: Header=BB189_145 Depth=1
	scratch_load_b32 v132, off, off offset:24 ; 4-byte Folded Reload
	v_mov_b32_e32 v131, v175
	s_waitcnt vmcnt(0)
	v_add_co_u32 v172, vcc_lo, v132, v127
	scratch_load_b32 v132, off, off offset:28 ; 4-byte Folded Reload
	s_waitcnt vmcnt(0)
	v_add_co_ci_u32_e32 v173, vcc_lo, v132, v128, vcc_lo
	scratch_load_b32 v132, off, off offset:32 ; 4-byte Folded Reload
	s_waitcnt vmcnt(0)
	v_add_co_u32 v174, vcc_lo, v132, v127
	scratch_load_b32 v132, off, off offset:36 ; 4-byte Folded Reload
	s_waitcnt vmcnt(0)
	v_add_co_ci_u32_e32 v175, vcc_lo, v132, v128, vcc_lo
	global_load_u16 v132, v[172:173], off
	global_load_u16 v172, v[174:175], off
	s_waitcnt vmcnt(1)
	v_lshlrev_b32_e32 v169, 16, v132
	s_waitcnt vmcnt(0)
	v_dual_mov_b32 v175, v131 :: v_dual_lshlrev_b32 v172, 16, v172
.LBB189_210:                            ;   in Loop: Header=BB189_145 Depth=1
	s_or_b32 exec_lo, exec_lo, s9
	v_add_co_u32 v173, vcc_lo, v129, 31
	v_dual_mov_b32 v147, v146 :: v_dual_mov_b32 v132, 0
	v_add_co_ci_u32_e32 v174, vcc_lo, 0, v130, vcc_lo
	s_mov_b32 s9, exec_lo
	s_delay_alu instid0(VALU_DEP_1)
	v_cmpx_gt_i64_e64 s[16:17], v[173:174]
	s_cbranch_execz .LBB189_212
; %bb.211:                              ;   in Loop: Header=BB189_145 Depth=1
	scratch_load_b32 v132, off, off offset:16 ; 4-byte Folded Reload
	v_dual_mov_b32 v146, v175 :: v_dual_mov_b32 v131, v142
	v_dual_mov_b32 v142, v141 :: v_dual_mov_b32 v141, v140
	;; [unrolled: 1-line block ×3, first 2 shown]
	v_mov_b32_e32 v134, v0
	v_dual_mov_b32 v0, v133 :: v_dual_mov_b32 v133, v255
	v_dual_mov_b32 v255, v254 :: v_dual_mov_b32 v254, v253
	;; [unrolled: 1-line block ×38, first 2 shown]
	v_mov_b32_e32 v181, v180
	v_mov_b32_e32 v180, v144
	v_dual_mov_b32 v144, v179 :: v_dual_mov_b32 v179, v178
	v_dual_mov_b32 v178, v177 :: v_dual_mov_b32 v177, v176
	s_waitcnt vmcnt(0)
	v_add_co_u32 v173, vcc_lo, v132, v127
	scratch_load_b32 v132, off, off offset:20 ; 4-byte Folded Reload
	s_waitcnt vmcnt(0)
	v_add_co_ci_u32_e32 v174, vcc_lo, v132, v128, vcc_lo
	scratch_load_b32 v132, off, off offset:8 ; 4-byte Folded Reload
	s_waitcnt vmcnt(0)
	v_add_co_u32 v175, vcc_lo, v132, v127
	scratch_load_b32 v132, off, off offset:12 ; 4-byte Folded Reload
	s_waitcnt vmcnt(0)
	v_add_co_ci_u32_e32 v176, vcc_lo, v132, v128, vcc_lo
	global_load_u16 v132, v[173:174], off
	global_load_u16 v173, v[175:176], off
	v_dual_mov_b32 v175, v146 :: v_dual_mov_b32 v176, v177
	v_dual_mov_b32 v177, v178 :: v_dual_mov_b32 v178, v179
	v_mov_b32_e32 v179, v144
	v_mov_b32_e32 v144, v180
	v_dual_mov_b32 v180, v181 :: v_dual_mov_b32 v181, v182
	v_dual_mov_b32 v182, v183 :: v_dual_mov_b32 v183, v184
	;; [unrolled: 1-line block ×41, first 2 shown]
	v_mov_b32_e32 v142, v131
	s_waitcnt vmcnt(1)
	v_lshlrev_b32_e32 v132, 16, v132
	s_waitcnt vmcnt(0)
	v_lshlrev_b32_e32 v173, 16, v173
	s_delay_alu instid0(VALU_DEP_1)
	v_mul_f32_e32 v132, v173, v132
.LBB189_212:                            ;   in Loop: Header=BB189_145 Depth=1
	s_or_b32 exec_lo, exec_lo, s9
	s_clause 0x1
	scratch_load_b32 v131, off, off offset:176
	scratch_load_b32 v146, off, off offset:180
	v_dual_mul_f32 v173, v177, v178 :: v_dual_mul_f32 v174, v176, v144
	s_waitcnt vmcnt(2)
	ds_bpermute_b32 v144, v126, v125
	ds_bpermute_b32 v176, v126, v125 offset:60
	ds_bpermute_b32 v178, v126, v125 offset:64
	s_waitcnt lgkmcnt(2)
	v_fma_f32 v144, v173, v144, v145
	ds_bpermute_b32 v173, v126, v125 offset:4
	s_waitcnt lgkmcnt(0)
	v_dual_fmac_f32 v144, v174, v173 :: v_dual_mul_f32 v173, v179, v175
	ds_bpermute_b32 v174, v126, v125 offset:8
	ds_bpermute_b32 v179, v126, v125 offset:72
	s_waitcnt lgkmcnt(1)
	v_fmac_f32_e32 v144, v173, v174
	ds_bpermute_b32 v174, v126, v125 offset:12
	s_waitcnt vmcnt(0)
	v_mul_f32_e32 v173, v131, v146
	s_clause 0x1
	scratch_load_b32 v131, off, off offset:172
	scratch_load_b32 v146, off, off offset:184
	s_waitcnt lgkmcnt(0)
	v_fmac_f32_e32 v144, v173, v174
	ds_bpermute_b32 v174, v126, v125 offset:16
	s_waitcnt vmcnt(0)
	v_mul_f32_e32 v173, v131, v146
	s_clause 0x1
	scratch_load_b32 v131, off, off offset:192
	scratch_load_b32 v146, off, off offset:196
	;; [unrolled: 8-line block ×10, first 2 shown]
	s_waitcnt lgkmcnt(0)
	v_fmac_f32_e32 v144, v173, v174
	ds_bpermute_b32 v173, v126, v125 offset:52
	ds_bpermute_b32 v174, v126, v125 offset:56
	s_waitcnt vmcnt(0)
	v_mul_f32_e32 v175, v131, v146
	s_clause 0x1
	scratch_load_b32 v131, off, off offset:252
	scratch_load_b32 v146, off, off offset:264
	s_waitcnt lgkmcnt(1)
	v_fmac_f32_e32 v144, v175, v173
	ds_bpermute_b32 v173, v126, v125 offset:68
	s_waitcnt vmcnt(0)
	v_mul_f32_e32 v177, v131, v146
	s_clause 0x1
	scratch_load_b32 v131, off, off offset:272
	scratch_load_b32 v146, off, off offset:276
	s_waitcnt lgkmcnt(1)
	v_fmac_f32_e32 v144, v177, v174
	ds_bpermute_b32 v177, v126, v125 offset:76
	s_waitcnt vmcnt(0)
	v_mul_f32_e32 v175, v131, v146
	s_clause 0x1
	scratch_load_b32 v131, off, off offset:268
	scratch_load_b32 v146, off, off offset:280
	v_fmac_f32_e32 v144, v175, v176
	s_waitcnt vmcnt(0)
	v_mul_f32_e32 v174, v131, v146
	scratch_load_b32 v131, off, off offset:284 ; 4-byte Folded Reload
	v_fmac_f32_e32 v144, v174, v178
	s_waitcnt vmcnt(0)
	v_mul_f32_e32 v146, v147, v131
	ds_bpermute_b32 v147, v126, v125 offset:80
	v_mul_f32_e32 v131, v135, v148
	ds_bpermute_b32 v148, v126, v125 offset:84
	s_waitcnt lgkmcnt(3)
	v_fmac_f32_e32 v144, v146, v173
	v_mul_f32_e32 v146, v150, v151
	ds_bpermute_b32 v150, v126, v125 offset:88
	ds_bpermute_b32 v151, v126, v125 offset:96
	v_dual_fmac_f32 v144, v131, v179 :: v_dual_mul_f32 v131, v149, v152
	ds_bpermute_b32 v149, v126, v125 offset:92
	s_waitcnt lgkmcnt(5)
	v_fmac_f32_e32 v144, v146, v177
	v_mul_f32_e32 v146, v154, v155
	s_waitcnt lgkmcnt(4)
	s_delay_alu instid0(VALU_DEP_2)
	v_dual_fmac_f32 v144, v131, v147 :: v_dual_mul_f32 v131, v153, v156
	ds_bpermute_b32 v147, v126, v125 offset:100
	s_waitcnt lgkmcnt(4)
	v_fmac_f32_e32 v144, v146, v148
	v_mul_f32_e32 v146, v158, v159
	ds_bpermute_b32 v148, v126, v125 offset:104
	s_waitcnt lgkmcnt(4)
	v_dual_fmac_f32 v144, v131, v150 :: v_dual_mul_f32 v131, v157, v160
	ds_bpermute_b32 v150, v126, v125 offset:108
	s_waitcnt lgkmcnt(3)
	v_fmac_f32_e32 v144, v146, v149
	v_mul_f32_e32 v146, v162, v163
	ds_bpermute_b32 v149, v126, v125 offset:112
	v_dual_fmac_f32 v144, v131, v151 :: v_dual_mul_f32 v131, v161, v164
	ds_bpermute_b32 v151, v126, v125 offset:116
	s_waitcnt lgkmcnt(4)
	v_dual_fmac_f32 v144, v146, v147 :: v_dual_mul_f32 v147, v165, v168
	v_mul_f32_e32 v146, v166, v167
	s_waitcnt lgkmcnt(3)
	s_delay_alu instid0(VALU_DEP_2)
	v_fmac_f32_e32 v144, v131, v148
	ds_bpermute_b32 v131, v126, v125 offset:120
	ds_bpermute_b32 v125, v126, v125 offset:124
	s_waitcnt lgkmcnt(4)
	v_fmac_f32_e32 v144, v146, v150
	v_mul_f32_e32 v146, v170, v171
	s_waitcnt lgkmcnt(3)
	s_delay_alu instid0(VALU_DEP_2) | instskip(SKIP_1) | instid1(VALU_DEP_1)
	v_fmac_f32_e32 v144, v147, v149
	s_waitcnt lgkmcnt(2)
	v_fmac_f32_e32 v144, v146, v151
	v_mul_f32_e32 v146, v169, v172
	s_waitcnt lgkmcnt(1)
	s_delay_alu instid0(VALU_DEP_1) | instskip(SKIP_1) | instid1(VALU_DEP_1)
	v_fmac_f32_e32 v144, v146, v131
	s_waitcnt lgkmcnt(0)
	v_fmac_f32_e32 v144, v132, v125
	s_branch .LBB189_217
.LBB189_213:                            ;   in Loop: Header=BB189_145 Depth=1
                                        ; implicit-def: $vgpr144
	s_cbranch_execz .LBB189_217
; %bb.214:                              ;   in Loop: Header=BB189_145 Depth=1
	s_load_b32 s9, s[10:11], 0x0
	s_waitcnt lgkmcnt(0)
	s_cmp_lt_u32 s14, s9
	s_cselect_b32 s9, 12, 18
	s_delay_alu instid0(SALU_CYCLE_1)
	s_add_u32 s24, s10, s9
	s_addc_u32 s25, s11, 0
	s_mov_b32 s9, exec_lo
	global_load_u16 v125, v126, s[24:25]
	s_clause 0x1
	scratch_load_b32 v131, off, off offset:288
	scratch_load_b32 v132, off, off offset:292
	s_waitcnt vmcnt(0)
	v_mad_u32_u24 v125, v131, v125, v132
	s_delay_alu instid0(VALU_DEP_1) | instskip(NEXT) | instid1(VALU_DEP_1)
	v_and_b32_e32 v125, 31, v125
	v_add_co_u32 v129, vcc_lo, v129, v125
	v_add_co_ci_u32_e32 v130, vcc_lo, 0, v130, vcc_lo
	v_mov_b32_e32 v125, 0
	s_delay_alu instid0(VALU_DEP_2)
	v_cmpx_gt_i64_e64 s[16:17], v[129:130]
	s_cbranch_execz .LBB189_216
; %bb.215:                              ;   in Loop: Header=BB189_145 Depth=1
	v_lshlrev_b64 v[129:130], 2, v[129:130]
	s_delay_alu instid0(VALU_DEP_1) | instskip(NEXT) | instid1(VALU_DEP_2)
	v_add_co_u32 v129, vcc_lo, s6, v129
	v_add_co_ci_u32_e32 v130, vcc_lo, s7, v130, vcc_lo
	global_load_b32 v125, v[129:130], off
.LBB189_216:                            ;   in Loop: Header=BB189_145 Depth=1
	s_or_b32 exec_lo, exec_lo, s9
	scratch_load_b32 v129, off, off offset:4 ; 4-byte Folded Reload
	s_waitcnt vmcnt(0)
	v_add_co_u32 v129, vcc_lo, v129, v127
	v_add_co_ci_u32_e32 v130, vcc_lo, v136, v128, vcc_lo
	global_load_u16 v131, v[129:130], off
	v_add_co_u32 v129, vcc_lo, v137, v127
	v_add_co_ci_u32_e32 v130, vcc_lo, v138, v128, vcc_lo
	global_load_u16 v129, v[129:130], off
	s_waitcnt vmcnt(1)
	v_lshlrev_b32_e32 v130, 16, v131
	s_waitcnt vmcnt(0)
	v_lshlrev_b32_e32 v129, 16, v129
	s_delay_alu instid0(VALU_DEP_1)
	v_mul_f32_e32 v129, v130, v129
	ds_bpermute_b32 v130, v126, v125
	s_waitcnt lgkmcnt(0)
	v_fmac_f32_e32 v145, v129, v130
	v_add_co_u32 v129, vcc_lo, v1, v127
	v_add_co_ci_u32_e32 v130, vcc_lo, v2, v128, vcc_lo
	global_load_u16 v131, v[129:130], off
	v_add_co_u32 v129, vcc_lo, v9, v127
	v_add_co_ci_u32_e32 v130, vcc_lo, v10, v128, vcc_lo
	global_load_u16 v129, v[129:130], off
	s_waitcnt vmcnt(1)
	v_lshlrev_b32_e32 v130, 16, v131
	s_waitcnt vmcnt(0)
	v_lshlrev_b32_e32 v129, 16, v129
	s_delay_alu instid0(VALU_DEP_1)
	v_mul_f32_e32 v129, v130, v129
	ds_bpermute_b32 v130, v126, v125 offset:4
	s_waitcnt lgkmcnt(0)
	v_fmac_f32_e32 v145, v129, v130
	v_add_co_u32 v129, vcc_lo, v3, v127
	v_add_co_ci_u32_e32 v130, vcc_lo, v4, v128, vcc_lo
	global_load_u16 v131, v[129:130], off
	v_add_co_u32 v129, vcc_lo, v13, v127
	v_add_co_ci_u32_e32 v130, vcc_lo, v14, v128, vcc_lo
	global_load_u16 v129, v[129:130], off
	s_waitcnt vmcnt(1)
	v_lshlrev_b32_e32 v130, 16, v131
	s_waitcnt vmcnt(0)
	v_lshlrev_b32_e32 v129, 16, v129
	s_delay_alu instid0(VALU_DEP_1)
	v_mul_f32_e32 v129, v130, v129
	ds_bpermute_b32 v130, v126, v125 offset:8
	;; [unrolled: 15-line block ×30, first 2 shown]
	ds_bpermute_b32 v125, v126, v125 offset:124
	s_waitcnt lgkmcnt(1)
	v_fmac_f32_e32 v145, v129, v130
	v_add_co_u32 v129, vcc_lo, v123, v127
	v_add_co_ci_u32_e32 v130, vcc_lo, v124, v128, vcc_lo
	global_load_u16 v131, v[129:130], off
	v_add_co_u32 v129, vcc_lo, v121, v127
	v_add_co_ci_u32_e32 v130, vcc_lo, v122, v128, vcc_lo
	global_load_u16 v129, v[129:130], off
	s_waitcnt vmcnt(1)
	v_lshlrev_b32_e32 v130, 16, v131
	s_waitcnt vmcnt(0)
	v_lshlrev_b32_e32 v129, 16, v129
	s_delay_alu instid0(VALU_DEP_1) | instskip(SKIP_1) | instid1(VALU_DEP_1)
	v_mul_f32_e32 v129, v129, v130
	s_waitcnt lgkmcnt(0)
	v_fmac_f32_e32 v145, v129, v125
	s_delay_alu instid0(VALU_DEP_1)
	v_mov_b32_e32 v144, v145
.LBB189_217:                            ;   in Loop: Header=BB189_145 Depth=1
	scratch_load_b32 v125, off, off offset:4 ; 4-byte Folded Reload
	v_add_co_u32 v1, vcc_lo, v1, s12
	v_add_co_ci_u32_e32 v2, vcc_lo, s13, v2, vcc_lo
	v_add_co_u32 v3, vcc_lo, v3, s12
	v_add_co_ci_u32_e32 v4, vcc_lo, s13, v4, vcc_lo
	;; [unrolled: 2-line block ×31, first 2 shown]
	s_add_u32 s22, s22, s3
	s_addc_u32 s23, s23, 0
	s_add_u32 s20, s20, s3
	v_cmp_ge_i64_e64 s9, s[22:23], s[16:17]
	s_addc_u32 s21, s21, 0
	s_waitcnt vmcnt(0)
	v_add_co_u32 v125, vcc_lo, v125, s12
	v_add_co_ci_u32_e32 v136, vcc_lo, s13, v136, vcc_lo
	v_add_co_u32 v9, vcc_lo, v9, s12
	scratch_store_b32 off, v125, off offset:4 ; 4-byte Folded Spill
	scratch_load_b32 v125, off, off         ; 4-byte Folded Reload
	v_add_co_ci_u32_e32 v10, vcc_lo, s13, v10, vcc_lo
	v_add_co_u32 v13, vcc_lo, v13, s12
	v_add_co_ci_u32_e32 v14, vcc_lo, s13, v14, vcc_lo
	v_add_co_u32 v15, vcc_lo, v15, s12
	;; [unrolled: 2-line block ×31, first 2 shown]
	v_add_co_ci_u32_e32 v138, vcc_lo, s13, v138, vcc_lo
	s_waitcnt vmcnt(0)
	v_add_co_u32 v125, vcc_lo, v125, s3
	v_add_co_ci_u32_e32 v143, vcc_lo, 0, v143, vcc_lo
	scratch_store_b32 off, v125, off        ; 4-byte Folded Spill
	scratch_load_b32 v125, off, off offset:8 ; 4-byte Folded Reload
	s_waitcnt vmcnt(0)
	v_add_co_u32 v125, vcc_lo, v125, s12
	scratch_store_b32 off, v125, off offset:8 ; 4-byte Folded Spill
	scratch_load_b32 v125, off, off offset:12 ; 4-byte Folded Reload
	s_waitcnt vmcnt(0)
	v_add_co_ci_u32_e32 v125, vcc_lo, s13, v125, vcc_lo
	scratch_store_b32 off, v125, off offset:12 ; 4-byte Folded Spill
	scratch_load_b32 v125, off, off offset:16 ; 4-byte Folded Reload
	s_waitcnt vmcnt(0)
	v_add_co_u32 v125, vcc_lo, v125, s12
	scratch_store_b32 off, v125, off offset:16 ; 4-byte Folded Spill
	scratch_load_b32 v125, off, off offset:20 ; 4-byte Folded Reload
	s_waitcnt vmcnt(0)
	v_add_co_ci_u32_e32 v125, vcc_lo, s13, v125, vcc_lo
	scratch_store_b32 off, v125, off offset:20 ; 4-byte Folded Spill
	;; [unrolled: 8-line block ×20, first 2 shown]
	scratch_load_b32 v125, off, off offset:168 ; 4-byte Folded Reload
	s_waitcnt vmcnt(0)
	v_add_co_u32 v125, vcc_lo, v125, s12
	v_add_co_ci_u32_e32 v180, vcc_lo, s13, v180, vcc_lo
	v_add_co_u32 v181, vcc_lo, v181, s12
	v_add_co_ci_u32_e32 v182, vcc_lo, s13, v182, vcc_lo
	;; [unrolled: 2-line block ×42, first 2 shown]
	s_and_b32 vcc_lo, exec_lo, s9
	scratch_store_b32 off, v125, off offset:168 ; 4-byte Folded Spill
	s_cbranch_vccnz .LBB189_219
; %bb.218:                              ;   in Loop: Header=BB189_145 Depth=1
	v_mov_b32_e32 v145, v144
	s_branch .LBB189_145
.LBB189_219:
	scratch_load_b32 v207, off, off offset:296 ; 4-byte Folded Reload
.LBB189_220:
	s_waitcnt vmcnt(0)
	v_and_b32_e32 v0, 0x3ff, v207
	s_mov_b32 s15, 0
	s_delay_alu instid0(SALU_CYCLE_1)
	s_lshl_b64 s[6:7], s[14:15], 6
	s_waitcnt lgkmcnt(0)
	s_cmp_lg_u64 s[4:5], 0
	v_or_b32_e32 v1, s6, v0
	v_mov_b32_e32 v2, s7
	s_cselect_b32 s3, -1, 0
	s_delay_alu instid0(VALU_DEP_1) | instskip(SKIP_1) | instid1(SALU_CYCLE_1)
	v_cmp_gt_i64_e32 vcc_lo, s[18:19], v[1:2]
	s_and_b32 s3, vcc_lo, s3
	s_and_saveexec_b32 s6, s3
	s_cbranch_execz .LBB189_222
; %bb.221:
	s_load_b32 s0, s[0:1], 0x4c
	v_bfe_u32 v3, v207, 10, 10
	v_mov_b32_e32 v4, 0
	s_waitcnt lgkmcnt(0)
	s_lshr_b32 s0, s0, 16
	s_delay_alu instid0(VALU_DEP_1) | instid1(SALU_CYCLE_1)
	v_mad_u64_u32 v[5:6], null, s0, s2, v[3:4]
	s_delay_alu instid0(VALU_DEP_1) | instskip(NEXT) | instid1(VALU_DEP_2)
	v_mul_lo_u32 v0, v6, s18
	v_mul_lo_u32 v6, v5, s19
	v_mad_u64_u32 v[3:4], null, v5, s18, 0
	v_bfe_u32 v5, v144, 16, 1
	s_delay_alu instid0(VALU_DEP_1) | instskip(NEXT) | instid1(VALU_DEP_3)
	v_add3_u32 v5, v144, v5, 0x7fff
	v_add3_u32 v4, v4, v6, v0
	v_lshlrev_b64 v[0:1], 1, v[1:2]
	s_delay_alu instid0(VALU_DEP_3) | instskip(NEXT) | instid1(VALU_DEP_3)
	v_lshrrev_b32_e32 v2, 16, v5
	v_lshlrev_b64 v[3:4], 1, v[3:4]
	s_delay_alu instid0(VALU_DEP_1) | instskip(NEXT) | instid1(VALU_DEP_2)
	v_add_co_u32 v3, vcc_lo, s4, v3
	v_add_co_ci_u32_e32 v4, vcc_lo, s5, v4, vcc_lo
	v_cmp_o_f32_e32 vcc_lo, v144, v144
	v_cndmask_b32_e32 v2, 0x7fc0, v2, vcc_lo
	s_delay_alu instid0(VALU_DEP_4) | instskip(NEXT) | instid1(VALU_DEP_4)
	v_add_co_u32 v0, vcc_lo, v3, v0
	v_add_co_ci_u32_e32 v1, vcc_lo, v4, v1, vcc_lo
	global_store_b16 v[0:1], v2, off
.LBB189_222:
	s_endpgm
	.section	.rodata,"a",@progbits
	.p2align	6, 0x0
	.amdhsa_kernel _ZN2at6native12_GLOBAL__N_135GammaBetaBackwardCUDAKernelTemplateIN3c108BFloat16EfLj64ELj1ELj32ELb1ELb0ELb1EEEvllPKT_S7_PKT0_SA_PS5_SB_
		.amdhsa_group_segment_fixed_size 0
		.amdhsa_private_segment_fixed_size 304
		.amdhsa_kernarg_size 320
		.amdhsa_user_sgpr_count 14
		.amdhsa_user_sgpr_dispatch_ptr 0
		.amdhsa_user_sgpr_queue_ptr 0
		.amdhsa_user_sgpr_kernarg_segment_ptr 1
		.amdhsa_user_sgpr_dispatch_id 0
		.amdhsa_user_sgpr_private_segment_size 0
		.amdhsa_wavefront_size32 1
		.amdhsa_uses_dynamic_stack 0
		.amdhsa_enable_private_segment 1
		.amdhsa_system_sgpr_workgroup_id_x 1
		.amdhsa_system_sgpr_workgroup_id_y 1
		.amdhsa_system_sgpr_workgroup_id_z 0
		.amdhsa_system_sgpr_workgroup_info 0
		.amdhsa_system_vgpr_workitem_id 1
		.amdhsa_next_free_vgpr 256
		.amdhsa_next_free_sgpr 30
		.amdhsa_reserve_vcc 1
		.amdhsa_float_round_mode_32 0
		.amdhsa_float_round_mode_16_64 0
		.amdhsa_float_denorm_mode_32 3
		.amdhsa_float_denorm_mode_16_64 3
		.amdhsa_dx10_clamp 1
		.amdhsa_ieee_mode 1
		.amdhsa_fp16_overflow 0
		.amdhsa_workgroup_processor_mode 1
		.amdhsa_memory_ordered 1
		.amdhsa_forward_progress 0
		.amdhsa_shared_vgpr_count 0
		.amdhsa_exception_fp_ieee_invalid_op 0
		.amdhsa_exception_fp_denorm_src 0
		.amdhsa_exception_fp_ieee_div_zero 0
		.amdhsa_exception_fp_ieee_overflow 0
		.amdhsa_exception_fp_ieee_underflow 0
		.amdhsa_exception_fp_ieee_inexact 0
		.amdhsa_exception_int_div_zero 0
	.end_amdhsa_kernel
	.section	.text._ZN2at6native12_GLOBAL__N_135GammaBetaBackwardCUDAKernelTemplateIN3c108BFloat16EfLj64ELj1ELj32ELb1ELb0ELb1EEEvllPKT_S7_PKT0_SA_PS5_SB_,"axG",@progbits,_ZN2at6native12_GLOBAL__N_135GammaBetaBackwardCUDAKernelTemplateIN3c108BFloat16EfLj64ELj1ELj32ELb1ELb0ELb1EEEvllPKT_S7_PKT0_SA_PS5_SB_,comdat
.Lfunc_end189:
	.size	_ZN2at6native12_GLOBAL__N_135GammaBetaBackwardCUDAKernelTemplateIN3c108BFloat16EfLj64ELj1ELj32ELb1ELb0ELb1EEEvllPKT_S7_PKT0_SA_PS5_SB_, .Lfunc_end189-_ZN2at6native12_GLOBAL__N_135GammaBetaBackwardCUDAKernelTemplateIN3c108BFloat16EfLj64ELj1ELj32ELb1ELb0ELb1EEEvllPKT_S7_PKT0_SA_PS5_SB_
                                        ; -- End function
	.section	.AMDGPU.csdata,"",@progbits
; Kernel info:
; codeLenInByte = 27356
; NumSgprs: 32
; NumVgprs: 256
; ScratchSize: 304
; MemoryBound: 0
; FloatMode: 240
; IeeeMode: 1
; LDSByteSize: 0 bytes/workgroup (compile time only)
; SGPRBlocks: 3
; VGPRBlocks: 31
; NumSGPRsForWavesPerEU: 32
; NumVGPRsForWavesPerEU: 256
; Occupancy: 5
; WaveLimiterHint : 0
; COMPUTE_PGM_RSRC2:SCRATCH_EN: 1
; COMPUTE_PGM_RSRC2:USER_SGPR: 14
; COMPUTE_PGM_RSRC2:TRAP_HANDLER: 0
; COMPUTE_PGM_RSRC2:TGID_X_EN: 1
; COMPUTE_PGM_RSRC2:TGID_Y_EN: 1
; COMPUTE_PGM_RSRC2:TGID_Z_EN: 0
; COMPUTE_PGM_RSRC2:TIDIG_COMP_CNT: 1
	.section	.text._ZN2at6native12_GLOBAL__N_135GammaBetaBackwardCUDAKernelTemplateIN3c108BFloat16EfLj64ELj1ELj8ELb1ELb1ELb1EEEvllPKT_S7_PKT0_SA_PS5_SB_,"axG",@progbits,_ZN2at6native12_GLOBAL__N_135GammaBetaBackwardCUDAKernelTemplateIN3c108BFloat16EfLj64ELj1ELj8ELb1ELb1ELb1EEEvllPKT_S7_PKT0_SA_PS5_SB_,comdat
	.globl	_ZN2at6native12_GLOBAL__N_135GammaBetaBackwardCUDAKernelTemplateIN3c108BFloat16EfLj64ELj1ELj8ELb1ELb1ELb1EEEvllPKT_S7_PKT0_SA_PS5_SB_ ; -- Begin function _ZN2at6native12_GLOBAL__N_135GammaBetaBackwardCUDAKernelTemplateIN3c108BFloat16EfLj64ELj1ELj8ELb1ELb1ELb1EEEvllPKT_S7_PKT0_SA_PS5_SB_
	.p2align	8
	.type	_ZN2at6native12_GLOBAL__N_135GammaBetaBackwardCUDAKernelTemplateIN3c108BFloat16EfLj64ELj1ELj8ELb1ELb1ELb1EEEvllPKT_S7_PKT0_SA_PS5_SB_,@function
_ZN2at6native12_GLOBAL__N_135GammaBetaBackwardCUDAKernelTemplateIN3c108BFloat16EfLj64ELj1ELj8ELb1ELb1ELb1EEEvllPKT_S7_PKT0_SA_PS5_SB_: ; @_ZN2at6native12_GLOBAL__N_135GammaBetaBackwardCUDAKernelTemplateIN3c108BFloat16EfLj64ELj1ELj8ELb1ELb1ELb1EEEvllPKT_S7_PKT0_SA_PS5_SB_
; %bb.0:
	s_clause 0x1
	s_load_b128 s[4:7], s[0:1], 0x0
	s_load_b64 s[12:13], s[0:1], 0x30
	s_mov_b32 s17, 0
	s_lshl_b32 s16, s15, 3
	v_mov_b32_e32 v12, 0
	v_bfe_u32 v1, v0, 10, 10
	v_and_b32_e32 v0, 0x3ff, v0
	s_waitcnt lgkmcnt(0)
	v_cmp_ge_i64_e64 s2, s[16:17], s[4:5]
	s_delay_alu instid0(VALU_DEP_1)
	s_and_b32 vcc_lo, exec_lo, s2
	s_cbranch_vccnz .LBB190_7
; %bb.1:
	s_clause 0x3
	s_load_b32 s2, s[0:1], 0x4c
	s_load_b32 s3, s[0:1], 0x44
	s_load_b128 s[8:11], s[0:1], 0x10
	s_load_b64 s[20:21], s[0:1], 0x28
	v_dual_mov_b32 v9, 4 :: v_dual_lshlrev_b32 v4, 3, v1
	v_dual_mov_b32 v8, 8 :: v_dual_mov_b32 v3, 0
	v_lshl_or_b32 v2, s14, 6, v0
	s_delay_alu instid0(VALU_DEP_3) | instskip(NEXT) | instid1(VALU_DEP_1)
	v_add_co_u32 v4, s18, v4, s16
	v_add_co_ci_u32_e64 v5, null, 0, 0, s18
	s_delay_alu instid0(VALU_DEP_3) | instskip(NEXT) | instid1(VALU_DEP_3)
	v_lshlrev_b64 v[16:17], 1, v[2:3]
	v_mul_lo_u32 v12, s7, v4
	v_dual_mov_b32 v10, 12 :: v_dual_mov_b32 v11, 16
	s_delay_alu instid0(VALU_DEP_4)
	v_mul_lo_u32 v18, s6, v5
	v_dual_mov_b32 v13, 20 :: v_dual_mov_b32 v14, 24
	s_waitcnt lgkmcnt(0)
	s_and_b32 s2, s2, 0xffff
	s_lshl_b32 s18, s3, 3
	v_mad_u32_u24 v6, v1, s2, v0
	s_mul_i32 s3, s7, s18
	s_mul_hi_u32 s22, s6, s18
	s_mov_b32 s19, s17
	s_add_i32 s23, s22, s3
	v_dual_mov_b32 v15, 28 :: v_dual_and_b32 v22, 31, v6
	v_mad_u64_u32 v[6:7], null, s6, v4, 0
	s_mul_i32 s22, s6, s18
	s_delay_alu instid0(VALU_DEP_2) | instskip(SKIP_2) | instid1(VALU_DEP_4)
	v_add_co_u32 v4, vcc_lo, v4, v22
	v_add_co_ci_u32_e32 v5, vcc_lo, 0, v5, vcc_lo
	v_cmp_gt_u32_e64 s2, 8, v22
	v_add3_u32 v7, v7, v18, v12
	v_mov_b32_e32 v12, 0
	s_delay_alu instid0(VALU_DEP_4) | instskip(SKIP_3) | instid1(VALU_DEP_2)
	v_lshlrev_b64 v[18:19], 2, v[4:5]
	s_lshl_b64 s[22:23], s[22:23], 1
	s_lshl_b64 s[24:25], s[6:7], 1
	v_lshlrev_b64 v[20:21], 1, v[6:7]
	v_add_co_u32 v6, vcc_lo, s20, v18
	s_delay_alu instid0(VALU_DEP_3) | instskip(NEXT) | instid1(VALU_DEP_3)
	v_add_co_ci_u32_e32 v7, vcc_lo, s21, v19, vcc_lo
	v_add_co_u32 v2, vcc_lo, v20, v16
	s_delay_alu instid0(VALU_DEP_4)
	v_add_co_ci_u32_e32 v16, vcc_lo, v21, v17, vcc_lo
	s_lshl_b64 s[20:21], s[18:19], 2
	s_branch .LBB190_4
.LBB190_2:                              ;   in Loop: Header=BB190_4 Depth=1
	s_or_b32 exec_lo, exec_lo, s19
.LBB190_3:                              ;   in Loop: Header=BB190_4 Depth=1
	s_delay_alu instid0(SALU_CYCLE_1)
	s_or_b32 exec_lo, exec_lo, s3
	v_add_co_u32 v18, vcc_lo, s8, v2
	v_add_co_ci_u32_e32 v19, vcc_lo, s9, v16, vcc_lo
	v_add_co_u32 v20, vcc_lo, s10, v2
	v_add_co_ci_u32_e32 v21, vcc_lo, s11, v16, vcc_lo
	global_load_u16 v28, v[18:19], off
	v_add_co_u32 v18, vcc_lo, v18, s24
	v_add_co_ci_u32_e32 v19, vcc_lo, s25, v19, vcc_lo
	v_add_co_u32 v22, vcc_lo, v20, s24
	v_add_co_ci_u32_e32 v23, vcc_lo, s25, v21, vcc_lo
	s_delay_alu instid0(VALU_DEP_4) | instskip(NEXT) | instid1(VALU_DEP_4)
	v_add_co_u32 v24, vcc_lo, v18, s24
	v_add_co_ci_u32_e32 v25, vcc_lo, s25, v19, vcc_lo
	s_delay_alu instid0(VALU_DEP_4) | instskip(NEXT) | instid1(VALU_DEP_4)
	v_add_co_u32 v26, vcc_lo, v22, s24
	v_add_co_ci_u32_e32 v27, vcc_lo, s25, v23, vcc_lo
	global_load_u16 v29, v[20:21], off
	global_load_u16 v30, v[18:19], off
	;; [unrolled: 1-line block ×5, first 2 shown]
	v_add_co_u32 v18, vcc_lo, v24, s24
	v_add_co_ci_u32_e32 v19, vcc_lo, s25, v25, vcc_lo
	v_add_co_u32 v20, vcc_lo, v26, s24
	v_add_co_ci_u32_e32 v21, vcc_lo, s25, v27, vcc_lo
	global_load_u16 v34, v[18:19], off
	v_add_co_u32 v18, vcc_lo, v18, s24
	v_add_co_ci_u32_e32 v19, vcc_lo, s25, v19, vcc_lo
	v_add_co_u32 v22, vcc_lo, v20, s24
	v_add_co_ci_u32_e32 v23, vcc_lo, s25, v21, vcc_lo
	s_delay_alu instid0(VALU_DEP_4) | instskip(NEXT) | instid1(VALU_DEP_4)
	v_add_co_u32 v24, vcc_lo, v18, s24
	v_add_co_ci_u32_e32 v25, vcc_lo, s25, v19, vcc_lo
	s_delay_alu instid0(VALU_DEP_4) | instskip(NEXT) | instid1(VALU_DEP_4)
	v_add_co_u32 v26, vcc_lo, v22, s24
	v_add_co_ci_u32_e32 v27, vcc_lo, s25, v23, vcc_lo
	global_load_u16 v35, v[20:21], off
	global_load_u16 v36, v[18:19], off
	;; [unrolled: 1-line block ×5, first 2 shown]
	v_add_co_u32 v18, vcc_lo, v26, s24
	v_add_co_ci_u32_e32 v19, vcc_lo, s25, v27, vcc_lo
	v_add_co_u32 v20, vcc_lo, v24, s24
	v_add_co_ci_u32_e32 v21, vcc_lo, s25, v25, vcc_lo
	global_load_u16 v24, v[18:19], off
	v_add_co_u32 v18, vcc_lo, v18, s24
	v_add_co_ci_u32_e32 v19, vcc_lo, s25, v19, vcc_lo
	v_add_co_u32 v22, vcc_lo, v20, s24
	v_add_co_ci_u32_e32 v23, vcc_lo, s25, v21, vcc_lo
	global_load_u16 v20, v[20:21], off
	global_load_u16 v18, v[18:19], off
	global_load_u16 v19, v[22:23], off
	s_waitcnt vmcnt(16)
	ds_bpermute_b32 v21, v3, v17
	ds_bpermute_b32 v22, v9, v17
	;; [unrolled: 1-line block ×3, first 2 shown]
	v_add_co_u32 v6, vcc_lo, v6, s20
	s_add_u32 s16, s16, s18
	v_add_co_ci_u32_e32 v7, vcc_lo, s21, v7, vcc_lo
	s_addc_u32 s17, s17, 0
	v_add_co_u32 v4, vcc_lo, v4, s18
	v_add_co_ci_u32_e32 v5, vcc_lo, 0, v5, vcc_lo
	v_cmp_lt_i64_e64 s3, s[16:17], s[4:5]
	v_add_co_u32 v2, vcc_lo, v2, s22
	v_add_co_ci_u32_e32 v16, vcc_lo, s23, v16, vcc_lo
	s_delay_alu instid0(VALU_DEP_3)
	s_and_b32 vcc_lo, exec_lo, s3
	s_waitcnt vmcnt(15)
	v_lshlrev_b32_e32 v25, 16, v28
	ds_bpermute_b32 v28, v10, v17
	s_waitcnt vmcnt(14)
	v_lshlrev_b32_e32 v23, 16, v29
	s_waitcnt vmcnt(12)
	v_lshlrev_b32_e32 v27, 16, v31
	s_delay_alu instid0(VALU_DEP_2) | instskip(SKIP_1) | instid1(VALU_DEP_1)
	v_mul_f32_e32 v23, v25, v23
	s_waitcnt lgkmcnt(3)
	v_dual_fmac_f32 v12, v23, v21 :: v_dual_lshlrev_b32 v25, 16, v30
	s_delay_alu instid0(VALU_DEP_1)
	v_mul_f32_e32 v21, v25, v27
	ds_bpermute_b32 v25, v11, v17
	s_waitcnt vmcnt(11)
	v_lshlrev_b32_e32 v23, 16, v32
	ds_bpermute_b32 v27, v13, v17
	s_waitcnt vmcnt(10) lgkmcnt(4)
	v_dual_fmac_f32 v12, v21, v22 :: v_dual_lshlrev_b32 v29, 16, v33
	s_waitcnt vmcnt(9)
	s_delay_alu instid0(VALU_DEP_1)
	v_dual_mul_f32 v21, v23, v29 :: v_dual_lshlrev_b32 v22, 16, v34
	ds_bpermute_b32 v23, v14, v17
	ds_bpermute_b32 v17, v15, v17
	s_waitcnt lgkmcnt(5)
	v_fmac_f32_e32 v12, v21, v26
	s_waitcnt vmcnt(8)
	v_lshlrev_b32_e32 v30, 16, v35
	s_waitcnt vmcnt(4)
	s_delay_alu instid0(VALU_DEP_1) | instskip(SKIP_2) | instid1(VALU_DEP_2)
	v_dual_mul_f32 v21, v22, v30 :: v_dual_lshlrev_b32 v26, 16, v39
	v_lshlrev_b32_e32 v22, 16, v36
	s_waitcnt lgkmcnt(4)
	v_fmac_f32_e32 v12, v21, v28
	s_waitcnt vmcnt(2)
	v_lshlrev_b32_e32 v20, 16, v20
	v_lshlrev_b32_e32 v29, 16, v37
	;; [unrolled: 1-line block ×3, first 2 shown]
	s_waitcnt vmcnt(1)
	s_delay_alu instid0(VALU_DEP_2) | instskip(SKIP_2) | instid1(VALU_DEP_2)
	v_dual_mul_f32 v21, v22, v29 :: v_dual_lshlrev_b32 v18, 16, v18
	v_lshlrev_b32_e32 v22, 16, v24
	s_waitcnt lgkmcnt(3)
	v_dual_fmac_f32 v12, v21, v25 :: v_dual_mul_f32 v21, v30, v26
	s_delay_alu instid0(VALU_DEP_2) | instskip(SKIP_1) | instid1(VALU_DEP_2)
	v_mul_f32_e32 v20, v20, v22
	s_waitcnt lgkmcnt(2)
	v_fmac_f32_e32 v12, v21, v27
	s_waitcnt lgkmcnt(1)
	s_delay_alu instid0(VALU_DEP_1) | instskip(SKIP_2) | instid1(VALU_DEP_1)
	v_fmac_f32_e32 v12, v20, v23
	s_waitcnt vmcnt(0)
	v_lshlrev_b32_e32 v19, 16, v19
	v_mul_f32_e32 v18, v19, v18
	s_waitcnt lgkmcnt(0)
	s_delay_alu instid0(VALU_DEP_1)
	v_fmac_f32_e32 v12, v18, v17
	s_cbranch_vccz .LBB190_7
.LBB190_4:                              ; =>This Inner Loop Header: Depth=1
	v_mov_b32_e32 v17, 0
	s_and_saveexec_b32 s3, s2
	s_cbranch_execz .LBB190_3
; %bb.5:                                ;   in Loop: Header=BB190_4 Depth=1
	v_mov_b32_e32 v17, 0
	s_mov_b32 s19, exec_lo
	v_cmpx_gt_i64_e64 s[4:5], v[4:5]
	s_cbranch_execz .LBB190_2
; %bb.6:                                ;   in Loop: Header=BB190_4 Depth=1
	global_load_b32 v17, v[6:7], off
	s_branch .LBB190_2
.LBB190_7:
	s_cmp_eq_u64 s[12:13], 0
	s_cbranch_scc1 .LBB190_9
; %bb.8:
	s_load_b32 s0, s[0:1], 0x4c
	v_mov_b32_e32 v2, 0
	s_waitcnt lgkmcnt(0)
	s_lshr_b32 s0, s0, 16
	s_delay_alu instid0(VALU_DEP_1) | instid1(SALU_CYCLE_1)
	v_mad_u64_u32 v[3:4], null, s0, s15, v[1:2]
	s_mov_b32 s15, 0
	s_delay_alu instid0(SALU_CYCLE_1) | instskip(NEXT) | instid1(SALU_CYCLE_1)
	s_lshl_b64 s[0:1], s[14:15], 7
	s_add_u32 s0, s0, s12
	s_addc_u32 s1, s1, s13
	s_delay_alu instid0(VALU_DEP_1) | instskip(NEXT) | instid1(VALU_DEP_2)
	v_mul_lo_u32 v4, v4, s6
	v_mul_lo_u32 v5, v3, s7
	v_mad_u64_u32 v[1:2], null, v3, s6, 0
	v_bfe_u32 v3, v12, 16, 1
	s_delay_alu instid0(VALU_DEP_1) | instskip(NEXT) | instid1(VALU_DEP_3)
	v_add3_u32 v3, v12, v3, 0x7fff
	v_add3_u32 v2, v2, v5, v4
	v_lshlrev_b32_e32 v4, 1, v0
	s_delay_alu instid0(VALU_DEP_2) | instskip(NEXT) | instid1(VALU_DEP_4)
	v_lshlrev_b64 v[0:1], 1, v[1:2]
	v_lshrrev_b32_e32 v2, 16, v3
	s_delay_alu instid0(VALU_DEP_2) | instskip(NEXT) | instid1(VALU_DEP_3)
	v_add_co_u32 v0, vcc_lo, s0, v0
	v_add_co_ci_u32_e32 v1, vcc_lo, s1, v1, vcc_lo
	v_cmp_o_f32_e32 vcc_lo, v12, v12
	s_delay_alu instid0(VALU_DEP_4) | instskip(NEXT) | instid1(VALU_DEP_4)
	v_cndmask_b32_e32 v2, 0x7fc0, v2, vcc_lo
	v_add_co_u32 v0, vcc_lo, v0, v4
	s_delay_alu instid0(VALU_DEP_4)
	v_add_co_ci_u32_e32 v1, vcc_lo, 0, v1, vcc_lo
	global_store_b16 v[0:1], v2, off
.LBB190_9:
	s_nop 0
	s_sendmsg sendmsg(MSG_DEALLOC_VGPRS)
	s_endpgm
	.section	.rodata,"a",@progbits
	.p2align	6, 0x0
	.amdhsa_kernel _ZN2at6native12_GLOBAL__N_135GammaBetaBackwardCUDAKernelTemplateIN3c108BFloat16EfLj64ELj1ELj8ELb1ELb1ELb1EEEvllPKT_S7_PKT0_SA_PS5_SB_
		.amdhsa_group_segment_fixed_size 0
		.amdhsa_private_segment_fixed_size 0
		.amdhsa_kernarg_size 320
		.amdhsa_user_sgpr_count 14
		.amdhsa_user_sgpr_dispatch_ptr 0
		.amdhsa_user_sgpr_queue_ptr 0
		.amdhsa_user_sgpr_kernarg_segment_ptr 1
		.amdhsa_user_sgpr_dispatch_id 0
		.amdhsa_user_sgpr_private_segment_size 0
		.amdhsa_wavefront_size32 1
		.amdhsa_uses_dynamic_stack 0
		.amdhsa_enable_private_segment 0
		.amdhsa_system_sgpr_workgroup_id_x 1
		.amdhsa_system_sgpr_workgroup_id_y 1
		.amdhsa_system_sgpr_workgroup_id_z 0
		.amdhsa_system_sgpr_workgroup_info 0
		.amdhsa_system_vgpr_workitem_id 1
		.amdhsa_next_free_vgpr 40
		.amdhsa_next_free_sgpr 26
		.amdhsa_reserve_vcc 1
		.amdhsa_float_round_mode_32 0
		.amdhsa_float_round_mode_16_64 0
		.amdhsa_float_denorm_mode_32 3
		.amdhsa_float_denorm_mode_16_64 3
		.amdhsa_dx10_clamp 1
		.amdhsa_ieee_mode 1
		.amdhsa_fp16_overflow 0
		.amdhsa_workgroup_processor_mode 1
		.amdhsa_memory_ordered 1
		.amdhsa_forward_progress 0
		.amdhsa_shared_vgpr_count 0
		.amdhsa_exception_fp_ieee_invalid_op 0
		.amdhsa_exception_fp_denorm_src 0
		.amdhsa_exception_fp_ieee_div_zero 0
		.amdhsa_exception_fp_ieee_overflow 0
		.amdhsa_exception_fp_ieee_underflow 0
		.amdhsa_exception_fp_ieee_inexact 0
		.amdhsa_exception_int_div_zero 0
	.end_amdhsa_kernel
	.section	.text._ZN2at6native12_GLOBAL__N_135GammaBetaBackwardCUDAKernelTemplateIN3c108BFloat16EfLj64ELj1ELj8ELb1ELb1ELb1EEEvllPKT_S7_PKT0_SA_PS5_SB_,"axG",@progbits,_ZN2at6native12_GLOBAL__N_135GammaBetaBackwardCUDAKernelTemplateIN3c108BFloat16EfLj64ELj1ELj8ELb1ELb1ELb1EEEvllPKT_S7_PKT0_SA_PS5_SB_,comdat
.Lfunc_end190:
	.size	_ZN2at6native12_GLOBAL__N_135GammaBetaBackwardCUDAKernelTemplateIN3c108BFloat16EfLj64ELj1ELj8ELb1ELb1ELb1EEEvllPKT_S7_PKT0_SA_PS5_SB_, .Lfunc_end190-_ZN2at6native12_GLOBAL__N_135GammaBetaBackwardCUDAKernelTemplateIN3c108BFloat16EfLj64ELj1ELj8ELb1ELb1ELb1EEEvllPKT_S7_PKT0_SA_PS5_SB_
                                        ; -- End function
	.section	.AMDGPU.csdata,"",@progbits
; Kernel info:
; codeLenInByte = 1328
; NumSgprs: 28
; NumVgprs: 40
; ScratchSize: 0
; MemoryBound: 0
; FloatMode: 240
; IeeeMode: 1
; LDSByteSize: 0 bytes/workgroup (compile time only)
; SGPRBlocks: 3
; VGPRBlocks: 4
; NumSGPRsForWavesPerEU: 28
; NumVGPRsForWavesPerEU: 40
; Occupancy: 16
; WaveLimiterHint : 0
; COMPUTE_PGM_RSRC2:SCRATCH_EN: 0
; COMPUTE_PGM_RSRC2:USER_SGPR: 14
; COMPUTE_PGM_RSRC2:TRAP_HANDLER: 0
; COMPUTE_PGM_RSRC2:TGID_X_EN: 1
; COMPUTE_PGM_RSRC2:TGID_Y_EN: 1
; COMPUTE_PGM_RSRC2:TGID_Z_EN: 0
; COMPUTE_PGM_RSRC2:TIDIG_COMP_CNT: 1
	.section	.text._ZN2at6native12_GLOBAL__N_135GammaBetaBackwardCUDAKernelTemplateIN3c108BFloat16EfLj64ELj1ELj8ELb1ELb0ELb1EEEvllPKT_S7_PKT0_SA_PS5_SB_,"axG",@progbits,_ZN2at6native12_GLOBAL__N_135GammaBetaBackwardCUDAKernelTemplateIN3c108BFloat16EfLj64ELj1ELj8ELb1ELb0ELb1EEEvllPKT_S7_PKT0_SA_PS5_SB_,comdat
	.globl	_ZN2at6native12_GLOBAL__N_135GammaBetaBackwardCUDAKernelTemplateIN3c108BFloat16EfLj64ELj1ELj8ELb1ELb0ELb1EEEvllPKT_S7_PKT0_SA_PS5_SB_ ; -- Begin function _ZN2at6native12_GLOBAL__N_135GammaBetaBackwardCUDAKernelTemplateIN3c108BFloat16EfLj64ELj1ELj8ELb1ELb0ELb1EEEvllPKT_S7_PKT0_SA_PS5_SB_
	.p2align	8
	.type	_ZN2at6native12_GLOBAL__N_135GammaBetaBackwardCUDAKernelTemplateIN3c108BFloat16EfLj64ELj1ELj8ELb1ELb0ELb1EEEvllPKT_S7_PKT0_SA_PS5_SB_,@function
_ZN2at6native12_GLOBAL__N_135GammaBetaBackwardCUDAKernelTemplateIN3c108BFloat16EfLj64ELj1ELj8ELb1ELb0ELb1EEEvllPKT_S7_PKT0_SA_PS5_SB_: ; @_ZN2at6native12_GLOBAL__N_135GammaBetaBackwardCUDAKernelTemplateIN3c108BFloat16EfLj64ELj1ELj8ELb1ELb0ELb1EEEvllPKT_S7_PKT0_SA_PS5_SB_
; %bb.0:
	s_clause 0x1
	s_load_b256 s[16:23], s[0:1], 0x0
	s_load_b64 s[12:13], s[0:1], 0x28
	s_mov_b32 s2, s15
	s_lshl_b32 s15, s14, 6
	s_mov_b32 s35, 0
	s_or_b32 s34, s15, 63
	s_waitcnt lgkmcnt(0)
	v_cmp_ge_i64_e64 s3, s[34:35], s[18:19]
	s_lshl_b32 s34, s2, 3
	s_delay_alu instid0(SALU_CYCLE_1) | instskip(NEXT) | instid1(VALU_DEP_2)
	v_cmp_lt_i64_e64 s33, s[34:35], s[16:17]
	s_and_b32 vcc_lo, exec_lo, s3
	s_delay_alu instid0(VALU_DEP_1) | instskip(NEXT) | instid1(VALU_DEP_1)
	v_cndmask_b32_e64 v1, 0, 1, s33
	v_cmp_ne_u32_e64 s3, 1, v1
	s_cbranch_vccz .LBB191_49
; %bb.1:
	v_mov_b32_e32 v3, 0
	s_delay_alu instid0(VALU_DEP_2)
	s_and_b32 vcc_lo, exec_lo, s3
	s_cbranch_vccnz .LBB191_50
; %bb.2:
	v_bfe_u32 v29, v0, 10, 10
	s_load_b32 s4, s[0:1], 0x44
	v_dual_mov_b32 v2, 0 :: v_dual_and_b32 v31, 0x3ff, v0
	s_add_u32 s6, s0, 64
	s_delay_alu instid0(VALU_DEP_2) | instskip(NEXT) | instid1(VALU_DEP_2)
	v_dual_mov_b32 v65, 0 :: v_dual_lshlrev_b32 v30, 3, v29
	v_dual_mov_b32 v32, v2 :: v_dual_add_nc_u32 v1, s15, v31
	s_addc_u32 s7, s1, 0
	s_delay_alu instid0(VALU_DEP_2) | instskip(NEXT) | instid1(VALU_DEP_1)
	v_add_co_u32 v9, s3, v30, s34
	v_add_co_ci_u32_e64 v10, null, 0, 0, s3
	s_delay_alu instid0(VALU_DEP_3) | instskip(NEXT) | instid1(VALU_DEP_3)
	v_cmp_gt_i64_e64 s3, s[18:19], v[1:2]
	v_add_co_u32 v5, vcc_lo, v9, 7
	s_delay_alu instid0(VALU_DEP_3) | instskip(SKIP_1) | instid1(VALU_DEP_3)
	v_add_co_ci_u32_e32 v3, vcc_lo, 0, v10, vcc_lo
	v_add_co_u32 v8, vcc_lo, v9, 6
	v_mul_lo_u32 v6, s19, v5
	s_delay_alu instid0(VALU_DEP_3)
	v_mul_lo_u32 v7, s18, v3
	v_mad_u64_u32 v[3:4], null, s18, v5, 0
	v_add_co_ci_u32_e32 v5, vcc_lo, 0, v10, vcc_lo
	v_lshlrev_b64 v[25:26], 1, v[1:2]
	v_mul_lo_u32 v1, s19, v8
	s_waitcnt lgkmcnt(0)
	s_lshl_b32 s36, s4, 3
	s_mov_b32 s24, 0
	s_delay_alu instid0(VALU_DEP_4) | instskip(SKIP_3) | instid1(VALU_DEP_3)
	v_add3_u32 v4, v4, v7, v6
	v_mul_lo_u32 v7, s18, v5
	v_mad_u64_u32 v[5:6], null, s18, v8, 0
	s_mul_i32 s4, s19, s36
	v_lshlrev_b64 v[3:4], 1, v[3:4]
	s_mul_hi_u32 s5, s18, s36
	s_mul_i32 s8, s18, s36
	s_add_i32 s9, s5, s4
	s_mov_b64 s[10:11], s[34:35]
	s_delay_alu instid0(VALU_DEP_2) | instskip(SKIP_4) | instid1(VALU_DEP_1)
	v_add3_u32 v6, v6, v7, v1
	v_add_co_u32 v33, vcc_lo, s20, v3
	v_add_co_ci_u32_e32 v34, vcc_lo, s21, v4, vcc_lo
	v_add_co_u32 v1, vcc_lo, v9, 5
	v_add_co_u32 v35, s4, s22, v3
	v_add_co_ci_u32_e64 v36, s4, s23, v4, s4
	v_lshlrev_b64 v[3:4], 1, v[5:6]
	v_add_co_ci_u32_e32 v5, vcc_lo, 0, v10, vcc_lo
	v_add_co_u32 v12, vcc_lo, v9, 4
	v_mul_lo_u32 v11, s19, v1
	s_delay_alu instid0(VALU_DEP_3) | instskip(SKIP_4) | instid1(VALU_DEP_3)
	v_mul_lo_u32 v13, s18, v5
	v_mad_u64_u32 v[5:6], null, s18, v1, 0
	v_add_co_ci_u32_e32 v7, vcc_lo, 0, v10, vcc_lo
	v_mul_lo_u32 v1, s19, v12
	v_add_co_u32 v37, vcc_lo, s20, v3
	v_mul_lo_u32 v14, s18, v7
	v_mad_u64_u32 v[7:8], null, s18, v12, 0
	v_add3_u32 v6, v6, v13, v11
	v_add_co_ci_u32_e32 v38, vcc_lo, s21, v4, vcc_lo
	v_add_co_u32 v39, vcc_lo, s22, v3
	v_add_co_ci_u32_e32 v40, vcc_lo, s23, v4, vcc_lo
	s_delay_alu instid0(VALU_DEP_4) | instskip(SKIP_3) | instid1(VALU_DEP_4)
	v_lshlrev_b64 v[3:4], 1, v[5:6]
	v_add3_u32 v8, v8, v14, v1
	v_add_co_u32 v1, vcc_lo, v9, 3
	v_add_co_ci_u32_e32 v11, vcc_lo, 0, v10, vcc_lo
	v_add_co_u32 v41, vcc_lo, s20, v3
	s_delay_alu instid0(VALU_DEP_4)
	v_lshlrev_b64 v[5:6], 1, v[7:8]
	v_add_co_ci_u32_e32 v42, vcc_lo, s21, v4, vcc_lo
	v_mul_lo_u32 v12, s19, v1
	v_mul_lo_u32 v11, s18, v11
	v_mad_u64_u32 v[7:8], null, s18, v1, 0
	v_add_co_u32 v43, vcc_lo, s22, v3
	v_add_co_ci_u32_e32 v44, vcc_lo, s23, v4, vcc_lo
	v_add_co_u32 v45, vcc_lo, s20, v5
	v_add_co_ci_u32_e32 v46, vcc_lo, s21, v6, vcc_lo
	v_add_co_u32 v1, vcc_lo, v9, 2
	v_add3_u32 v8, v8, v11, v12
	v_add_co_ci_u32_e32 v11, vcc_lo, 0, v10, vcc_lo
	v_add_co_u32 v47, vcc_lo, s22, v5
	v_add_co_ci_u32_e32 v48, vcc_lo, s23, v6, vcc_lo
	v_mul_lo_u32 v12, s19, v1
	s_delay_alu instid0(VALU_DEP_4)
	v_mul_lo_u32 v11, s18, v11
	v_mad_u64_u32 v[5:6], null, s18, v1, 0
	v_lshlrev_b64 v[3:4], 1, v[7:8]
	v_mul_lo_u32 v1, s19, v9
	v_mul_lo_u32 v10, s18, v10
	v_mad_u64_u32 v[7:8], null, s18, v9, 0
	s_mov_b64 s[4:5], 7
	s_delay_alu instid0(VALU_DEP_4)
	v_add_co_u32 v49, vcc_lo, s20, v3
	v_add3_u32 v6, v6, v11, v12
	v_add_co_ci_u32_e32 v50, vcc_lo, s21, v4, vcc_lo
	v_add_co_u32 v51, vcc_lo, s22, v3
	v_add3_u32 v8, v8, v10, v1
	v_add_co_ci_u32_e32 v52, vcc_lo, s23, v4, vcc_lo
	v_lshlrev_b64 v[3:4], 1, v[5:6]
	v_add_co_u32 v5, vcc_lo, v7, s18
	s_delay_alu instid0(VALU_DEP_4) | instskip(SKIP_1) | instid1(VALU_DEP_3)
	v_add_co_ci_u32_e32 v6, vcc_lo, s19, v8, vcc_lo
	s_lshl_b64 s[8:9], s[8:9], 1
	v_add_co_u32 v53, vcc_lo, s20, v3
	s_delay_alu instid0(VALU_DEP_2) | instskip(SKIP_3) | instid1(VALU_DEP_4)
	v_lshlrev_b64 v[5:6], 1, v[5:6]
	v_add_co_ci_u32_e32 v54, vcc_lo, s21, v4, vcc_lo
	v_add_co_u32 v55, vcc_lo, s22, v3
	v_add_co_ci_u32_e32 v56, vcc_lo, s23, v4, vcc_lo
	v_add_co_u32 v57, vcc_lo, s20, v5
	v_lshlrev_b64 v[3:4], 1, v[7:8]
	v_add_co_ci_u32_e32 v58, vcc_lo, s21, v6, vcc_lo
	v_add_co_u32 v59, vcc_lo, s22, v5
	v_add_co_ci_u32_e32 v60, vcc_lo, s23, v6, vcc_lo
	s_delay_alu instid0(VALU_DEP_4)
	v_add_co_u32 v61, vcc_lo, s20, v3
	v_add_co_ci_u32_e32 v62, vcc_lo, s21, v4, vcc_lo
	v_add_co_u32 v63, vcc_lo, s22, v3
	v_add_co_ci_u32_e32 v64, vcc_lo, s23, v4, vcc_lo
.LBB191_3:                              ; =>This Inner Loop Header: Depth=1
	s_add_u32 s26, s34, s4
	s_addc_u32 s27, 0, s5
	v_add_co_u32 v27, vcc_lo, s34, v30
	v_cmp_ge_i64_e64 s25, s[26:27], s[16:17]
	v_add_co_ci_u32_e32 v28, vcc_lo, 0, v32, vcc_lo
	s_delay_alu instid0(VALU_DEP_2)
	s_and_b32 vcc_lo, exec_lo, s25
	s_cbranch_vccz .LBB191_25
; %bb.4:                                ;   in Loop: Header=BB191_3 Depth=1
	s_load_b32 s25, s[6:7], 0xc
	v_mov_b32_e32 v66, 0
	s_waitcnt lgkmcnt(0)
	s_and_b32 s25, s25, 0xffff
	s_delay_alu instid0(SALU_CYCLE_1) | instskip(SKIP_1) | instid1(VALU_DEP_1)
	v_mad_u32_u24 v1, v29, s25, v31
	s_mov_b32 s25, exec_lo
	v_and_b32_e32 v1, 31, v1
	s_delay_alu instid0(VALU_DEP_1)
	v_cmpx_gt_u32_e32 8, v1
	s_cbranch_execz .LBB191_8
; %bb.5:                                ;   in Loop: Header=BB191_3 Depth=1
	v_add_co_u32 v3, vcc_lo, v27, v1
	v_add_co_ci_u32_e32 v4, vcc_lo, 0, v28, vcc_lo
	v_mov_b32_e32 v66, 0
	s_mov_b32 s26, exec_lo
	s_delay_alu instid0(VALU_DEP_2)
	v_cmpx_gt_i64_e64 s[16:17], v[3:4]
	s_cbranch_execz .LBB191_7
; %bb.6:                                ;   in Loop: Header=BB191_3 Depth=1
	v_lshlrev_b64 v[3:4], 2, v[3:4]
	s_delay_alu instid0(VALU_DEP_1) | instskip(NEXT) | instid1(VALU_DEP_2)
	v_add_co_u32 v3, vcc_lo, s12, v3
	v_add_co_ci_u32_e32 v4, vcc_lo, s13, v4, vcc_lo
	global_load_b32 v66, v[3:4], off
.LBB191_7:                              ;   in Loop: Header=BB191_3 Depth=1
	s_or_b32 exec_lo, exec_lo, s26
.LBB191_8:                              ;   in Loop: Header=BB191_3 Depth=1
	s_delay_alu instid0(SALU_CYCLE_1)
	s_or_b32 exec_lo, exec_lo, s25
	s_mov_b32 s30, s24
	s_mov_b32 s31, s24
	;; [unrolled: 1-line block ×7, first 2 shown]
	v_dual_mov_b32 v9, s24 :: v_dual_mov_b32 v10, s25
	v_dual_mov_b32 v15, s30 :: v_dual_mov_b32 v16, s31
	;; [unrolled: 1-line block ×4, first 2 shown]
	v_cmp_gt_i64_e32 vcc_lo, s[16:17], v[27:28]
	s_delay_alu instid0(VALU_DEP_4) | instskip(NEXT) | instid1(VALU_DEP_3)
	v_dual_mov_b32 v24, v16 :: v_dual_mov_b32 v23, v15
	v_dual_mov_b32 v21, v13 :: v_dual_mov_b32 v22, v14
	;; [unrolled: 1-line block ×4, first 2 shown]
	s_and_b32 s26, s3, vcc_lo
	s_delay_alu instid0(SALU_CYCLE_1)
	s_and_saveexec_b32 s25, s26
	s_cbranch_execz .LBB191_10
; %bb.9:                                ;   in Loop: Header=BB191_3 Depth=1
	v_add_co_u32 v3, vcc_lo, v61, v25
	v_add_co_ci_u32_e32 v4, vcc_lo, v62, v26, vcc_lo
	v_add_co_u32 v5, vcc_lo, v63, v25
	v_add_co_ci_u32_e32 v6, vcc_lo, v64, v26, vcc_lo
	v_mov_b32_e32 v8, v2
	global_load_u16 v1, v[3:4], off
	global_load_u16 v9, v[5:6], off
	v_mov_b32_e32 v3, v2
	v_mov_b32_e32 v4, v2
	;; [unrolled: 1-line block ×6, first 2 shown]
	s_waitcnt vmcnt(1)
	v_lshlrev_b32_e32 v1, 16, v1
	s_waitcnt vmcnt(0)
	v_lshlrev_b32_e32 v9, 16, v9
	v_dual_mov_b32 v11, v2 :: v_dual_mov_b32 v24, v8
	v_dual_mov_b32 v10, v2 :: v_dual_mov_b32 v23, v7
	;; [unrolled: 1-line block ×6, first 2 shown]
	v_mov_b32_e32 v22, v6
	v_mov_b32_e32 v18, v2
.LBB191_10:                             ;   in Loop: Header=BB191_3 Depth=1
	s_or_b32 exec_lo, exec_lo, s25
	v_add_co_u32 v3, vcc_lo, v27, 1
	v_add_co_ci_u32_e32 v4, vcc_lo, 0, v28, vcc_lo
	s_delay_alu instid0(VALU_DEP_1) | instskip(SKIP_1) | instid1(SALU_CYCLE_1)
	v_cmp_gt_i64_e32 vcc_lo, s[16:17], v[3:4]
	s_and_b32 s26, s3, vcc_lo
	s_and_saveexec_b32 s25, s26
	s_cbranch_execz .LBB191_12
; %bb.11:                               ;   in Loop: Header=BB191_3 Depth=1
	v_add_co_u32 v3, vcc_lo, v57, v25
	v_add_co_ci_u32_e32 v4, vcc_lo, v58, v26, vcc_lo
	v_add_co_u32 v5, vcc_lo, v59, v25
	v_add_co_ci_u32_e32 v6, vcc_lo, v60, v26, vcc_lo
	global_load_u16 v1, v[3:4], off
	global_load_u16 v3, v[5:6], off
	s_waitcnt vmcnt(1)
	v_lshlrev_b32_e32 v18, 16, v1
	s_waitcnt vmcnt(0)
	v_lshlrev_b32_e32 v10, 16, v3
.LBB191_12:                             ;   in Loop: Header=BB191_3 Depth=1
	s_or_b32 exec_lo, exec_lo, s25
	v_add_co_u32 v3, vcc_lo, v27, 2
	v_add_co_ci_u32_e32 v4, vcc_lo, 0, v28, vcc_lo
	s_delay_alu instid0(VALU_DEP_1) | instskip(SKIP_1) | instid1(SALU_CYCLE_1)
	v_cmp_gt_i64_e32 vcc_lo, s[16:17], v[3:4]
	s_and_b32 s26, s3, vcc_lo
	s_and_saveexec_b32 s25, s26
	s_cbranch_execz .LBB191_14
; %bb.13:                               ;   in Loop: Header=BB191_3 Depth=1
	v_add_co_u32 v3, vcc_lo, v53, v25
	v_add_co_ci_u32_e32 v4, vcc_lo, v54, v26, vcc_lo
	v_add_co_u32 v5, vcc_lo, v55, v25
	v_add_co_ci_u32_e32 v6, vcc_lo, v56, v26, vcc_lo
	global_load_u16 v1, v[3:4], off
	global_load_u16 v3, v[5:6], off
	s_waitcnt vmcnt(1)
	v_lshlrev_b32_e32 v19, 16, v1
	s_waitcnt vmcnt(0)
	v_lshlrev_b32_e32 v11, 16, v3
.LBB191_14:                             ;   in Loop: Header=BB191_3 Depth=1
	;; [unrolled: 20-line block ×7, first 2 shown]
	s_or_b32 exec_lo, exec_lo, s25
	s_waitcnt vmcnt(0)
	ds_bpermute_b32 v1, v2, v66
	ds_bpermute_b32 v4, v2, v66 offset:4
	ds_bpermute_b32 v5, v2, v66 offset:8
	v_mul_f32_e32 v3, v9, v17
	ds_bpermute_b32 v6, v2, v66 offset:12
	v_mul_f32_e32 v7, v10, v18
	ds_bpermute_b32 v8, v2, v66 offset:16
	ds_bpermute_b32 v9, v2, v66 offset:20
	s_waitcnt lgkmcnt(5)
	v_fma_f32 v3, v3, v1, v65
	v_mul_f32_e32 v1, v11, v19
	s_waitcnt lgkmcnt(4)
	s_delay_alu instid0(VALU_DEP_2) | instskip(SKIP_2) | instid1(VALU_DEP_2)
	v_fmac_f32_e32 v3, v7, v4
	v_dual_mul_f32 v4, v12, v20 :: v_dual_mul_f32 v7, v13, v21
	s_waitcnt lgkmcnt(3)
	v_fmac_f32_e32 v3, v1, v5
	ds_bpermute_b32 v5, v2, v66 offset:24
	ds_bpermute_b32 v1, v2, v66 offset:28
	s_waitcnt lgkmcnt(4)
	v_fmac_f32_e32 v3, v4, v6
	s_waitcnt lgkmcnt(3)
	s_delay_alu instid0(VALU_DEP_1) | instskip(SKIP_1) | instid1(VALU_DEP_1)
	v_dual_mul_f32 v4, v14, v22 :: v_dual_fmac_f32 v3, v7, v8
	s_waitcnt lgkmcnt(2)
	v_dual_fmac_f32 v3, v4, v9 :: v_dual_mul_f32 v4, v15, v23
	s_waitcnt lgkmcnt(1)
	s_delay_alu instid0(VALU_DEP_1)
	v_fmac_f32_e32 v3, v4, v5
	s_branch .LBB191_40
.LBB191_25:                             ;   in Loop: Header=BB191_3 Depth=1
                                        ; implicit-def: $vgpr3
                                        ; implicit-def: $vgpr9_vgpr10_vgpr11_vgpr12_vgpr13_vgpr14_vgpr15_vgpr16
                                        ; implicit-def: $vgpr17_vgpr18_vgpr19_vgpr20_vgpr21_vgpr22_vgpr23_vgpr24
                                        ; implicit-def: $vgpr1
	s_cbranch_execz .LBB191_40
; %bb.26:                               ;   in Loop: Header=BB191_3 Depth=1
	s_load_b32 s25, s[6:7], 0x0
	v_mov_b32_e32 v66, 0
	s_waitcnt lgkmcnt(0)
	s_cmp_lt_u32 s14, s25
	s_cselect_b32 s25, 12, 18
	s_delay_alu instid0(SALU_CYCLE_1)
	s_add_u32 s26, s6, s25
	s_addc_u32 s27, s7, 0
	s_mov_b32 s25, exec_lo
	global_load_u16 v1, v2, s[26:27]
	s_waitcnt vmcnt(0)
	v_mad_u32_u24 v1, v29, v1, v31
	s_delay_alu instid0(VALU_DEP_1) | instskip(NEXT) | instid1(VALU_DEP_1)
	v_and_b32_e32 v1, 31, v1
	v_cmpx_gt_u32_e32 8, v1
	s_cbranch_execz .LBB191_30
; %bb.27:                               ;   in Loop: Header=BB191_3 Depth=1
	v_add_co_u32 v3, vcc_lo, v27, v1
	v_add_co_ci_u32_e32 v4, vcc_lo, 0, v28, vcc_lo
	v_mov_b32_e32 v66, 0
	s_mov_b32 s26, exec_lo
	s_delay_alu instid0(VALU_DEP_2)
	v_cmpx_gt_i64_e64 s[16:17], v[3:4]
	s_cbranch_execz .LBB191_29
; %bb.28:                               ;   in Loop: Header=BB191_3 Depth=1
	v_lshlrev_b64 v[3:4], 2, v[3:4]
	s_delay_alu instid0(VALU_DEP_1) | instskip(NEXT) | instid1(VALU_DEP_2)
	v_add_co_u32 v3, vcc_lo, s12, v3
	v_add_co_ci_u32_e32 v4, vcc_lo, s13, v4, vcc_lo
	global_load_b32 v66, v[3:4], off
.LBB191_29:                             ;   in Loop: Header=BB191_3 Depth=1
	s_or_b32 exec_lo, exec_lo, s26
.LBB191_30:                             ;   in Loop: Header=BB191_3 Depth=1
	s_delay_alu instid0(SALU_CYCLE_1)
	s_or_b32 exec_lo, exec_lo, s25
	s_mov_b32 s30, s24
	s_mov_b32 s31, s24
	;; [unrolled: 1-line block ×7, first 2 shown]
	v_dual_mov_b32 v9, s24 :: v_dual_mov_b32 v10, s25
	v_dual_mov_b32 v15, s30 :: v_dual_mov_b32 v16, s31
	;; [unrolled: 1-line block ×4, first 2 shown]
	s_delay_alu instid0(VALU_DEP_3) | instskip(NEXT) | instid1(VALU_DEP_3)
	v_dual_mov_b32 v24, v16 :: v_dual_mov_b32 v23, v15
	v_dual_mov_b32 v20, v12 :: v_dual_mov_b32 v19, v11
	s_delay_alu instid0(VALU_DEP_3)
	v_dual_mov_b32 v22, v14 :: v_dual_mov_b32 v21, v13
	v_dual_mov_b32 v18, v10 :: v_dual_mov_b32 v17, v9
	s_and_saveexec_b32 s25, s3
	s_cbranch_execnz .LBB191_42
; %bb.31:                               ;   in Loop: Header=BB191_3 Depth=1
	s_or_b32 exec_lo, exec_lo, s25
	s_and_saveexec_b32 s25, s3
	s_cbranch_execnz .LBB191_43
.LBB191_32:                             ;   in Loop: Header=BB191_3 Depth=1
	s_or_b32 exec_lo, exec_lo, s25
	s_and_saveexec_b32 s25, s3
	s_cbranch_execnz .LBB191_44
.LBB191_33:                             ;   in Loop: Header=BB191_3 Depth=1
	s_or_b32 exec_lo, exec_lo, s25
	s_and_saveexec_b32 s25, s3
	s_cbranch_execnz .LBB191_45
.LBB191_34:                             ;   in Loop: Header=BB191_3 Depth=1
	s_or_b32 exec_lo, exec_lo, s25
	s_and_saveexec_b32 s25, s3
	s_cbranch_execnz .LBB191_46
.LBB191_35:                             ;   in Loop: Header=BB191_3 Depth=1
	s_or_b32 exec_lo, exec_lo, s25
	s_and_saveexec_b32 s25, s3
	s_cbranch_execnz .LBB191_47
.LBB191_36:                             ;   in Loop: Header=BB191_3 Depth=1
	s_or_b32 exec_lo, exec_lo, s25
	s_and_saveexec_b32 s25, s3
	s_cbranch_execnz .LBB191_48
.LBB191_37:                             ;   in Loop: Header=BB191_3 Depth=1
	s_or_b32 exec_lo, exec_lo, s25
	s_and_saveexec_b32 s25, s3
	s_cbranch_execz .LBB191_39
.LBB191_38:                             ;   in Loop: Header=BB191_3 Depth=1
	v_add_co_u32 v3, vcc_lo, v33, v25
	v_add_co_ci_u32_e32 v4, vcc_lo, v34, v26, vcc_lo
	v_add_co_u32 v5, vcc_lo, v35, v25
	v_add_co_ci_u32_e32 v6, vcc_lo, v36, v26, vcc_lo
	global_load_u16 v1, v[3:4], off
	global_load_u16 v3, v[5:6], off
	s_waitcnt vmcnt(1)
	v_lshlrev_b32_e32 v24, 16, v1
	s_waitcnt vmcnt(0)
	v_lshlrev_b32_e32 v16, 16, v3
.LBB191_39:                             ;   in Loop: Header=BB191_3 Depth=1
	s_or_b32 exec_lo, exec_lo, s25
	s_waitcnt vmcnt(0)
	ds_bpermute_b32 v1, v2, v66
	ds_bpermute_b32 v3, v2, v66 offset:4
	ds_bpermute_b32 v4, v2, v66 offset:8
	v_mul_f32_e32 v5, v9, v17
	ds_bpermute_b32 v6, v2, v66 offset:12
	v_mul_f32_e32 v7, v10, v18
	ds_bpermute_b32 v8, v2, v66 offset:16
	s_waitcnt lgkmcnt(4)
	v_fmac_f32_e32 v65, v5, v1
	v_mul_f32_e32 v1, v11, v19
	ds_bpermute_b32 v5, v2, v66 offset:20
	s_waitcnt lgkmcnt(4)
	v_fmac_f32_e32 v65, v7, v3
	v_mul_f32_e32 v3, v12, v20
	s_waitcnt lgkmcnt(3)
	s_delay_alu instid0(VALU_DEP_2)
	v_fmac_f32_e32 v65, v1, v4
	ds_bpermute_b32 v4, v2, v66 offset:24
	v_mul_f32_e32 v1, v13, v21
	s_waitcnt lgkmcnt(3)
	v_fmac_f32_e32 v65, v3, v6
	v_mul_f32_e32 v3, v14, v22
	s_waitcnt lgkmcnt(2)
	s_delay_alu instid0(VALU_DEP_2)
	v_fmac_f32_e32 v65, v1, v8
	ds_bpermute_b32 v1, v2, v66 offset:28
	s_waitcnt lgkmcnt(2)
	v_fmac_f32_e32 v65, v3, v5
	v_mul_f32_e32 v3, v15, v23
	s_waitcnt lgkmcnt(1)
	s_delay_alu instid0(VALU_DEP_1) | instskip(NEXT) | instid1(VALU_DEP_1)
	v_fmac_f32_e32 v65, v3, v4
	v_mov_b32_e32 v3, v65
.LBB191_40:                             ;   in Loop: Header=BB191_3 Depth=1
	v_add_co_u32 v33, vcc_lo, v33, s8
	v_add_co_ci_u32_e32 v34, vcc_lo, s9, v34, vcc_lo
	v_add_co_u32 v35, vcc_lo, v35, s8
	v_add_co_ci_u32_e32 v36, vcc_lo, s9, v36, vcc_lo
	v_add_co_u32 v37, vcc_lo, v37, s8
	v_add_co_ci_u32_e32 v38, vcc_lo, s9, v38, vcc_lo
	v_add_co_u32 v39, vcc_lo, v39, s8
	v_add_co_ci_u32_e32 v40, vcc_lo, s9, v40, vcc_lo
	v_add_co_u32 v41, vcc_lo, v41, s8
	v_add_co_ci_u32_e32 v42, vcc_lo, s9, v42, vcc_lo
	v_add_co_u32 v43, vcc_lo, v43, s8
	v_add_co_ci_u32_e32 v44, vcc_lo, s9, v44, vcc_lo
	v_add_co_u32 v45, vcc_lo, v45, s8
	v_add_co_ci_u32_e32 v46, vcc_lo, s9, v46, vcc_lo
	v_add_co_u32 v47, vcc_lo, v47, s8
	v_add_co_ci_u32_e32 v48, vcc_lo, s9, v48, vcc_lo
	v_add_co_u32 v49, vcc_lo, v49, s8
	v_add_co_ci_u32_e32 v50, vcc_lo, s9, v50, vcc_lo
	v_add_co_u32 v51, vcc_lo, v51, s8
	v_add_co_ci_u32_e32 v52, vcc_lo, s9, v52, vcc_lo
	v_add_co_u32 v53, vcc_lo, v53, s8
	v_add_co_ci_u32_e32 v54, vcc_lo, s9, v54, vcc_lo
	v_add_co_u32 v55, vcc_lo, v55, s8
	v_add_co_ci_u32_e32 v56, vcc_lo, s9, v56, vcc_lo
	v_add_co_u32 v57, vcc_lo, v57, s8
	v_add_co_ci_u32_e32 v58, vcc_lo, s9, v58, vcc_lo
	v_add_co_u32 v59, vcc_lo, v59, s8
	v_add_co_ci_u32_e32 v60, vcc_lo, s9, v60, vcc_lo
	v_add_co_u32 v30, vcc_lo, v30, s36
	s_add_u32 s10, s10, s36
	v_add_co_ci_u32_e32 v32, vcc_lo, 0, v32, vcc_lo
	v_mul_f32_e32 v4, v24, v16
	s_addc_u32 s11, s11, 0
	v_add_co_u32 v61, vcc_lo, v61, s8
	v_add_co_ci_u32_e32 v62, vcc_lo, s9, v62, vcc_lo
	v_cmp_lt_i64_e64 s25, s[10:11], s[16:17]
	v_add_co_u32 v63, vcc_lo, v63, s8
	s_waitcnt lgkmcnt(0)
	v_fmac_f32_e32 v3, v4, v1
	v_add_co_ci_u32_e32 v64, vcc_lo, s9, v64, vcc_lo
	s_add_u32 s4, s4, s36
	s_addc_u32 s5, s5, 0
	s_and_b32 vcc_lo, exec_lo, s25
	s_cbranch_vccz .LBB191_50
; %bb.41:                               ;   in Loop: Header=BB191_3 Depth=1
	v_mov_b32_e32 v65, v3
	s_branch .LBB191_3
.LBB191_42:                             ;   in Loop: Header=BB191_3 Depth=1
	v_add_co_u32 v3, vcc_lo, v61, v25
	v_add_co_ci_u32_e32 v4, vcc_lo, v62, v26, vcc_lo
	v_add_co_u32 v5, vcc_lo, v63, v25
	v_add_co_ci_u32_e32 v6, vcc_lo, v64, v26, vcc_lo
	v_mov_b32_e32 v8, v2
	global_load_u16 v1, v[3:4], off
	global_load_u16 v9, v[5:6], off
	v_mov_b32_e32 v3, v2
	v_mov_b32_e32 v4, v2
	;; [unrolled: 1-line block ×6, first 2 shown]
	s_waitcnt vmcnt(1)
	v_lshlrev_b32_e32 v1, 16, v1
	s_waitcnt vmcnt(0)
	v_lshlrev_b32_e32 v9, 16, v9
	v_dual_mov_b32 v11, v2 :: v_dual_mov_b32 v24, v8
	v_dual_mov_b32 v10, v2 :: v_dual_mov_b32 v23, v7
	;; [unrolled: 1-line block ×6, first 2 shown]
	v_mov_b32_e32 v22, v6
	v_mov_b32_e32 v18, v2
	s_or_b32 exec_lo, exec_lo, s25
	s_and_saveexec_b32 s25, s3
	s_cbranch_execz .LBB191_32
.LBB191_43:                             ;   in Loop: Header=BB191_3 Depth=1
	v_add_co_u32 v3, vcc_lo, v57, v25
	v_add_co_ci_u32_e32 v4, vcc_lo, v58, v26, vcc_lo
	v_add_co_u32 v5, vcc_lo, v59, v25
	v_add_co_ci_u32_e32 v6, vcc_lo, v60, v26, vcc_lo
	global_load_u16 v1, v[3:4], off
	global_load_u16 v3, v[5:6], off
	s_waitcnt vmcnt(1)
	v_lshlrev_b32_e32 v18, 16, v1
	s_waitcnt vmcnt(0)
	v_lshlrev_b32_e32 v10, 16, v3
	s_or_b32 exec_lo, exec_lo, s25
	s_and_saveexec_b32 s25, s3
	s_cbranch_execz .LBB191_33
.LBB191_44:                             ;   in Loop: Header=BB191_3 Depth=1
	v_add_co_u32 v3, vcc_lo, v53, v25
	v_add_co_ci_u32_e32 v4, vcc_lo, v54, v26, vcc_lo
	v_add_co_u32 v5, vcc_lo, v55, v25
	v_add_co_ci_u32_e32 v6, vcc_lo, v56, v26, vcc_lo
	global_load_u16 v1, v[3:4], off
	global_load_u16 v3, v[5:6], off
	s_waitcnt vmcnt(1)
	v_lshlrev_b32_e32 v19, 16, v1
	s_waitcnt vmcnt(0)
	v_lshlrev_b32_e32 v11, 16, v3
	s_or_b32 exec_lo, exec_lo, s25
	s_and_saveexec_b32 s25, s3
	s_cbranch_execz .LBB191_34
.LBB191_45:                             ;   in Loop: Header=BB191_3 Depth=1
	v_add_co_u32 v3, vcc_lo, v49, v25
	v_add_co_ci_u32_e32 v4, vcc_lo, v50, v26, vcc_lo
	v_add_co_u32 v5, vcc_lo, v51, v25
	v_add_co_ci_u32_e32 v6, vcc_lo, v52, v26, vcc_lo
	global_load_u16 v1, v[3:4], off
	global_load_u16 v3, v[5:6], off
	s_waitcnt vmcnt(1)
	v_lshlrev_b32_e32 v20, 16, v1
	s_waitcnt vmcnt(0)
	v_lshlrev_b32_e32 v12, 16, v3
	s_or_b32 exec_lo, exec_lo, s25
	s_and_saveexec_b32 s25, s3
	s_cbranch_execz .LBB191_35
.LBB191_46:                             ;   in Loop: Header=BB191_3 Depth=1
	v_add_co_u32 v3, vcc_lo, v45, v25
	v_add_co_ci_u32_e32 v4, vcc_lo, v46, v26, vcc_lo
	v_add_co_u32 v5, vcc_lo, v47, v25
	v_add_co_ci_u32_e32 v6, vcc_lo, v48, v26, vcc_lo
	global_load_u16 v1, v[3:4], off
	global_load_u16 v3, v[5:6], off
	s_waitcnt vmcnt(1)
	v_lshlrev_b32_e32 v21, 16, v1
	s_waitcnt vmcnt(0)
	v_lshlrev_b32_e32 v13, 16, v3
	s_or_b32 exec_lo, exec_lo, s25
	s_and_saveexec_b32 s25, s3
	s_cbranch_execz .LBB191_36
.LBB191_47:                             ;   in Loop: Header=BB191_3 Depth=1
	v_add_co_u32 v3, vcc_lo, v41, v25
	v_add_co_ci_u32_e32 v4, vcc_lo, v42, v26, vcc_lo
	v_add_co_u32 v5, vcc_lo, v43, v25
	v_add_co_ci_u32_e32 v6, vcc_lo, v44, v26, vcc_lo
	global_load_u16 v1, v[3:4], off
	global_load_u16 v3, v[5:6], off
	s_waitcnt vmcnt(1)
	v_lshlrev_b32_e32 v22, 16, v1
	s_waitcnt vmcnt(0)
	v_lshlrev_b32_e32 v14, 16, v3
	s_or_b32 exec_lo, exec_lo, s25
	s_and_saveexec_b32 s25, s3
	s_cbranch_execz .LBB191_37
.LBB191_48:                             ;   in Loop: Header=BB191_3 Depth=1
	v_add_co_u32 v3, vcc_lo, v37, v25
	v_add_co_ci_u32_e32 v4, vcc_lo, v38, v26, vcc_lo
	v_add_co_u32 v5, vcc_lo, v39, v25
	v_add_co_ci_u32_e32 v6, vcc_lo, v40, v26, vcc_lo
	global_load_u16 v1, v[3:4], off
	global_load_u16 v3, v[5:6], off
	s_waitcnt vmcnt(1)
	v_lshlrev_b32_e32 v23, 16, v1
	s_waitcnt vmcnt(0)
	v_lshlrev_b32_e32 v15, 16, v3
	s_or_b32 exec_lo, exec_lo, s25
	s_and_saveexec_b32 s25, s3
	s_cbranch_execnz .LBB191_38
	s_branch .LBB191_39
.LBB191_49:
                                        ; implicit-def: $vgpr3
	s_load_b64 s[24:25], s[0:1], 0x30
	s_branch .LBB191_51
.LBB191_50:
	s_load_b64 s[24:25], s[0:1], 0x30
	s_cbranch_execnz .LBB191_83
.LBB191_51:
	v_mov_b32_e32 v3, 0
	s_and_not1_b32 vcc_lo, exec_lo, s33
	s_cbranch_vccnz .LBB191_83
; %bb.52:
	v_bfe_u32 v57, v0, 10, 10
	v_mov_b32_e32 v2, 0
	s_add_u32 s26, s0, 64
	s_addc_u32 s27, s1, 0
	s_lshl_b64 s[6:7], s[34:35], 1
	v_lshlrev_b32_e32 v3, 4, v57
	s_load_b32 s3, s[0:1], 0x44
	v_dual_mov_b32 v93, 0 :: v_dual_and_b32 v58, 0x3ff, v0
	v_mov_b32_e32 v60, v2
	s_delay_alu instid0(VALU_DEP_3) | instskip(NEXT) | instid1(VALU_DEP_1)
	v_add_co_u32 v3, s5, v3, s6
	v_add_co_ci_u32_e64 v4, null, 0, s7, s5
	s_delay_alu instid0(VALU_DEP_4) | instskip(NEXT) | instid1(VALU_DEP_3)
	v_add_nc_u32_e32 v1, s15, v58
	v_add_co_u32 v7, vcc_lo, v3, 2
	s_delay_alu instid0(VALU_DEP_3) | instskip(NEXT) | instid1(VALU_DEP_3)
	v_add_co_ci_u32_e32 v5, vcc_lo, 0, v4, vcc_lo
	v_lshlrev_b64 v[27:28], 1, v[1:2]
	v_add_co_u32 v1, vcc_lo, v3, 4
	s_delay_alu instid0(VALU_DEP_3) | instskip(SKIP_3) | instid1(VALU_DEP_3)
	v_mul_lo_u32 v8, s18, v5
	v_add_co_ci_u32_e32 v5, vcc_lo, 0, v4, vcc_lo
	v_add_co_u32 v11, vcc_lo, v3, 6
	v_lshlrev_b32_e32 v59, 3, v57
	v_mul_lo_u32 v10, s18, v5
	v_add_co_ci_u32_e32 v5, vcc_lo, 0, v4, vcc_lo
	v_add_co_u32 v13, vcc_lo, v3, 8
	s_waitcnt lgkmcnt(0)
	s_lshl_b32 s15, s3, 3
	v_add_co_ci_u32_e32 v6, vcc_lo, 0, v4, vcc_lo
	v_add_co_u32 v17, vcc_lo, v3, 10
	s_mul_i32 s3, s19, s15
	s_mul_hi_u32 s5, s18, s15
	v_mul_lo_u32 v14, s18, v5
	v_add_co_ci_u32_e32 v5, vcc_lo, 0, v4, vcc_lo
	s_add_i32 s7, s5, s3
	v_add_co_u32 v19, vcc_lo, v3, 12
	v_add_co_u32 v24, s3, v59, s34
	v_mul_lo_u32 v16, s18, v6
	v_add_co_ci_u32_e32 v6, vcc_lo, 0, v4, vcc_lo
	v_add_co_ci_u32_e64 v55, null, 0, 0, s3
	v_add_co_u32 v56, vcc_lo, v3, 14
	v_mul_lo_u32 v20, s18, v5
	s_delay_alu instid0(VALU_DEP_4) | instskip(SKIP_4) | instid1(VALU_DEP_4)
	v_mul_lo_u32 v22, s18, v6
	v_add_co_ci_u32_e32 v5, vcc_lo, 0, v4, vcc_lo
	v_mul_lo_u32 v6, s19, v24
	v_mul_lo_u32 v41, s18, v55
	v_mad_u64_u32 v[3:4], null, s18, v24, 0
	v_mul_lo_u32 v63, s18, v5
	v_mad_u64_u32 v[25:26], null, s18, v7, s[20:21]
	;; [unrolled: 2-line block ×3, first 2 shown]
	v_add3_u32 v4, v4, v41, v6
	v_mul_lo_u32 v12, s19, v1
	v_mad_u64_u32 v[41:42], null, s18, v7, s[22:23]
	v_mad_u64_u32 v[43:44], null, s18, v1, s[22:23]
	s_delay_alu instid0(VALU_DEP_4) | instskip(SKIP_3) | instid1(VALU_DEP_4)
	v_lshlrev_b64 v[5:6], 1, v[3:4]
	v_mad_u64_u32 v[31:32], null, s18, v11, s[20:21]
	v_mul_lo_u32 v15, s19, v11
	v_mad_u64_u32 v[45:46], null, s18, v11, s[22:23]
	v_add_co_u32 v61, vcc_lo, s20, v5
	v_add_co_ci_u32_e32 v62, vcc_lo, s21, v6, vcc_lo
	v_add_co_u32 v1, vcc_lo, v24, 7
	v_add_co_ci_u32_e32 v7, vcc_lo, 0, v55, vcc_lo
	v_mad_u64_u32 v[33:34], null, s18, v13, s[20:21]
	v_mul_lo_u32 v18, s19, v13
	v_mad_u64_u32 v[47:48], null, s18, v13, s[22:23]
	v_add_co_u32 v13, vcc_lo, v24, 6
	v_add3_u32 v26, v9, v26, v8
	v_add3_u32 v30, v12, v30, v10
	;; [unrolled: 1-line block ×4, first 2 shown]
	v_mul_lo_u32 v11, s19, v1
	v_mul_lo_u32 v12, s18, v7
	v_mad_u64_u32 v[7:8], null, s18, v1, 0
	v_add_co_ci_u32_e32 v9, vcc_lo, 0, v55, vcc_lo
	v_mad_u64_u32 v[39:40], null, s18, v56, s[20:21]
	v_mul_lo_u32 v64, s19, v56
	v_mad_u64_u32 v[53:54], null, s18, v56, s[22:23]
	v_add3_u32 v32, v15, v32, v14
	v_add3_u32 v46, v15, v46, v14
	v_mul_lo_u32 v1, s19, v13
	v_mul_lo_u32 v14, s18, v9
	v_mad_u64_u32 v[9:10], null, s18, v13, 0
	v_add3_u32 v8, v8, v12, v11
	v_add3_u32 v40, v64, v40, v63
	;; [unrolled: 1-line block ×3, first 2 shown]
	v_add_co_u32 v63, vcc_lo, s22, v5
	v_add_co_ci_u32_e32 v64, vcc_lo, s23, v6, vcc_lo
	v_lshlrev_b64 v[5:6], 1, v[7:8]
	v_add3_u32 v10, v10, v14, v1
	v_add_co_u32 v1, vcc_lo, v24, 5
	v_add_co_ci_u32_e32 v11, vcc_lo, 0, v55, vcc_lo
	s_delay_alu instid0(VALU_DEP_4) | instskip(NEXT) | instid1(VALU_DEP_4)
	v_add_co_u32 v65, vcc_lo, s20, v5
	v_lshlrev_b64 v[7:8], 1, v[9:10]
	v_add_co_ci_u32_e32 v66, vcc_lo, s21, v6, vcc_lo
	v_mul_lo_u32 v12, s19, v1
	v_mul_lo_u32 v11, s18, v11
	v_mad_u64_u32 v[9:10], null, s18, v1, 0
	v_add_co_u32 v67, vcc_lo, s22, v5
	v_add_co_ci_u32_e32 v68, vcc_lo, s23, v6, vcc_lo
	v_add_co_u32 v69, vcc_lo, s20, v7
	v_add_co_ci_u32_e32 v70, vcc_lo, s21, v8, vcc_lo
	v_add_co_u32 v1, vcc_lo, v24, 4
	v_add3_u32 v10, v10, v11, v12
	v_add_co_u32 v71, s3, s22, v7
	v_add_co_ci_u32_e32 v7, vcc_lo, 0, v55, vcc_lo
	v_add_co_u32 v12, vcc_lo, v24, 3
	s_delay_alu instid0(VALU_DEP_4)
	v_lshlrev_b64 v[5:6], 1, v[9:10]
	v_add_co_ci_u32_e32 v9, vcc_lo, 0, v55, vcc_lo
	v_add_co_ci_u32_e64 v72, s3, s23, v8, s3
	v_mul_lo_u32 v11, s19, v1
	v_mul_lo_u32 v13, s18, v7
	v_mad_u64_u32 v[7:8], null, s18, v1, 0
	v_mul_lo_u32 v1, s19, v12
	v_mul_lo_u32 v14, s18, v9
	v_mad_u64_u32 v[9:10], null, s18, v12, 0
	v_add_co_u32 v73, vcc_lo, s20, v5
	v_add_co_ci_u32_e32 v74, vcc_lo, s21, v6, vcc_lo
	v_add3_u32 v8, v8, v13, v11
	v_add_co_u32 v75, vcc_lo, s22, v5
	v_add_co_ci_u32_e32 v76, vcc_lo, s23, v6, vcc_lo
	v_add3_u32 v10, v10, v14, v1
	v_add_co_u32 v1, vcc_lo, v24, 2
	v_lshlrev_b64 v[5:6], 1, v[7:8]
	v_add_co_ci_u32_e32 v11, vcc_lo, 0, v55, vcc_lo
	s_delay_alu instid0(VALU_DEP_4) | instskip(NEXT) | instid1(VALU_DEP_4)
	v_lshlrev_b64 v[7:8], 1, v[9:10]
	v_mul_lo_u32 v12, s19, v1
	v_mad_u64_u32 v[9:10], null, s18, v1, 0
	v_add_co_u32 v77, vcc_lo, s20, v5
	v_mul_lo_u32 v11, s18, v11
	v_add_co_ci_u32_e32 v78, vcc_lo, s21, v6, vcc_lo
	v_add_co_u32 v79, vcc_lo, s22, v5
	v_add_co_ci_u32_e32 v80, vcc_lo, s23, v6, vcc_lo
	v_add_co_u32 v81, vcc_lo, s20, v7
	v_add_co_ci_u32_e32 v82, vcc_lo, s21, v8, vcc_lo
	v_add3_u32 v10, v10, v11, v12
	v_add_co_u32 v83, vcc_lo, s22, v7
	v_add_co_ci_u32_e32 v84, vcc_lo, s23, v8, vcc_lo
	v_add_co_u32 v3, vcc_lo, v3, s18
	s_delay_alu instid0(VALU_DEP_4) | instskip(SKIP_3) | instid1(VALU_DEP_4)
	v_lshlrev_b64 v[5:6], 1, v[9:10]
	v_add_co_ci_u32_e32 v4, vcc_lo, s19, v4, vcc_lo
	v_mad_u64_u32 v[35:36], null, s18, v17, s[20:21]
	v_mul_lo_u32 v21, s19, v17
	v_add_co_u32 v85, vcc_lo, s20, v5
	s_delay_alu instid0(VALU_DEP_4)
	v_lshlrev_b64 v[3:4], 1, v[3:4]
	v_add_co_ci_u32_e32 v86, vcc_lo, s21, v6, vcc_lo
	v_mad_u64_u32 v[37:38], null, s18, v19, s[20:21]
	v_mul_lo_u32 v23, s19, v19
	v_mad_u64_u32 v[49:50], null, s18, v17, s[22:23]
	v_mad_u64_u32 v[51:52], null, s18, v19, s[22:23]
	v_add_co_u32 v87, vcc_lo, s22, v5
	v_add_co_ci_u32_e32 v88, vcc_lo, s23, v6, vcc_lo
	v_add_co_u32 v89, vcc_lo, s20, v3
	v_add_co_ci_u32_e32 v90, vcc_lo, s21, v4, vcc_lo
	v_add_co_u32 v91, vcc_lo, s22, v3
	v_add3_u32 v34, v18, v34, v16
	v_add3_u32 v36, v21, v36, v20
	;; [unrolled: 1-line block ×6, first 2 shown]
	v_add_co_ci_u32_e32 v92, vcc_lo, s23, v4, vcc_lo
	s_mul_i32 s6, s18, s15
	s_mov_b32 s4, 0
	s_lshl_b64 s[20:21], s[6:7], 1
	s_mov_b64 s[22:23], 7
	s_mov_b64 s[28:29], s[34:35]
.LBB191_53:                             ; =>This Inner Loop Header: Depth=1
	s_add_u32 s6, s34, s22
	s_addc_u32 s7, 0, s23
	v_add_co_u32 v55, vcc_lo, s34, v59
	v_cmp_ge_i64_e64 s3, s[6:7], s[16:17]
	v_add_co_ci_u32_e32 v56, vcc_lo, 0, v60, vcc_lo
	s_delay_alu instid0(VALU_DEP_2)
	s_and_b32 vcc_lo, exec_lo, s3
	s_cbranch_vccz .LBB191_75
; %bb.54:                               ;   in Loop: Header=BB191_53 Depth=1
	s_load_b32 s3, s[26:27], 0xc
	v_mov_b32_e32 v94, 0
	s_waitcnt lgkmcnt(0)
	s_and_b32 s3, s3, 0xffff
	s_delay_alu instid0(SALU_CYCLE_1) | instskip(SKIP_1) | instid1(VALU_DEP_1)
	v_mad_u32_u24 v1, v57, s3, v58
	s_mov_b32 s3, exec_lo
	v_and_b32_e32 v1, 31, v1
	s_delay_alu instid0(VALU_DEP_1)
	v_cmpx_gt_u32_e32 8, v1
	s_cbranch_execz .LBB191_58
; %bb.55:                               ;   in Loop: Header=BB191_53 Depth=1
	v_add_co_u32 v3, vcc_lo, v55, v1
	v_add_co_ci_u32_e32 v4, vcc_lo, 0, v56, vcc_lo
	v_mov_b32_e32 v94, 0
	s_mov_b32 s5, exec_lo
	s_delay_alu instid0(VALU_DEP_2)
	v_cmpx_gt_i64_e64 s[16:17], v[3:4]
	s_cbranch_execz .LBB191_57
; %bb.56:                               ;   in Loop: Header=BB191_53 Depth=1
	v_lshlrev_b64 v[3:4], 2, v[3:4]
	s_delay_alu instid0(VALU_DEP_1) | instskip(NEXT) | instid1(VALU_DEP_2)
	v_add_co_u32 v3, vcc_lo, s12, v3
	v_add_co_ci_u32_e32 v4, vcc_lo, s13, v4, vcc_lo
	global_load_b32 v94, v[3:4], off
.LBB191_57:                             ;   in Loop: Header=BB191_53 Depth=1
	s_or_b32 exec_lo, exec_lo, s5
.LBB191_58:                             ;   in Loop: Header=BB191_53 Depth=1
	s_delay_alu instid0(SALU_CYCLE_1)
	s_or_b32 exec_lo, exec_lo, s3
	s_mov_b32 s11, s4
	s_mov_b32 s5, s4
	;; [unrolled: 1-line block ×7, first 2 shown]
	s_delay_alu instid0(SALU_CYCLE_1) | instskip(SKIP_3) | instid1(VALU_DEP_4)
	v_dual_mov_b32 v16, s11 :: v_dual_mov_b32 v15, s10
	v_dual_mov_b32 v14, s9 :: v_dual_mov_b32 v13, s8
	;; [unrolled: 1-line block ×5, first 2 shown]
	s_delay_alu instid0(VALU_DEP_4) | instskip(NEXT) | instid1(VALU_DEP_4)
	v_dual_mov_b32 v22, v14 :: v_dual_mov_b32 v21, v13
	v_dual_mov_b32 v20, v12 :: v_dual_mov_b32 v19, v11
	s_delay_alu instid0(VALU_DEP_4)
	v_dual_mov_b32 v18, v10 :: v_dual_mov_b32 v17, v9
	s_mov_b32 s3, exec_lo
	v_cmpx_gt_i64_e64 s[16:17], v[55:56]
	s_cbranch_execz .LBB191_60
; %bb.59:                               ;   in Loop: Header=BB191_53 Depth=1
	v_add_co_u32 v3, vcc_lo, v61, v27
	v_add_co_ci_u32_e32 v4, vcc_lo, v62, v28, vcc_lo
	v_add_co_u32 v5, vcc_lo, v63, v27
	v_add_co_ci_u32_e32 v6, vcc_lo, v64, v28, vcc_lo
	v_mov_b32_e32 v8, v2
	global_load_u16 v1, v[3:4], off
	global_load_u16 v9, v[5:6], off
	v_mov_b32_e32 v3, v2
	v_mov_b32_e32 v4, v2
	;; [unrolled: 1-line block ×6, first 2 shown]
	s_waitcnt vmcnt(1)
	v_lshlrev_b32_e32 v1, 16, v1
	s_waitcnt vmcnt(0)
	v_lshlrev_b32_e32 v9, 16, v9
	v_dual_mov_b32 v11, v2 :: v_dual_mov_b32 v24, v8
	v_dual_mov_b32 v10, v2 :: v_dual_mov_b32 v23, v7
	;; [unrolled: 1-line block ×6, first 2 shown]
	v_mov_b32_e32 v22, v6
	v_mov_b32_e32 v18, v2
.LBB191_60:                             ;   in Loop: Header=BB191_53 Depth=1
	s_or_b32 exec_lo, exec_lo, s3
	v_add_co_u32 v3, vcc_lo, v55, 1
	v_add_co_ci_u32_e32 v4, vcc_lo, 0, v56, vcc_lo
	s_mov_b32 s3, exec_lo
	s_delay_alu instid0(VALU_DEP_1)
	v_cmpx_gt_i64_e64 s[16:17], v[3:4]
	s_cbranch_execz .LBB191_62
; %bb.61:                               ;   in Loop: Header=BB191_53 Depth=1
	v_add_co_u32 v3, vcc_lo, v89, v27
	v_add_co_ci_u32_e32 v4, vcc_lo, v90, v28, vcc_lo
	v_add_co_u32 v5, vcc_lo, v91, v27
	v_add_co_ci_u32_e32 v6, vcc_lo, v92, v28, vcc_lo
	global_load_u16 v1, v[3:4], off
	global_load_u16 v3, v[5:6], off
	s_waitcnt vmcnt(1)
	v_lshlrev_b32_e32 v18, 16, v1
	s_waitcnt vmcnt(0)
	v_lshlrev_b32_e32 v10, 16, v3
.LBB191_62:                             ;   in Loop: Header=BB191_53 Depth=1
	s_or_b32 exec_lo, exec_lo, s3
	v_add_co_u32 v3, vcc_lo, v55, 2
	v_add_co_ci_u32_e32 v4, vcc_lo, 0, v56, vcc_lo
	s_mov_b32 s3, exec_lo
	s_delay_alu instid0(VALU_DEP_1)
	v_cmpx_gt_i64_e64 s[16:17], v[3:4]
	s_cbranch_execz .LBB191_64
; %bb.63:                               ;   in Loop: Header=BB191_53 Depth=1
	v_add_co_u32 v3, vcc_lo, v85, v27
	v_add_co_ci_u32_e32 v4, vcc_lo, v86, v28, vcc_lo
	v_add_co_u32 v5, vcc_lo, v87, v27
	v_add_co_ci_u32_e32 v6, vcc_lo, v88, v28, vcc_lo
	global_load_u16 v1, v[3:4], off
	global_load_u16 v3, v[5:6], off
	s_waitcnt vmcnt(1)
	v_lshlrev_b32_e32 v19, 16, v1
	s_waitcnt vmcnt(0)
	v_lshlrev_b32_e32 v11, 16, v3
.LBB191_64:                             ;   in Loop: Header=BB191_53 Depth=1
	;; [unrolled: 19-line block ×7, first 2 shown]
	s_or_b32 exec_lo, exec_lo, s3
	s_waitcnt vmcnt(0)
	ds_bpermute_b32 v1, v2, v94
	ds_bpermute_b32 v4, v2, v94 offset:4
	ds_bpermute_b32 v5, v2, v94 offset:8
	v_mul_f32_e32 v3, v9, v17
	ds_bpermute_b32 v6, v2, v94 offset:12
	v_mul_f32_e32 v7, v10, v18
	ds_bpermute_b32 v8, v2, v94 offset:16
	ds_bpermute_b32 v9, v2, v94 offset:20
	s_waitcnt lgkmcnt(5)
	v_fma_f32 v3, v3, v1, v93
	v_mul_f32_e32 v1, v11, v19
	s_waitcnt lgkmcnt(4)
	s_delay_alu instid0(VALU_DEP_2)
	v_fmac_f32_e32 v3, v7, v4
	v_mul_f32_e32 v4, v12, v20
	ds_bpermute_b32 v7, v2, v94 offset:24
	s_waitcnt lgkmcnt(4)
	v_fmac_f32_e32 v3, v1, v5
	v_mul_f32_e32 v1, v13, v21
	v_mul_f32_e32 v5, v14, v22
	s_waitcnt lgkmcnt(3)
	s_delay_alu instid0(VALU_DEP_3)
	v_fmac_f32_e32 v3, v4, v6
	ds_bpermute_b32 v4, v2, v94 offset:28
	s_waitcnt lgkmcnt(3)
	v_fmac_f32_e32 v3, v1, v8
	v_mul_f32_e32 v1, v15, v23
	s_waitcnt lgkmcnt(2)
	s_delay_alu instid0(VALU_DEP_2) | instskip(SKIP_1) | instid1(VALU_DEP_1)
	v_fmac_f32_e32 v3, v5, v9
	s_waitcnt lgkmcnt(1)
	v_fmac_f32_e32 v3, v1, v7
	v_mul_f32_e32 v1, v16, v24
	s_waitcnt lgkmcnt(0)
	s_delay_alu instid0(VALU_DEP_1)
	v_fmac_f32_e32 v3, v1, v4
	s_branch .LBB191_81
.LBB191_75:                             ;   in Loop: Header=BB191_53 Depth=1
                                        ; implicit-def: $vgpr3
	s_cbranch_execz .LBB191_81
; %bb.76:                               ;   in Loop: Header=BB191_53 Depth=1
	s_load_b32 s3, s[26:27], 0x0
	s_waitcnt lgkmcnt(0)
	s_cmp_lt_u32 s14, s3
	s_cselect_b32 s3, 12, 18
	s_delay_alu instid0(SALU_CYCLE_1)
	s_add_u32 s6, s26, s3
	s_addc_u32 s7, s27, 0
	s_mov_b32 s3, exec_lo
	global_load_u16 v1, v2, s[6:7]
	s_waitcnt vmcnt(0)
	v_mad_u32_u24 v1, v57, v1, v58
	s_delay_alu instid0(VALU_DEP_1) | instskip(SKIP_1) | instid1(VALU_DEP_2)
	v_and_b32_e32 v3, 31, v1
	v_mov_b32_e32 v1, 0
	v_cmpx_gt_u32_e32 8, v3
	s_cbranch_execz .LBB191_80
; %bb.77:                               ;   in Loop: Header=BB191_53 Depth=1
	v_add_co_u32 v3, vcc_lo, v55, v3
	v_add_co_ci_u32_e32 v4, vcc_lo, 0, v56, vcc_lo
	v_mov_b32_e32 v1, 0
	s_mov_b32 s5, exec_lo
	s_delay_alu instid0(VALU_DEP_2)
	v_cmpx_gt_i64_e64 s[16:17], v[3:4]
	s_cbranch_execz .LBB191_79
; %bb.78:                               ;   in Loop: Header=BB191_53 Depth=1
	v_lshlrev_b64 v[3:4], 2, v[3:4]
	s_delay_alu instid0(VALU_DEP_1) | instskip(NEXT) | instid1(VALU_DEP_2)
	v_add_co_u32 v3, vcc_lo, s12, v3
	v_add_co_ci_u32_e32 v4, vcc_lo, s13, v4, vcc_lo
	global_load_b32 v1, v[3:4], off
.LBB191_79:                             ;   in Loop: Header=BB191_53 Depth=1
	s_or_b32 exec_lo, exec_lo, s5
.LBB191_80:                             ;   in Loop: Header=BB191_53 Depth=1
	s_delay_alu instid0(SALU_CYCLE_1)
	s_or_b32 exec_lo, exec_lo, s3
	v_add_co_u32 v3, vcc_lo, v61, v27
	v_add_co_ci_u32_e32 v4, vcc_lo, v62, v28, vcc_lo
	v_add_co_u32 v5, vcc_lo, v63, v27
	v_add_co_ci_u32_e32 v6, vcc_lo, v64, v28, vcc_lo
	;; [unrolled: 2-line block ×4, first 2 shown]
	global_load_u16 v13, v[3:4], off
	global_load_u16 v14, v[5:6], off
	;; [unrolled: 1-line block ×4, first 2 shown]
	v_add_co_u32 v3, vcc_lo, v29, v27
	v_add_co_ci_u32_e32 v4, vcc_lo, v30, v28, vcc_lo
	v_add_co_u32 v5, vcc_lo, v43, v27
	v_add_co_ci_u32_e32 v6, vcc_lo, v44, v28, vcc_lo
	global_load_u16 v17, v[3:4], off
	v_add_co_u32 v3, vcc_lo, v31, v27
	v_add_co_ci_u32_e32 v4, vcc_lo, v32, v28, vcc_lo
	v_add_co_u32 v7, vcc_lo, v45, v27
	v_add_co_ci_u32_e32 v8, vcc_lo, v46, v28, vcc_lo
	;; [unrolled: 2-line block ×4, first 2 shown]
	global_load_u16 v18, v[5:6], off
	global_load_u16 v19, v[3:4], off
	;; [unrolled: 1-line block ×5, first 2 shown]
	v_add_co_u32 v3, vcc_lo, v35, v27
	v_add_co_ci_u32_e32 v4, vcc_lo, v36, v28, vcc_lo
	v_add_co_u32 v5, vcc_lo, v49, v27
	v_add_co_ci_u32_e32 v6, vcc_lo, v50, v28, vcc_lo
	;; [unrolled: 2-line block ×4, first 2 shown]
	global_load_u16 v12, v[3:4], off
	global_load_u16 v22, v[5:6], off
	global_load_u16 v7, v[7:8], off
	global_load_u16 v8, v[9:10], off
	v_add_co_u32 v3, vcc_lo, v53, v27
	v_add_co_ci_u32_e32 v4, vcc_lo, v54, v28, vcc_lo
	v_add_co_u32 v5, vcc_lo, v39, v27
	v_add_co_ci_u32_e32 v6, vcc_lo, v40, v28, vcc_lo
	global_load_u16 v3, v[3:4], off
	global_load_u16 v4, v[5:6], off
	s_waitcnt vmcnt(16)
	ds_bpermute_b32 v5, v2, v1
	ds_bpermute_b32 v6, v2, v1 offset:4
	ds_bpermute_b32 v9, v2, v1 offset:8
	s_waitcnt vmcnt(13)
	v_lshlrev_b32_e32 v15, 16, v15
	s_waitcnt vmcnt(12)
	v_lshlrev_b32_e32 v16, 16, v16
	v_lshlrev_b32_e32 v10, 16, v14
	ds_bpermute_b32 v14, v2, v1 offset:12
	v_mul_f32_e32 v15, v15, v16
	s_waitcnt vmcnt(11)
	v_lshlrev_b32_e32 v17, 16, v17
	s_waitcnt vmcnt(9)
	v_lshlrev_b32_e32 v16, 16, v19
	v_lshlrev_b32_e32 v13, 16, v13
	s_waitcnt vmcnt(6)
	s_delay_alu instid0(VALU_DEP_1)
	v_dual_mul_f32 v10, v13, v10 :: v_dual_lshlrev_b32 v11, 16, v11
	ds_bpermute_b32 v13, v2, v1 offset:16
	s_waitcnt lgkmcnt(4)
	v_fmac_f32_e32 v93, v10, v5
	ds_bpermute_b32 v5, v2, v1 offset:20
	s_waitcnt lgkmcnt(4)
	v_fmac_f32_e32 v93, v15, v6
	v_lshlrev_b32_e32 v18, 16, v18
	v_lshlrev_b32_e32 v10, 16, v20
	ds_bpermute_b32 v6, v2, v1 offset:24
	v_lshlrev_b32_e32 v15, 16, v21
	s_waitcnt vmcnt(5)
	v_dual_mul_f32 v17, v17, v18 :: v_dual_lshlrev_b32 v12, 16, v12
	v_mul_f32_e32 v10, v16, v10
	ds_bpermute_b32 v1, v2, v1 offset:28
	s_waitcnt vmcnt(2)
	v_dual_mul_f32 v11, v15, v11 :: v_dual_lshlrev_b32 v8, 16, v8
	s_waitcnt lgkmcnt(5)
	v_fmac_f32_e32 v93, v17, v9
	v_lshlrev_b32_e32 v9, 16, v22
	v_lshlrev_b32_e32 v7, 16, v7
	s_waitcnt vmcnt(1)
	v_lshlrev_b32_e32 v3, 16, v3
	s_waitcnt vmcnt(0) lgkmcnt(4)
	v_dual_fmac_f32 v93, v10, v14 :: v_dual_lshlrev_b32 v4, 16, v4
	v_mul_f32_e32 v9, v12, v9
	v_mul_f32_e32 v7, v7, v8
	s_delay_alu instid0(VALU_DEP_3) | instskip(SKIP_3) | instid1(VALU_DEP_1)
	v_mul_f32_e32 v3, v4, v3
	s_waitcnt lgkmcnt(3)
	v_fmac_f32_e32 v93, v11, v13
	s_waitcnt lgkmcnt(2)
	v_fmac_f32_e32 v93, v9, v5
	s_waitcnt lgkmcnt(1)
	s_delay_alu instid0(VALU_DEP_1) | instskip(SKIP_1) | instid1(VALU_DEP_1)
	v_fmac_f32_e32 v93, v7, v6
	s_waitcnt lgkmcnt(0)
	v_fmac_f32_e32 v93, v3, v1
	s_delay_alu instid0(VALU_DEP_1)
	v_mov_b32_e32 v3, v93
.LBB191_81:                             ;   in Loop: Header=BB191_53 Depth=1
	v_add_co_u32 v59, vcc_lo, v59, s15
	v_add_co_ci_u32_e32 v60, vcc_lo, 0, v60, vcc_lo
	v_add_co_u32 v25, vcc_lo, v25, s20
	v_add_co_ci_u32_e32 v26, vcc_lo, s21, v26, vcc_lo
	;; [unrolled: 2-line block ×28, first 2 shown]
	v_add_co_u32 v87, vcc_lo, v87, s20
	s_add_u32 s28, s28, s15
	v_add_co_ci_u32_e32 v88, vcc_lo, s21, v88, vcc_lo
	s_addc_u32 s29, s29, 0
	v_add_co_u32 v89, vcc_lo, v89, s20
	v_add_co_ci_u32_e32 v90, vcc_lo, s21, v90, vcc_lo
	v_cmp_ge_i64_e64 s3, s[28:29], s[16:17]
	v_add_co_u32 v91, vcc_lo, v91, s20
	v_add_co_ci_u32_e32 v92, vcc_lo, s21, v92, vcc_lo
	s_add_u32 s22, s22, s15
	s_addc_u32 s23, s23, 0
	s_delay_alu instid0(VALU_DEP_3)
	s_and_b32 vcc_lo, exec_lo, s3
	s_cbranch_vccnz .LBB191_83
; %bb.82:                               ;   in Loop: Header=BB191_53 Depth=1
	v_mov_b32_e32 v93, v3
	s_branch .LBB191_53
.LBB191_83:
	s_mov_b32 s15, 0
	s_delay_alu instid0(SALU_CYCLE_1) | instskip(NEXT) | instid1(SALU_CYCLE_1)
	s_lshl_b64 s[4:5], s[14:15], 6
	v_dual_mov_b32 v2, s5 :: v_dual_and_b32 v1, 0x3ff, v0
	s_waitcnt lgkmcnt(0)
	s_cmp_lg_u64 s[24:25], 0
	s_cselect_b32 s3, -1, 0
	s_delay_alu instid0(VALU_DEP_1) | instskip(NEXT) | instid1(VALU_DEP_1)
	v_or_b32_e32 v1, s4, v1
	v_cmp_gt_i64_e32 vcc_lo, s[18:19], v[1:2]
	s_and_b32 s3, vcc_lo, s3
	s_delay_alu instid0(SALU_CYCLE_1)
	s_and_saveexec_b32 s4, s3
	s_cbranch_execz .LBB191_85
; %bb.84:
	s_load_b32 s0, s[0:1], 0x4c
	v_bfe_u32 v4, v0, 10, 10
	v_mov_b32_e32 v5, 0
	s_waitcnt lgkmcnt(0)
	s_lshr_b32 s0, s0, 16
	s_delay_alu instid0(VALU_DEP_1) | instid1(SALU_CYCLE_1)
	v_mad_u64_u32 v[6:7], null, s0, s2, v[4:5]
	s_delay_alu instid0(VALU_DEP_1) | instskip(NEXT) | instid1(VALU_DEP_2)
	v_mul_lo_u32 v0, v7, s18
	v_mul_lo_u32 v7, v6, s19
	v_mad_u64_u32 v[4:5], null, v6, s18, 0
	v_bfe_u32 v6, v3, 16, 1
	s_delay_alu instid0(VALU_DEP_1) | instskip(NEXT) | instid1(VALU_DEP_3)
	v_add3_u32 v6, v3, v6, 0x7fff
	v_add3_u32 v5, v5, v7, v0
	v_lshlrev_b64 v[0:1], 1, v[1:2]
	s_delay_alu instid0(VALU_DEP_3) | instskip(NEXT) | instid1(VALU_DEP_3)
	v_lshrrev_b32_e32 v2, 16, v6
	v_lshlrev_b64 v[4:5], 1, v[4:5]
	s_delay_alu instid0(VALU_DEP_1) | instskip(NEXT) | instid1(VALU_DEP_2)
	v_add_co_u32 v4, vcc_lo, s24, v4
	v_add_co_ci_u32_e32 v5, vcc_lo, s25, v5, vcc_lo
	v_cmp_o_f32_e32 vcc_lo, v3, v3
	v_cndmask_b32_e32 v2, 0x7fc0, v2, vcc_lo
	s_delay_alu instid0(VALU_DEP_4) | instskip(NEXT) | instid1(VALU_DEP_4)
	v_add_co_u32 v0, vcc_lo, v4, v0
	v_add_co_ci_u32_e32 v1, vcc_lo, v5, v1, vcc_lo
	global_store_b16 v[0:1], v2, off
.LBB191_85:
	s_nop 0
	s_sendmsg sendmsg(MSG_DEALLOC_VGPRS)
	s_endpgm
	.section	.rodata,"a",@progbits
	.p2align	6, 0x0
	.amdhsa_kernel _ZN2at6native12_GLOBAL__N_135GammaBetaBackwardCUDAKernelTemplateIN3c108BFloat16EfLj64ELj1ELj8ELb1ELb0ELb1EEEvllPKT_S7_PKT0_SA_PS5_SB_
		.amdhsa_group_segment_fixed_size 0
		.amdhsa_private_segment_fixed_size 0
		.amdhsa_kernarg_size 320
		.amdhsa_user_sgpr_count 14
		.amdhsa_user_sgpr_dispatch_ptr 0
		.amdhsa_user_sgpr_queue_ptr 0
		.amdhsa_user_sgpr_kernarg_segment_ptr 1
		.amdhsa_user_sgpr_dispatch_id 0
		.amdhsa_user_sgpr_private_segment_size 0
		.amdhsa_wavefront_size32 1
		.amdhsa_uses_dynamic_stack 0
		.amdhsa_enable_private_segment 0
		.amdhsa_system_sgpr_workgroup_id_x 1
		.amdhsa_system_sgpr_workgroup_id_y 1
		.amdhsa_system_sgpr_workgroup_id_z 0
		.amdhsa_system_sgpr_workgroup_info 0
		.amdhsa_system_vgpr_workitem_id 1
		.amdhsa_next_free_vgpr 95
		.amdhsa_next_free_sgpr 37
		.amdhsa_reserve_vcc 1
		.amdhsa_float_round_mode_32 0
		.amdhsa_float_round_mode_16_64 0
		.amdhsa_float_denorm_mode_32 3
		.amdhsa_float_denorm_mode_16_64 3
		.amdhsa_dx10_clamp 1
		.amdhsa_ieee_mode 1
		.amdhsa_fp16_overflow 0
		.amdhsa_workgroup_processor_mode 1
		.amdhsa_memory_ordered 1
		.amdhsa_forward_progress 0
		.amdhsa_shared_vgpr_count 0
		.amdhsa_exception_fp_ieee_invalid_op 0
		.amdhsa_exception_fp_denorm_src 0
		.amdhsa_exception_fp_ieee_div_zero 0
		.amdhsa_exception_fp_ieee_overflow 0
		.amdhsa_exception_fp_ieee_underflow 0
		.amdhsa_exception_fp_ieee_inexact 0
		.amdhsa_exception_int_div_zero 0
	.end_amdhsa_kernel
	.section	.text._ZN2at6native12_GLOBAL__N_135GammaBetaBackwardCUDAKernelTemplateIN3c108BFloat16EfLj64ELj1ELj8ELb1ELb0ELb1EEEvllPKT_S7_PKT0_SA_PS5_SB_,"axG",@progbits,_ZN2at6native12_GLOBAL__N_135GammaBetaBackwardCUDAKernelTemplateIN3c108BFloat16EfLj64ELj1ELj8ELb1ELb0ELb1EEEvllPKT_S7_PKT0_SA_PS5_SB_,comdat
.Lfunc_end191:
	.size	_ZN2at6native12_GLOBAL__N_135GammaBetaBackwardCUDAKernelTemplateIN3c108BFloat16EfLj64ELj1ELj8ELb1ELb0ELb1EEEvllPKT_S7_PKT0_SA_PS5_SB_, .Lfunc_end191-_ZN2at6native12_GLOBAL__N_135GammaBetaBackwardCUDAKernelTemplateIN3c108BFloat16EfLj64ELj1ELj8ELb1ELb0ELb1EEEvllPKT_S7_PKT0_SA_PS5_SB_
                                        ; -- End function
	.section	.AMDGPU.csdata,"",@progbits
; Kernel info:
; codeLenInByte = 7420
; NumSgprs: 39
; NumVgprs: 95
; ScratchSize: 0
; MemoryBound: 0
; FloatMode: 240
; IeeeMode: 1
; LDSByteSize: 0 bytes/workgroup (compile time only)
; SGPRBlocks: 4
; VGPRBlocks: 11
; NumSGPRsForWavesPerEU: 39
; NumVGPRsForWavesPerEU: 95
; Occupancy: 16
; WaveLimiterHint : 0
; COMPUTE_PGM_RSRC2:SCRATCH_EN: 0
; COMPUTE_PGM_RSRC2:USER_SGPR: 14
; COMPUTE_PGM_RSRC2:TRAP_HANDLER: 0
; COMPUTE_PGM_RSRC2:TGID_X_EN: 1
; COMPUTE_PGM_RSRC2:TGID_Y_EN: 1
; COMPUTE_PGM_RSRC2:TGID_Z_EN: 0
; COMPUTE_PGM_RSRC2:TIDIG_COMP_CNT: 1
	.section	.text._ZN2at6native12_GLOBAL__N_135GammaBetaBackwardCUDAKernelTemplateIN3c108BFloat16EfLj64ELj8ELj64ELb0ELb1ELb1EEEvllPKT_S7_PKT0_SA_PS5_SB_,"axG",@progbits,_ZN2at6native12_GLOBAL__N_135GammaBetaBackwardCUDAKernelTemplateIN3c108BFloat16EfLj64ELj8ELj64ELb0ELb1ELb1EEEvllPKT_S7_PKT0_SA_PS5_SB_,comdat
	.globl	_ZN2at6native12_GLOBAL__N_135GammaBetaBackwardCUDAKernelTemplateIN3c108BFloat16EfLj64ELj8ELj64ELb0ELb1ELb1EEEvllPKT_S7_PKT0_SA_PS5_SB_ ; -- Begin function _ZN2at6native12_GLOBAL__N_135GammaBetaBackwardCUDAKernelTemplateIN3c108BFloat16EfLj64ELj8ELj64ELb0ELb1ELb1EEEvllPKT_S7_PKT0_SA_PS5_SB_
	.p2align	8
	.type	_ZN2at6native12_GLOBAL__N_135GammaBetaBackwardCUDAKernelTemplateIN3c108BFloat16EfLj64ELj8ELj64ELb0ELb1ELb1EEEvllPKT_S7_PKT0_SA_PS5_SB_,@function
_ZN2at6native12_GLOBAL__N_135GammaBetaBackwardCUDAKernelTemplateIN3c108BFloat16EfLj64ELj8ELj64ELb0ELb1ELb1EEEvllPKT_S7_PKT0_SA_PS5_SB_: ; @_ZN2at6native12_GLOBAL__N_135GammaBetaBackwardCUDAKernelTemplateIN3c108BFloat16EfLj64ELj8ELj64ELb0ELb1ELb1EEEvllPKT_S7_PKT0_SA_PS5_SB_
; %bb.0:
	s_load_b128 s[4:7], s[0:1], 0x0
	s_mov_b32 s13, 0
	s_lshl_b32 s12, s15, 6
	v_bfe_u32 v7, v0, 10, 10
	s_waitcnt lgkmcnt(0)
	v_cmp_lt_i64_e64 s2, s[12:13], s[4:5]
	s_delay_alu instid0(VALU_DEP_1)
	s_and_b32 vcc_lo, exec_lo, s2
	s_cbranch_vccnz .LBB192_2
; %bb.1:
	v_bfe_u32 v1, v0, 10, 10
	s_mov_b32 s8, 0
	s_mov_b32 s9, s13
	s_branch .LBB192_3
.LBB192_2:
	s_mov_b32 s9, -1
                                        ; implicit-def: $sgpr8
                                        ; implicit-def: $vgpr1
.LBB192_3:
	s_load_b64 s[2:3], s[0:1], 0x30
	v_and_b32_e32 v6, 0x3ff, v0
	v_mov_b32_e32 v0, s8
	s_and_not1_b32 vcc_lo, exec_lo, s9
	s_cbranch_vccnz .LBB192_11
; %bb.4:
	s_clause 0x3
	s_load_b32 s15, s[0:1], 0x4c
	s_load_b32 s16, s[0:1], 0x44
	s_load_b128 s[8:11], s[0:1], 0x10
	s_load_b64 s[18:19], s[0:1], 0x28
	v_dual_mov_b32 v9, 4 :: v_dual_lshlrev_b32 v2, 3, v7
	v_dual_mov_b32 v8, 8 :: v_dual_mov_b32 v1, 0
	v_lshl_add_u32 v0, s14, 6, v6
	s_delay_alu instid0(VALU_DEP_3) | instskip(NEXT) | instid1(VALU_DEP_1)
	v_add_co_u32 v2, s1, v2, s12
	v_add_co_ci_u32_e64 v3, null, 0, 0, s1
	s_delay_alu instid0(VALU_DEP_3) | instskip(NEXT) | instid1(VALU_DEP_3)
	v_lshlrev_b64 v[15:16], 1, v[0:1]
	v_mul_lo_u32 v17, s7, v2
	v_dual_mov_b32 v10, 12 :: v_dual_mov_b32 v11, 16
	s_delay_alu instid0(VALU_DEP_4)
	v_mul_lo_u32 v18, s6, v3
	v_dual_mov_b32 v13, 24 :: v_dual_mov_b32 v14, 28
	s_waitcnt lgkmcnt(0)
	s_and_b32 s0, s15, 0xffff
	s_lshl_b32 s16, s16, 6
	v_mad_u32_u24 v4, v7, s0, v6
	v_mov_b32_e32 v12, 20
	s_mul_i32 s1, s7, s16
	s_mul_hi_u32 s15, s6, s16
	s_delay_alu instid0(VALU_DEP_2) | instskip(SKIP_3) | instid1(VALU_DEP_2)
	v_dual_mov_b32 v0, 0 :: v_dual_and_b32 v21, 31, v4
	v_mad_u64_u32 v[4:5], null, s6, v2, 0
	s_mov_b32 s17, 0
	s_add_i32 s21, s15, s1
	v_add_co_u32 v2, vcc_lo, v2, v21
	v_add_co_ci_u32_e32 v3, vcc_lo, 0, v3, vcc_lo
	s_delay_alu instid0(VALU_DEP_3) | instskip(SKIP_2) | instid1(VALU_DEP_3)
	v_add3_u32 v5, v5, v18, v17
	v_cmp_gt_u32_e64 s0, 8, v21
	s_mul_i32 s20, s6, s16
	v_lshlrev_b64 v[17:18], 2, v[2:3]
	s_lshl_b64 s[20:21], s[20:21], 1
	v_lshlrev_b64 v[19:20], 1, v[4:5]
	s_lshl_b64 s[6:7], s[6:7], 1
	s_delay_alu instid0(VALU_DEP_2) | instskip(NEXT) | instid1(VALU_DEP_3)
	v_add_co_u32 v4, vcc_lo, s18, v17
	v_add_co_ci_u32_e32 v5, vcc_lo, s19, v18, vcc_lo
	s_delay_alu instid0(VALU_DEP_3) | instskip(NEXT) | instid1(VALU_DEP_4)
	v_add_co_u32 v15, vcc_lo, v19, v15
	v_add_co_ci_u32_e32 v16, vcc_lo, v20, v16, vcc_lo
	s_lshl_b64 s[18:19], s[16:17], 2
	s_branch .LBB192_7
.LBB192_5:                              ;   in Loop: Header=BB192_7 Depth=1
	s_or_b32 exec_lo, exec_lo, s15
.LBB192_6:                              ;   in Loop: Header=BB192_7 Depth=1
	s_delay_alu instid0(SALU_CYCLE_1)
	s_or_b32 exec_lo, exec_lo, s1
	v_add_co_u32 v18, vcc_lo, s8, v15
	v_add_co_ci_u32_e32 v19, vcc_lo, s9, v16, vcc_lo
	v_add_co_u32 v20, vcc_lo, s10, v15
	v_add_co_ci_u32_e32 v21, vcc_lo, s11, v16, vcc_lo
	global_load_u16 v28, v[18:19], off
	v_add_co_u32 v18, vcc_lo, v18, s6
	v_add_co_ci_u32_e32 v19, vcc_lo, s7, v19, vcc_lo
	v_add_co_u32 v22, vcc_lo, v20, s6
	v_add_co_ci_u32_e32 v23, vcc_lo, s7, v21, vcc_lo
	s_delay_alu instid0(VALU_DEP_4) | instskip(NEXT) | instid1(VALU_DEP_4)
	v_add_co_u32 v24, vcc_lo, v18, s6
	v_add_co_ci_u32_e32 v25, vcc_lo, s7, v19, vcc_lo
	s_delay_alu instid0(VALU_DEP_4) | instskip(NEXT) | instid1(VALU_DEP_4)
	v_add_co_u32 v26, vcc_lo, v22, s6
	v_add_co_ci_u32_e32 v27, vcc_lo, s7, v23, vcc_lo
	global_load_u16 v29, v[20:21], off
	global_load_u16 v30, v[18:19], off
	;; [unrolled: 1-line block ×5, first 2 shown]
	v_add_co_u32 v18, vcc_lo, v24, s6
	v_add_co_ci_u32_e32 v19, vcc_lo, s7, v25, vcc_lo
	v_add_co_u32 v20, vcc_lo, v26, s6
	v_add_co_ci_u32_e32 v21, vcc_lo, s7, v27, vcc_lo
	global_load_u16 v34, v[18:19], off
	v_add_co_u32 v18, vcc_lo, v18, s6
	v_add_co_ci_u32_e32 v19, vcc_lo, s7, v19, vcc_lo
	v_add_co_u32 v22, vcc_lo, v20, s6
	v_add_co_ci_u32_e32 v23, vcc_lo, s7, v21, vcc_lo
	s_delay_alu instid0(VALU_DEP_4) | instskip(NEXT) | instid1(VALU_DEP_4)
	v_add_co_u32 v24, vcc_lo, v18, s6
	v_add_co_ci_u32_e32 v25, vcc_lo, s7, v19, vcc_lo
	s_delay_alu instid0(VALU_DEP_4) | instskip(NEXT) | instid1(VALU_DEP_4)
	v_add_co_u32 v26, vcc_lo, v22, s6
	v_add_co_ci_u32_e32 v27, vcc_lo, s7, v23, vcc_lo
	global_load_u16 v35, v[20:21], off
	global_load_u16 v36, v[18:19], off
	;; [unrolled: 1-line block ×5, first 2 shown]
	v_add_co_u32 v18, vcc_lo, v26, s6
	v_add_co_ci_u32_e32 v19, vcc_lo, s7, v27, vcc_lo
	v_add_co_u32 v20, vcc_lo, v24, s6
	v_add_co_ci_u32_e32 v21, vcc_lo, s7, v25, vcc_lo
	global_load_u16 v24, v[18:19], off
	v_add_co_u32 v18, vcc_lo, v18, s6
	v_add_co_ci_u32_e32 v19, vcc_lo, s7, v19, vcc_lo
	v_add_co_u32 v22, vcc_lo, v20, s6
	v_add_co_ci_u32_e32 v23, vcc_lo, s7, v21, vcc_lo
	global_load_u16 v20, v[20:21], off
	global_load_u16 v18, v[18:19], off
	;; [unrolled: 1-line block ×3, first 2 shown]
	s_waitcnt vmcnt(16)
	ds_bpermute_b32 v21, v1, v17
	ds_bpermute_b32 v22, v9, v17
	;; [unrolled: 1-line block ×3, first 2 shown]
	v_add_co_u32 v4, vcc_lo, v4, s18
	s_add_u32 s12, s12, s16
	v_add_co_ci_u32_e32 v5, vcc_lo, s19, v5, vcc_lo
	s_addc_u32 s13, s13, 0
	v_add_co_u32 v2, vcc_lo, v2, s16
	v_add_co_ci_u32_e32 v3, vcc_lo, 0, v3, vcc_lo
	v_cmp_lt_i64_e64 s1, s[12:13], s[4:5]
	v_add_co_u32 v15, vcc_lo, v15, s20
	v_add_co_ci_u32_e32 v16, vcc_lo, s21, v16, vcc_lo
	s_delay_alu instid0(VALU_DEP_3)
	s_and_b32 vcc_lo, exec_lo, s1
	s_waitcnt vmcnt(15)
	v_lshlrev_b32_e32 v25, 16, v28
	ds_bpermute_b32 v28, v10, v17
	s_waitcnt vmcnt(14)
	v_lshlrev_b32_e32 v23, 16, v29
	s_waitcnt vmcnt(12)
	v_lshlrev_b32_e32 v27, 16, v31
	s_delay_alu instid0(VALU_DEP_2) | instskip(SKIP_1) | instid1(VALU_DEP_1)
	v_mul_f32_e32 v23, v25, v23
	s_waitcnt lgkmcnt(3)
	v_dual_fmac_f32 v0, v23, v21 :: v_dual_lshlrev_b32 v25, 16, v30
	s_delay_alu instid0(VALU_DEP_1)
	v_mul_f32_e32 v21, v25, v27
	ds_bpermute_b32 v25, v11, v17
	s_waitcnt vmcnt(11)
	v_lshlrev_b32_e32 v23, 16, v32
	ds_bpermute_b32 v27, v12, v17
	s_waitcnt vmcnt(10) lgkmcnt(4)
	v_dual_fmac_f32 v0, v21, v22 :: v_dual_lshlrev_b32 v29, 16, v33
	s_waitcnt vmcnt(9)
	s_delay_alu instid0(VALU_DEP_1)
	v_dual_mul_f32 v21, v23, v29 :: v_dual_lshlrev_b32 v22, 16, v34
	ds_bpermute_b32 v23, v13, v17
	ds_bpermute_b32 v17, v14, v17
	s_waitcnt lgkmcnt(5)
	v_fmac_f32_e32 v0, v21, v26
	s_waitcnt vmcnt(8)
	v_lshlrev_b32_e32 v30, 16, v35
	s_waitcnt vmcnt(4)
	s_delay_alu instid0(VALU_DEP_1) | instskip(SKIP_2) | instid1(VALU_DEP_2)
	v_dual_mul_f32 v21, v22, v30 :: v_dual_lshlrev_b32 v26, 16, v39
	v_lshlrev_b32_e32 v22, 16, v36
	s_waitcnt lgkmcnt(4)
	v_fmac_f32_e32 v0, v21, v28
	s_waitcnt vmcnt(2)
	v_lshlrev_b32_e32 v20, 16, v20
	v_lshlrev_b32_e32 v29, 16, v37
	;; [unrolled: 1-line block ×3, first 2 shown]
	s_waitcnt vmcnt(1)
	s_delay_alu instid0(VALU_DEP_2) | instskip(SKIP_2) | instid1(VALU_DEP_2)
	v_dual_mul_f32 v21, v22, v29 :: v_dual_lshlrev_b32 v18, 16, v18
	v_lshlrev_b32_e32 v22, 16, v24
	s_waitcnt lgkmcnt(3)
	v_dual_fmac_f32 v0, v21, v25 :: v_dual_mul_f32 v21, v30, v26
	s_delay_alu instid0(VALU_DEP_2) | instskip(SKIP_1) | instid1(VALU_DEP_2)
	v_mul_f32_e32 v20, v20, v22
	s_waitcnt lgkmcnt(2)
	v_fmac_f32_e32 v0, v21, v27
	s_waitcnt lgkmcnt(1)
	s_delay_alu instid0(VALU_DEP_1) | instskip(SKIP_2) | instid1(VALU_DEP_1)
	v_fmac_f32_e32 v0, v20, v23
	s_waitcnt vmcnt(0)
	v_lshlrev_b32_e32 v19, 16, v19
	v_mul_f32_e32 v18, v19, v18
	s_waitcnt lgkmcnt(0)
	s_delay_alu instid0(VALU_DEP_1)
	v_fmac_f32_e32 v0, v18, v17
	s_cbranch_vccz .LBB192_10
.LBB192_7:                              ; =>This Inner Loop Header: Depth=1
	v_mov_b32_e32 v17, 0
	s_and_saveexec_b32 s1, s0
	s_cbranch_execz .LBB192_6
; %bb.8:                                ;   in Loop: Header=BB192_7 Depth=1
	v_mov_b32_e32 v17, 0
	s_mov_b32 s15, exec_lo
	v_cmpx_gt_i64_e64 s[4:5], v[2:3]
	s_cbranch_execz .LBB192_5
; %bb.9:                                ;   in Loop: Header=BB192_7 Depth=1
	global_load_b32 v17, v[4:5], off
	s_branch .LBB192_5
.LBB192_10:
	v_mov_b32_e32 v1, v7
.LBB192_11:
	s_delay_alu instid0(VALU_DEP_1) | instskip(SKIP_3) | instid1(VALU_DEP_2)
	v_mad_u32_u24 v2, 0x41, v1, v6
	v_mov_b32_e32 v3, 0
	s_mov_b32 s15, 0
	s_mov_b32 s0, exec_lo
	v_sub_nc_u32_e32 v1, v2, v1
	v_lshl_add_u32 v2, v2, 2, 0
	ds_store_b32 v2, v0
	ds_store_b32 v2, v3 offset:2080
	s_waitcnt lgkmcnt(0)
	s_barrier
	buffer_gl0_inv
	v_cmpx_gt_u32_e32 0x800, v1
	s_cbranch_execz .LBB192_18
; %bb.12:
	v_mbcnt_lo_u32_b32 v2, -1, 0
	v_cmp_eq_u32_e64 s0, 0, v6
	s_cmp_lg_u64 s[2:3], 0
	v_and_b32_e32 v0, 31, v6
	s_cselect_b32 s1, -1, 0
	v_xor_b32_e32 v3, 4, v2
	v_xor_b32_e32 v4, 2, v2
	s_and_b32 s4, s0, s1
	v_xor_b32_e32 v5, 1, v2
	v_lshrrev_b32_e32 v1, 5, v1
	v_cmp_gt_i32_e64 s0, 32, v3
	v_cmp_gt_u32_e32 vcc_lo, 8, v0
	v_mul_u32_u24_e32 v0, 0x104, v0
                                        ; implicit-def: $vgpr7
	s_delay_alu instid0(VALU_DEP_4) | instskip(NEXT) | instid1(VALU_DEP_4)
	v_lshlrev_b32_e32 v6, 2, v1
	v_cndmask_b32_e64 v3, v2, v3, s0
	v_cmp_gt_i32_e64 s0, 32, v4
	s_delay_alu instid0(VALU_DEP_1) | instskip(SKIP_1) | instid1(VALU_DEP_1)
	v_cndmask_b32_e64 v4, v2, v4, s0
	v_cmp_gt_i32_e64 s0, 32, v5
	v_cndmask_b32_e64 v5, v2, v5, s0
	v_lshlrev_b32_e32 v2, 2, v3
	s_delay_alu instid0(VALU_DEP_4) | instskip(SKIP_1) | instid1(VALU_DEP_3)
	v_lshlrev_b32_e32 v3, 2, v4
	s_lshl_b64 s[0:1], s[14:15], 7
	v_lshlrev_b32_e32 v4, 2, v5
	v_add3_u32 v5, v0, v6, 0
	v_lshlrev_b32_e32 v0, 1, v1
	s_add_u32 s0, s2, s0
	s_addc_u32 s1, s3, s1
	v_add_nc_u32_e32 v6, -16, v1
	s_delay_alu instid0(VALU_DEP_2) | instskip(NEXT) | instid1(VALU_DEP_1)
	v_add_co_u32 v0, s0, s0, v0
	v_add_co_ci_u32_e64 v1, null, s1, 0, s0
	s_set_inst_prefetch_distance 0x1
	s_branch .LBB192_14
	.p2align	6
.LBB192_13:                             ;   in Loop: Header=BB192_14 Depth=1
	s_or_b32 exec_lo, exec_lo, s1
	v_add_nc_u32_e32 v6, 16, v6
	v_add_co_u32 v0, s1, v0, 32
	v_add_nc_u32_e32 v5, 64, v5
	v_add_co_ci_u32_e64 v1, s1, 0, v1, s1
	s_delay_alu instid0(VALU_DEP_4) | instskip(NEXT) | instid1(VALU_DEP_1)
	v_cmp_lt_u32_e64 s0, 47, v6
	s_or_b32 s15, s0, s15
	s_delay_alu instid0(SALU_CYCLE_1)
	s_and_not1_b32 exec_lo, exec_lo, s15
	s_cbranch_execz .LBB192_18
.LBB192_14:                             ; =>This Inner Loop Header: Depth=1
	s_and_saveexec_b32 s0, vcc_lo
	s_cbranch_execz .LBB192_16
; %bb.15:                               ;   in Loop: Header=BB192_14 Depth=1
	ds_load_b32 v7, v5
.LBB192_16:                             ;   in Loop: Header=BB192_14 Depth=1
	s_or_b32 exec_lo, exec_lo, s0
	s_waitcnt lgkmcnt(0)
	ds_bpermute_b32 v8, v2, v7
	s_waitcnt lgkmcnt(0)
	v_add_f32_e32 v7, v7, v8
	ds_bpermute_b32 v8, v3, v7
	s_waitcnt lgkmcnt(0)
	v_add_f32_e32 v7, v7, v8
	;; [unrolled: 3-line block ×3, first 2 shown]
	s_and_saveexec_b32 s1, s4
	s_cbranch_execz .LBB192_13
; %bb.17:                               ;   in Loop: Header=BB192_14 Depth=1
	s_delay_alu instid0(VALU_DEP_1) | instskip(SKIP_1) | instid1(VALU_DEP_2)
	v_bfe_u32 v8, v7, 16, 1
	v_cmp_o_f32_e64 s0, v7, v7
	v_add3_u32 v8, v7, v8, 0x7fff
	s_delay_alu instid0(VALU_DEP_1) | instskip(NEXT) | instid1(VALU_DEP_1)
	v_lshrrev_b32_e32 v8, 16, v8
	v_cndmask_b32_e64 v8, 0x7fc0, v8, s0
	global_store_b16 v[0:1], v8, off
	s_branch .LBB192_13
.LBB192_18:
	s_set_inst_prefetch_distance 0x2
	s_nop 0
	s_sendmsg sendmsg(MSG_DEALLOC_VGPRS)
	s_endpgm
	.section	.rodata,"a",@progbits
	.p2align	6, 0x0
	.amdhsa_kernel _ZN2at6native12_GLOBAL__N_135GammaBetaBackwardCUDAKernelTemplateIN3c108BFloat16EfLj64ELj8ELj64ELb0ELb1ELb1EEEvllPKT_S7_PKT0_SA_PS5_SB_
		.amdhsa_group_segment_fixed_size 0
		.amdhsa_private_segment_fixed_size 0
		.amdhsa_kernarg_size 320
		.amdhsa_user_sgpr_count 14
		.amdhsa_user_sgpr_dispatch_ptr 0
		.amdhsa_user_sgpr_queue_ptr 0
		.amdhsa_user_sgpr_kernarg_segment_ptr 1
		.amdhsa_user_sgpr_dispatch_id 0
		.amdhsa_user_sgpr_private_segment_size 0
		.amdhsa_wavefront_size32 1
		.amdhsa_uses_dynamic_stack 0
		.amdhsa_enable_private_segment 0
		.amdhsa_system_sgpr_workgroup_id_x 1
		.amdhsa_system_sgpr_workgroup_id_y 1
		.amdhsa_system_sgpr_workgroup_id_z 0
		.amdhsa_system_sgpr_workgroup_info 0
		.amdhsa_system_vgpr_workitem_id 1
		.amdhsa_next_free_vgpr 40
		.amdhsa_next_free_sgpr 22
		.amdhsa_reserve_vcc 1
		.amdhsa_float_round_mode_32 0
		.amdhsa_float_round_mode_16_64 0
		.amdhsa_float_denorm_mode_32 3
		.amdhsa_float_denorm_mode_16_64 3
		.amdhsa_dx10_clamp 1
		.amdhsa_ieee_mode 1
		.amdhsa_fp16_overflow 0
		.amdhsa_workgroup_processor_mode 1
		.amdhsa_memory_ordered 1
		.amdhsa_forward_progress 0
		.amdhsa_shared_vgpr_count 0
		.amdhsa_exception_fp_ieee_invalid_op 0
		.amdhsa_exception_fp_denorm_src 0
		.amdhsa_exception_fp_ieee_div_zero 0
		.amdhsa_exception_fp_ieee_overflow 0
		.amdhsa_exception_fp_ieee_underflow 0
		.amdhsa_exception_fp_ieee_inexact 0
		.amdhsa_exception_int_div_zero 0
	.end_amdhsa_kernel
	.section	.text._ZN2at6native12_GLOBAL__N_135GammaBetaBackwardCUDAKernelTemplateIN3c108BFloat16EfLj64ELj8ELj64ELb0ELb1ELb1EEEvllPKT_S7_PKT0_SA_PS5_SB_,"axG",@progbits,_ZN2at6native12_GLOBAL__N_135GammaBetaBackwardCUDAKernelTemplateIN3c108BFloat16EfLj64ELj8ELj64ELb0ELb1ELb1EEEvllPKT_S7_PKT0_SA_PS5_SB_,comdat
.Lfunc_end192:
	.size	_ZN2at6native12_GLOBAL__N_135GammaBetaBackwardCUDAKernelTemplateIN3c108BFloat16EfLj64ELj8ELj64ELb0ELb1ELb1EEEvllPKT_S7_PKT0_SA_PS5_SB_, .Lfunc_end192-_ZN2at6native12_GLOBAL__N_135GammaBetaBackwardCUDAKernelTemplateIN3c108BFloat16EfLj64ELj8ELj64ELb0ELb1ELb1EEEvllPKT_S7_PKT0_SA_PS5_SB_
                                        ; -- End function
	.section	.AMDGPU.csdata,"",@progbits
; Kernel info:
; codeLenInByte = 1644
; NumSgprs: 24
; NumVgprs: 40
; ScratchSize: 0
; MemoryBound: 0
; FloatMode: 240
; IeeeMode: 1
; LDSByteSize: 0 bytes/workgroup (compile time only)
; SGPRBlocks: 2
; VGPRBlocks: 4
; NumSGPRsForWavesPerEU: 24
; NumVGPRsForWavesPerEU: 40
; Occupancy: 16
; WaveLimiterHint : 0
; COMPUTE_PGM_RSRC2:SCRATCH_EN: 0
; COMPUTE_PGM_RSRC2:USER_SGPR: 14
; COMPUTE_PGM_RSRC2:TRAP_HANDLER: 0
; COMPUTE_PGM_RSRC2:TGID_X_EN: 1
; COMPUTE_PGM_RSRC2:TGID_Y_EN: 1
; COMPUTE_PGM_RSRC2:TGID_Z_EN: 0
; COMPUTE_PGM_RSRC2:TIDIG_COMP_CNT: 1
	.section	.text._ZN2at6native12_GLOBAL__N_135GammaBetaBackwardCUDAKernelTemplateIN3c108BFloat16EfLj64ELj8ELj64ELb0ELb0ELb1EEEvllPKT_S7_PKT0_SA_PS5_SB_,"axG",@progbits,_ZN2at6native12_GLOBAL__N_135GammaBetaBackwardCUDAKernelTemplateIN3c108BFloat16EfLj64ELj8ELj64ELb0ELb0ELb1EEEvllPKT_S7_PKT0_SA_PS5_SB_,comdat
	.globl	_ZN2at6native12_GLOBAL__N_135GammaBetaBackwardCUDAKernelTemplateIN3c108BFloat16EfLj64ELj8ELj64ELb0ELb0ELb1EEEvllPKT_S7_PKT0_SA_PS5_SB_ ; -- Begin function _ZN2at6native12_GLOBAL__N_135GammaBetaBackwardCUDAKernelTemplateIN3c108BFloat16EfLj64ELj8ELj64ELb0ELb0ELb1EEEvllPKT_S7_PKT0_SA_PS5_SB_
	.p2align	8
	.type	_ZN2at6native12_GLOBAL__N_135GammaBetaBackwardCUDAKernelTemplateIN3c108BFloat16EfLj64ELj8ELj64ELb0ELb0ELb1EEEvllPKT_S7_PKT0_SA_PS5_SB_,@function
_ZN2at6native12_GLOBAL__N_135GammaBetaBackwardCUDAKernelTemplateIN3c108BFloat16EfLj64ELj8ELj64ELb0ELb0ELb1EEEvllPKT_S7_PKT0_SA_PS5_SB_: ; @_ZN2at6native12_GLOBAL__N_135GammaBetaBackwardCUDAKernelTemplateIN3c108BFloat16EfLj64ELj8ELj64ELb0ELb0ELb1EEEvllPKT_S7_PKT0_SA_PS5_SB_
; %bb.0:
	s_clause 0x1
	s_load_b256 s[4:11], s[0:1], 0x0
	s_load_b64 s[12:13], s[0:1], 0x28
	s_lshl_b32 s33, s14, 6
	s_mov_b32 s25, 0
	s_or_b32 s24, s33, 63
	s_waitcnt lgkmcnt(0)
	v_cmp_ge_i64_e64 s2, s[24:25], s[6:7]
	s_lshl_b32 s24, s15, 6
	s_delay_alu instid0(SALU_CYCLE_1) | instskip(NEXT) | instid1(VALU_DEP_2)
	v_cmp_lt_i64_e64 s15, s[24:25], s[4:5]
	s_and_b32 vcc_lo, exec_lo, s2
	s_delay_alu instid0(VALU_DEP_1) | instskip(NEXT) | instid1(VALU_DEP_1)
	v_cndmask_b32_e64 v1, 0, 1, s15
	v_cmp_ne_u32_e64 s2, 1, v1
	s_cbranch_vccz .LBB193_49
; %bb.1:
	v_mov_b32_e32 v1, 0
	s_delay_alu instid0(VALU_DEP_2)
	s_and_b32 vcc_lo, exec_lo, s2
	s_cbranch_vccnz .LBB193_50
; %bb.2:
	v_bfe_u32 v27, v0, 10, 10
	s_load_b32 s3, s[0:1], 0x44
	v_dual_mov_b32 v2, 0 :: v_dual_and_b32 v29, 0x3ff, v0
	s_add_u32 s26, s0, 64
	s_delay_alu instid0(VALU_DEP_2) | instskip(NEXT) | instid1(VALU_DEP_2)
	v_lshlrev_b32_e32 v28, 3, v27
	v_dual_mov_b32 v62, 0 :: v_dual_add_nc_u32 v1, s33, v29
	s_addc_u32 s27, s1, 0
	s_mov_b32 s16, 0
	s_delay_alu instid0(VALU_DEP_2) | instskip(NEXT) | instid1(VALU_DEP_1)
	v_add_co_u32 v9, s2, v28, s24
	v_add_co_ci_u32_e64 v10, null, 0, 0, s2
	v_cmp_gt_i64_e64 s2, s[6:7], v[1:2]
	s_delay_alu instid0(VALU_DEP_3) | instskip(NEXT) | instid1(VALU_DEP_3)
	v_add_co_u32 v5, vcc_lo, v9, 7
	v_add_co_ci_u32_e32 v3, vcc_lo, 0, v10, vcc_lo
	v_add_co_u32 v8, vcc_lo, v9, 6
	s_delay_alu instid0(VALU_DEP_3) | instskip(NEXT) | instid1(VALU_DEP_3)
	v_mul_lo_u32 v6, s7, v5
	v_mul_lo_u32 v7, s6, v3
	v_mad_u64_u32 v[3:4], null, s6, v5, 0
	v_add_co_ci_u32_e32 v5, vcc_lo, 0, v10, vcc_lo
	v_lshlrev_b64 v[25:26], 1, v[1:2]
	v_mul_lo_u32 v1, s7, v8
	s_waitcnt lgkmcnt(0)
	s_lshl_b32 s36, s3, 6
	s_mov_b64 s[34:35], s[24:25]
	s_delay_alu instid0(VALU_DEP_4) | instskip(SKIP_3) | instid1(VALU_DEP_3)
	v_add3_u32 v4, v4, v7, v6
	v_mul_lo_u32 v7, s6, v5
	v_mad_u64_u32 v[5:6], null, s6, v8, 0
	s_mul_i32 s3, s7, s36
	v_lshlrev_b64 v[3:4], 1, v[3:4]
	s_mul_hi_u32 s17, s6, s36
	s_mul_i32 s18, s6, s36
	s_add_i32 s19, s17, s3
	s_delay_alu instid0(VALU_DEP_2) | instskip(NEXT) | instid1(VALU_DEP_2)
	v_add3_u32 v6, v6, v7, v1
	v_add_co_u32 v30, vcc_lo, s8, v3
	v_add_co_ci_u32_e32 v31, vcc_lo, s9, v4, vcc_lo
	v_add_co_u32 v1, vcc_lo, v9, 5
	v_add_co_u32 v32, s3, s10, v3
	s_delay_alu instid0(VALU_DEP_1) | instskip(SKIP_4) | instid1(VALU_DEP_3)
	v_add_co_ci_u32_e64 v33, s3, s11, v4, s3
	v_lshlrev_b64 v[3:4], 1, v[5:6]
	v_add_co_ci_u32_e32 v5, vcc_lo, 0, v10, vcc_lo
	v_add_co_u32 v12, vcc_lo, v9, 4
	v_mul_lo_u32 v11, s7, v1
	v_mul_lo_u32 v13, s6, v5
	v_mad_u64_u32 v[5:6], null, s6, v1, 0
	v_add_co_ci_u32_e32 v7, vcc_lo, 0, v10, vcc_lo
	v_mul_lo_u32 v1, s7, v12
	v_add_co_u32 v34, vcc_lo, s8, v3
	s_delay_alu instid0(VALU_DEP_3)
	v_mul_lo_u32 v14, s6, v7
	v_mad_u64_u32 v[7:8], null, s6, v12, 0
	v_add3_u32 v6, v6, v13, v11
	v_add_co_ci_u32_e32 v35, vcc_lo, s9, v4, vcc_lo
	v_add_co_u32 v36, vcc_lo, s10, v3
	v_add_co_ci_u32_e32 v37, vcc_lo, s11, v4, vcc_lo
	s_delay_alu instid0(VALU_DEP_4) | instskip(SKIP_3) | instid1(VALU_DEP_4)
	v_lshlrev_b64 v[3:4], 1, v[5:6]
	v_add3_u32 v8, v8, v14, v1
	v_add_co_u32 v1, vcc_lo, v9, 3
	v_add_co_ci_u32_e32 v11, vcc_lo, 0, v10, vcc_lo
	v_add_co_u32 v38, vcc_lo, s8, v3
	s_delay_alu instid0(VALU_DEP_4)
	v_lshlrev_b64 v[5:6], 1, v[7:8]
	v_add_co_ci_u32_e32 v39, vcc_lo, s9, v4, vcc_lo
	v_mul_lo_u32 v12, s7, v1
	v_mul_lo_u32 v11, s6, v11
	v_mad_u64_u32 v[7:8], null, s6, v1, 0
	v_add_co_u32 v40, vcc_lo, s10, v3
	v_add_co_ci_u32_e32 v41, vcc_lo, s11, v4, vcc_lo
	v_add_co_u32 v42, vcc_lo, s8, v5
	v_add_co_ci_u32_e32 v43, vcc_lo, s9, v6, vcc_lo
	v_add_co_u32 v1, vcc_lo, v9, 2
	v_add3_u32 v8, v8, v11, v12
	v_add_co_ci_u32_e32 v11, vcc_lo, 0, v10, vcc_lo
	v_add_co_u32 v44, vcc_lo, s10, v5
	v_add_co_ci_u32_e32 v45, vcc_lo, s11, v6, vcc_lo
	v_mul_lo_u32 v12, s7, v1
	s_delay_alu instid0(VALU_DEP_4)
	v_mul_lo_u32 v11, s6, v11
	v_mad_u64_u32 v[5:6], null, s6, v1, 0
	v_lshlrev_b64 v[3:4], 1, v[7:8]
	v_mul_lo_u32 v1, s7, v9
	v_mul_lo_u32 v10, s6, v10
	v_mad_u64_u32 v[7:8], null, s6, v9, 0
	s_lshl_b64 s[28:29], s[18:19], 1
	s_delay_alu instid0(VALU_DEP_4)
	v_add_co_u32 v46, vcc_lo, s8, v3
	v_add3_u32 v6, v6, v11, v12
	v_add_co_ci_u32_e32 v47, vcc_lo, s9, v4, vcc_lo
	v_add_co_u32 v48, vcc_lo, s10, v3
	v_add3_u32 v8, v8, v10, v1
	v_add_co_ci_u32_e32 v49, vcc_lo, s11, v4, vcc_lo
	v_lshlrev_b64 v[3:4], 1, v[5:6]
	v_add_co_u32 v5, vcc_lo, v7, s6
	s_delay_alu instid0(VALU_DEP_4) | instskip(SKIP_1) | instid1(VALU_DEP_3)
	v_add_co_ci_u32_e32 v6, vcc_lo, s7, v8, vcc_lo
	s_add_u32 s30, s24, 63
	v_add_co_u32 v50, vcc_lo, s8, v3
	s_delay_alu instid0(VALU_DEP_2) | instskip(SKIP_3) | instid1(VALU_DEP_4)
	v_lshlrev_b64 v[5:6], 1, v[5:6]
	v_add_co_ci_u32_e32 v51, vcc_lo, s9, v4, vcc_lo
	v_add_co_u32 v52, vcc_lo, s10, v3
	v_add_co_ci_u32_e32 v53, vcc_lo, s11, v4, vcc_lo
	v_add_co_u32 v54, vcc_lo, s8, v5
	v_lshlrev_b64 v[3:4], 1, v[7:8]
	v_add_co_ci_u32_e32 v55, vcc_lo, s9, v6, vcc_lo
	v_add_co_u32 v56, vcc_lo, s10, v5
	v_add_co_ci_u32_e32 v57, vcc_lo, s11, v6, vcc_lo
	s_delay_alu instid0(VALU_DEP_4)
	v_add_co_u32 v58, vcc_lo, s8, v3
	v_add_co_ci_u32_e32 v59, vcc_lo, s9, v4, vcc_lo
	v_add_co_u32 v60, vcc_lo, s10, v3
	v_add_co_ci_u32_e32 v61, vcc_lo, s11, v4, vcc_lo
	s_addc_u32 s31, 0, 0
.LBB193_3:                              ; =>This Inner Loop Header: Depth=1
	s_delay_alu instid0(SALU_CYCLE_1) | instskip(SKIP_1) | instid1(VALU_DEP_1)
	v_cmp_ge_i64_e64 s3, s[30:31], s[4:5]
	v_add_co_u32 v63, s17, v28, s30
	v_add_co_ci_u32_e64 v64, null, 0, s31, s17
	s_delay_alu instid0(VALU_DEP_3)
	s_and_b32 vcc_lo, exec_lo, s3
	s_cbranch_vccz .LBB193_25
; %bb.4:                                ;   in Loop: Header=BB193_3 Depth=1
	s_load_b32 s3, s[26:27], 0xc
	v_mov_b32_e32 v65, 0
	s_waitcnt lgkmcnt(0)
	s_and_b32 s3, s3, 0xffff
	s_delay_alu instid0(SALU_CYCLE_1) | instskip(SKIP_1) | instid1(VALU_DEP_1)
	v_mad_u32_u24 v1, v27, s3, v29
	s_mov_b32 s3, exec_lo
	v_and_b32_e32 v1, 31, v1
	s_delay_alu instid0(VALU_DEP_1)
	v_cmpx_gt_u32_e32 8, v1
	s_cbranch_execz .LBB193_8
; %bb.5:                                ;   in Loop: Header=BB193_3 Depth=1
	v_add_co_u32 v1, vcc_lo, v63, v1
	v_add_co_ci_u32_e32 v4, vcc_lo, 0, v64, vcc_lo
	v_mov_b32_e32 v65, 0
	s_delay_alu instid0(VALU_DEP_3) | instskip(NEXT) | instid1(VALU_DEP_3)
	v_add_co_u32 v3, vcc_lo, 0xffffffc1, v1
	v_add_co_ci_u32_e32 v4, vcc_lo, -1, v4, vcc_lo
	s_mov_b32 s17, exec_lo
	s_delay_alu instid0(VALU_DEP_1)
	v_cmpx_gt_i64_e64 s[4:5], v[3:4]
	s_cbranch_execz .LBB193_7
; %bb.6:                                ;   in Loop: Header=BB193_3 Depth=1
	v_lshlrev_b64 v[3:4], 2, v[3:4]
	s_delay_alu instid0(VALU_DEP_1) | instskip(NEXT) | instid1(VALU_DEP_2)
	v_add_co_u32 v3, vcc_lo, s12, v3
	v_add_co_ci_u32_e32 v4, vcc_lo, s13, v4, vcc_lo
	global_load_b32 v65, v[3:4], off
.LBB193_7:                              ;   in Loop: Header=BB193_3 Depth=1
	s_or_b32 exec_lo, exec_lo, s17
.LBB193_8:                              ;   in Loop: Header=BB193_3 Depth=1
	s_delay_alu instid0(SALU_CYCLE_1)
	s_or_b32 exec_lo, exec_lo, s3
	v_add_co_u32 v3, vcc_lo, 0xffffffc1, v63
	v_add_co_ci_u32_e32 v4, vcc_lo, -1, v64, vcc_lo
	s_mov_b32 s22, s16
	s_mov_b32 s23, s16
	;; [unrolled: 1-line block ×7, first 2 shown]
	v_dual_mov_b32 v9, s16 :: v_dual_mov_b32 v10, s17
	v_dual_mov_b32 v15, s22 :: v_dual_mov_b32 v16, s23
	;; [unrolled: 1-line block ×4, first 2 shown]
	v_cmp_gt_i64_e32 vcc_lo, s[4:5], v[3:4]
	s_delay_alu instid0(VALU_DEP_4) | instskip(NEXT) | instid1(VALU_DEP_3)
	v_dual_mov_b32 v24, v16 :: v_dual_mov_b32 v23, v15
	v_dual_mov_b32 v21, v13 :: v_dual_mov_b32 v22, v14
	;; [unrolled: 1-line block ×4, first 2 shown]
	s_and_b32 s17, s2, vcc_lo
	s_delay_alu instid0(SALU_CYCLE_1)
	s_and_saveexec_b32 s3, s17
	s_cbranch_execz .LBB193_10
; %bb.9:                                ;   in Loop: Header=BB193_3 Depth=1
	v_add_co_u32 v3, vcc_lo, v58, v25
	v_add_co_ci_u32_e32 v4, vcc_lo, v59, v26, vcc_lo
	v_add_co_u32 v5, vcc_lo, v60, v25
	v_add_co_ci_u32_e32 v6, vcc_lo, v61, v26, vcc_lo
	v_mov_b32_e32 v8, v2
	global_load_u16 v1, v[3:4], off
	global_load_u16 v9, v[5:6], off
	v_mov_b32_e32 v3, v2
	v_mov_b32_e32 v4, v2
	;; [unrolled: 1-line block ×6, first 2 shown]
	s_waitcnt vmcnt(1)
	v_lshlrev_b32_e32 v1, 16, v1
	s_waitcnt vmcnt(0)
	v_lshlrev_b32_e32 v9, 16, v9
	v_dual_mov_b32 v11, v2 :: v_dual_mov_b32 v24, v8
	v_dual_mov_b32 v10, v2 :: v_dual_mov_b32 v23, v7
	v_dual_mov_b32 v12, v2 :: v_dual_mov_b32 v21, v5
	v_dual_mov_b32 v13, v2 :: v_dual_mov_b32 v20, v4
	v_dual_mov_b32 v14, v2 :: v_dual_mov_b32 v19, v3
	v_dual_mov_b32 v16, v2 :: v_dual_mov_b32 v17, v1
	v_mov_b32_e32 v22, v6
	v_mov_b32_e32 v18, v2
.LBB193_10:                             ;   in Loop: Header=BB193_3 Depth=1
	s_or_b32 exec_lo, exec_lo, s3
	v_add_co_u32 v3, vcc_lo, 0xffffffc2, v63
	v_add_co_ci_u32_e32 v4, vcc_lo, -1, v64, vcc_lo
	s_delay_alu instid0(VALU_DEP_1) | instskip(SKIP_1) | instid1(SALU_CYCLE_1)
	v_cmp_gt_i64_e32 vcc_lo, s[4:5], v[3:4]
	s_and_b32 s17, s2, vcc_lo
	s_and_saveexec_b32 s3, s17
	s_cbranch_execz .LBB193_12
; %bb.11:                               ;   in Loop: Header=BB193_3 Depth=1
	v_add_co_u32 v3, vcc_lo, v54, v25
	v_add_co_ci_u32_e32 v4, vcc_lo, v55, v26, vcc_lo
	v_add_co_u32 v5, vcc_lo, v56, v25
	v_add_co_ci_u32_e32 v6, vcc_lo, v57, v26, vcc_lo
	global_load_u16 v1, v[3:4], off
	global_load_u16 v3, v[5:6], off
	s_waitcnt vmcnt(1)
	v_lshlrev_b32_e32 v18, 16, v1
	s_waitcnt vmcnt(0)
	v_lshlrev_b32_e32 v10, 16, v3
.LBB193_12:                             ;   in Loop: Header=BB193_3 Depth=1
	s_or_b32 exec_lo, exec_lo, s3
	v_add_co_u32 v3, vcc_lo, 0xffffffc3, v63
	v_add_co_ci_u32_e32 v4, vcc_lo, -1, v64, vcc_lo
	s_delay_alu instid0(VALU_DEP_1) | instskip(SKIP_1) | instid1(SALU_CYCLE_1)
	v_cmp_gt_i64_e32 vcc_lo, s[4:5], v[3:4]
	s_and_b32 s17, s2, vcc_lo
	s_and_saveexec_b32 s3, s17
	s_cbranch_execz .LBB193_14
; %bb.13:                               ;   in Loop: Header=BB193_3 Depth=1
	v_add_co_u32 v3, vcc_lo, v50, v25
	v_add_co_ci_u32_e32 v4, vcc_lo, v51, v26, vcc_lo
	v_add_co_u32 v5, vcc_lo, v52, v25
	v_add_co_ci_u32_e32 v6, vcc_lo, v53, v26, vcc_lo
	global_load_u16 v1, v[3:4], off
	global_load_u16 v3, v[5:6], off
	s_waitcnt vmcnt(1)
	v_lshlrev_b32_e32 v19, 16, v1
	s_waitcnt vmcnt(0)
	v_lshlrev_b32_e32 v11, 16, v3
.LBB193_14:                             ;   in Loop: Header=BB193_3 Depth=1
	;; [unrolled: 20-line block ×7, first 2 shown]
	s_or_b32 exec_lo, exec_lo, s3
	s_waitcnt vmcnt(0)
	ds_bpermute_b32 v1, v2, v65
	ds_bpermute_b32 v3, v2, v65 offset:4
	ds_bpermute_b32 v4, v2, v65 offset:8
	v_mul_f32_e32 v5, v9, v17
	ds_bpermute_b32 v6, v2, v65 offset:12
	v_mul_f32_e32 v7, v10, v18
	ds_bpermute_b32 v8, v2, v65 offset:16
	ds_bpermute_b32 v9, v2, v65 offset:20
	s_waitcnt lgkmcnt(5)
	v_fma_f32 v1, v5, v1, v62
	v_mul_f32_e32 v5, v11, v19
	s_waitcnt lgkmcnt(4)
	s_delay_alu instid0(VALU_DEP_2) | instskip(SKIP_2) | instid1(VALU_DEP_2)
	v_fmac_f32_e32 v1, v7, v3
	v_mul_f32_e32 v3, v12, v20
	s_waitcnt lgkmcnt(3)
	v_fmac_f32_e32 v1, v5, v4
	ds_bpermute_b32 v4, v2, v65 offset:24
	v_mul_f32_e32 v5, v13, v21
	s_waitcnt lgkmcnt(3)
	v_fmac_f32_e32 v1, v3, v6
	v_mul_f32_e32 v6, v14, v22
	ds_bpermute_b32 v3, v2, v65 offset:28
	s_waitcnt lgkmcnt(3)
	v_fmac_f32_e32 v1, v5, v8
	v_mul_f32_e32 v5, v15, v23
	s_waitcnt lgkmcnt(2)
	s_delay_alu instid0(VALU_DEP_2) | instskip(SKIP_1) | instid1(VALU_DEP_1)
	v_fmac_f32_e32 v1, v6, v9
	s_waitcnt lgkmcnt(1)
	v_fmac_f32_e32 v1, v5, v4
	s_branch .LBB193_40
.LBB193_25:                             ;   in Loop: Header=BB193_3 Depth=1
                                        ; implicit-def: $vgpr1
                                        ; implicit-def: $vgpr9_vgpr10_vgpr11_vgpr12_vgpr13_vgpr14_vgpr15_vgpr16
                                        ; implicit-def: $vgpr17_vgpr18_vgpr19_vgpr20_vgpr21_vgpr22_vgpr23_vgpr24
                                        ; implicit-def: $vgpr3
	s_cbranch_execz .LBB193_40
; %bb.26:                               ;   in Loop: Header=BB193_3 Depth=1
	s_load_b32 s3, s[26:27], 0x0
	v_mov_b32_e32 v65, 0
	s_waitcnt lgkmcnt(0)
	s_cmp_lt_u32 s14, s3
	s_cselect_b32 s3, 12, 18
	s_delay_alu instid0(SALU_CYCLE_1)
	s_add_u32 s18, s26, s3
	s_addc_u32 s19, s27, 0
	s_mov_b32 s3, exec_lo
	global_load_u16 v1, v2, s[18:19]
	s_waitcnt vmcnt(0)
	v_mad_u32_u24 v1, v27, v1, v29
	s_delay_alu instid0(VALU_DEP_1) | instskip(NEXT) | instid1(VALU_DEP_1)
	v_and_b32_e32 v1, 31, v1
	v_cmpx_gt_u32_e32 8, v1
	s_cbranch_execz .LBB193_30
; %bb.27:                               ;   in Loop: Header=BB193_3 Depth=1
	v_add_co_u32 v1, vcc_lo, v63, v1
	v_add_co_ci_u32_e32 v4, vcc_lo, 0, v64, vcc_lo
	v_mov_b32_e32 v65, 0
	s_delay_alu instid0(VALU_DEP_3) | instskip(NEXT) | instid1(VALU_DEP_3)
	v_add_co_u32 v3, vcc_lo, 0xffffffc1, v1
	v_add_co_ci_u32_e32 v4, vcc_lo, -1, v4, vcc_lo
	s_mov_b32 s17, exec_lo
	s_delay_alu instid0(VALU_DEP_1)
	v_cmpx_gt_i64_e64 s[4:5], v[3:4]
	s_cbranch_execz .LBB193_29
; %bb.28:                               ;   in Loop: Header=BB193_3 Depth=1
	v_lshlrev_b64 v[3:4], 2, v[3:4]
	s_delay_alu instid0(VALU_DEP_1) | instskip(NEXT) | instid1(VALU_DEP_2)
	v_add_co_u32 v3, vcc_lo, s12, v3
	v_add_co_ci_u32_e32 v4, vcc_lo, s13, v4, vcc_lo
	global_load_b32 v65, v[3:4], off
.LBB193_29:                             ;   in Loop: Header=BB193_3 Depth=1
	s_or_b32 exec_lo, exec_lo, s17
.LBB193_30:                             ;   in Loop: Header=BB193_3 Depth=1
	s_delay_alu instid0(SALU_CYCLE_1)
	s_or_b32 exec_lo, exec_lo, s3
	s_mov_b32 s22, s16
	s_mov_b32 s23, s16
	;; [unrolled: 1-line block ×7, first 2 shown]
	v_dual_mov_b32 v9, s16 :: v_dual_mov_b32 v10, s17
	v_dual_mov_b32 v15, s22 :: v_dual_mov_b32 v16, s23
	;; [unrolled: 1-line block ×4, first 2 shown]
	s_delay_alu instid0(VALU_DEP_3) | instskip(NEXT) | instid1(VALU_DEP_3)
	v_dual_mov_b32 v24, v16 :: v_dual_mov_b32 v23, v15
	v_dual_mov_b32 v20, v12 :: v_dual_mov_b32 v19, v11
	s_delay_alu instid0(VALU_DEP_3)
	v_dual_mov_b32 v22, v14 :: v_dual_mov_b32 v21, v13
	v_dual_mov_b32 v18, v10 :: v_dual_mov_b32 v17, v9
	s_and_saveexec_b32 s3, s2
	s_cbranch_execnz .LBB193_42
; %bb.31:                               ;   in Loop: Header=BB193_3 Depth=1
	s_or_b32 exec_lo, exec_lo, s3
	s_and_saveexec_b32 s3, s2
	s_cbranch_execnz .LBB193_43
.LBB193_32:                             ;   in Loop: Header=BB193_3 Depth=1
	s_or_b32 exec_lo, exec_lo, s3
	s_and_saveexec_b32 s3, s2
	s_cbranch_execnz .LBB193_44
.LBB193_33:                             ;   in Loop: Header=BB193_3 Depth=1
	s_or_b32 exec_lo, exec_lo, s3
	s_and_saveexec_b32 s3, s2
	s_cbranch_execnz .LBB193_45
.LBB193_34:                             ;   in Loop: Header=BB193_3 Depth=1
	s_or_b32 exec_lo, exec_lo, s3
	s_and_saveexec_b32 s3, s2
	s_cbranch_execnz .LBB193_46
.LBB193_35:                             ;   in Loop: Header=BB193_3 Depth=1
	s_or_b32 exec_lo, exec_lo, s3
	s_and_saveexec_b32 s3, s2
	s_cbranch_execnz .LBB193_47
.LBB193_36:                             ;   in Loop: Header=BB193_3 Depth=1
	s_or_b32 exec_lo, exec_lo, s3
	s_and_saveexec_b32 s3, s2
	s_cbranch_execnz .LBB193_48
.LBB193_37:                             ;   in Loop: Header=BB193_3 Depth=1
	s_or_b32 exec_lo, exec_lo, s3
	s_and_saveexec_b32 s3, s2
	s_cbranch_execz .LBB193_39
.LBB193_38:                             ;   in Loop: Header=BB193_3 Depth=1
	v_add_co_u32 v3, vcc_lo, v30, v25
	v_add_co_ci_u32_e32 v4, vcc_lo, v31, v26, vcc_lo
	v_add_co_u32 v5, vcc_lo, v32, v25
	v_add_co_ci_u32_e32 v6, vcc_lo, v33, v26, vcc_lo
	global_load_u16 v1, v[3:4], off
	global_load_u16 v3, v[5:6], off
	s_waitcnt vmcnt(1)
	v_lshlrev_b32_e32 v24, 16, v1
	s_waitcnt vmcnt(0)
	v_lshlrev_b32_e32 v16, 16, v3
.LBB193_39:                             ;   in Loop: Header=BB193_3 Depth=1
	s_or_b32 exec_lo, exec_lo, s3
	s_waitcnt vmcnt(0)
	ds_bpermute_b32 v1, v2, v65
	ds_bpermute_b32 v3, v2, v65 offset:4
	ds_bpermute_b32 v4, v2, v65 offset:8
	;; [unrolled: 1-line block ×3, first 2 shown]
	v_mul_f32_e32 v7, v10, v18
	v_mul_f32_e32 v5, v9, v17
	ds_bpermute_b32 v8, v2, v65 offset:16
	s_waitcnt lgkmcnt(4)
	v_dual_fmac_f32 v62, v5, v1 :: v_dual_mul_f32 v1, v11, v19
	ds_bpermute_b32 v5, v2, v65 offset:20
	s_waitcnt lgkmcnt(4)
	v_dual_fmac_f32 v62, v7, v3 :: v_dual_mul_f32 v3, v12, v20
	s_waitcnt lgkmcnt(3)
	s_delay_alu instid0(VALU_DEP_1)
	v_fmac_f32_e32 v62, v1, v4
	ds_bpermute_b32 v1, v2, v65 offset:24
	v_mul_f32_e32 v4, v13, v21
	s_waitcnt lgkmcnt(3)
	v_fmac_f32_e32 v62, v3, v6
	v_mul_f32_e32 v6, v14, v22
	ds_bpermute_b32 v3, v2, v65 offset:28
	s_waitcnt lgkmcnt(3)
	v_fmac_f32_e32 v62, v4, v8
	v_mul_f32_e32 v4, v15, v23
	s_waitcnt lgkmcnt(2)
	s_delay_alu instid0(VALU_DEP_2) | instskip(SKIP_1) | instid1(VALU_DEP_1)
	v_fmac_f32_e32 v62, v6, v5
	s_waitcnt lgkmcnt(1)
	v_fmac_f32_e32 v62, v4, v1
	s_delay_alu instid0(VALU_DEP_1)
	v_mov_b32_e32 v1, v62
.LBB193_40:                             ;   in Loop: Header=BB193_3 Depth=1
	v_add_co_u32 v30, vcc_lo, v30, s28
	v_add_co_ci_u32_e32 v31, vcc_lo, s29, v31, vcc_lo
	v_add_co_u32 v32, vcc_lo, v32, s28
	v_add_co_ci_u32_e32 v33, vcc_lo, s29, v33, vcc_lo
	;; [unrolled: 2-line block ×13, first 2 shown]
	v_add_co_u32 v56, vcc_lo, v56, s28
	s_add_u32 s34, s34, s36
	v_add_co_ci_u32_e32 v57, vcc_lo, s29, v57, vcc_lo
	v_mul_f32_e32 v4, v24, v16
	s_addc_u32 s35, s35, 0
	v_add_co_u32 v58, vcc_lo, v58, s28
	v_cmp_lt_i64_e64 s3, s[34:35], s[4:5]
	v_add_co_ci_u32_e32 v59, vcc_lo, s29, v59, vcc_lo
	v_add_co_u32 v60, vcc_lo, v60, s28
	s_waitcnt lgkmcnt(0)
	v_fmac_f32_e32 v1, v4, v3
	v_add_co_ci_u32_e32 v61, vcc_lo, s29, v61, vcc_lo
	s_add_u32 s30, s30, s36
	s_addc_u32 s31, s31, 0
	s_and_b32 vcc_lo, exec_lo, s3
	s_cbranch_vccz .LBB193_50
; %bb.41:                               ;   in Loop: Header=BB193_3 Depth=1
	v_mov_b32_e32 v62, v1
	s_branch .LBB193_3
.LBB193_42:                             ;   in Loop: Header=BB193_3 Depth=1
	v_add_co_u32 v3, vcc_lo, v58, v25
	v_add_co_ci_u32_e32 v4, vcc_lo, v59, v26, vcc_lo
	v_add_co_u32 v5, vcc_lo, v60, v25
	v_add_co_ci_u32_e32 v6, vcc_lo, v61, v26, vcc_lo
	v_mov_b32_e32 v8, v2
	global_load_u16 v1, v[3:4], off
	global_load_u16 v9, v[5:6], off
	v_mov_b32_e32 v3, v2
	v_mov_b32_e32 v4, v2
	;; [unrolled: 1-line block ×6, first 2 shown]
	s_waitcnt vmcnt(1)
	v_lshlrev_b32_e32 v1, 16, v1
	s_waitcnt vmcnt(0)
	v_lshlrev_b32_e32 v9, 16, v9
	v_dual_mov_b32 v11, v2 :: v_dual_mov_b32 v24, v8
	v_dual_mov_b32 v10, v2 :: v_dual_mov_b32 v23, v7
	;; [unrolled: 1-line block ×6, first 2 shown]
	v_mov_b32_e32 v22, v6
	v_mov_b32_e32 v18, v2
	s_or_b32 exec_lo, exec_lo, s3
	s_and_saveexec_b32 s3, s2
	s_cbranch_execz .LBB193_32
.LBB193_43:                             ;   in Loop: Header=BB193_3 Depth=1
	v_add_co_u32 v3, vcc_lo, v54, v25
	v_add_co_ci_u32_e32 v4, vcc_lo, v55, v26, vcc_lo
	v_add_co_u32 v5, vcc_lo, v56, v25
	v_add_co_ci_u32_e32 v6, vcc_lo, v57, v26, vcc_lo
	global_load_u16 v1, v[3:4], off
	global_load_u16 v3, v[5:6], off
	s_waitcnt vmcnt(1)
	v_lshlrev_b32_e32 v18, 16, v1
	s_waitcnt vmcnt(0)
	v_lshlrev_b32_e32 v10, 16, v3
	s_or_b32 exec_lo, exec_lo, s3
	s_and_saveexec_b32 s3, s2
	s_cbranch_execz .LBB193_33
.LBB193_44:                             ;   in Loop: Header=BB193_3 Depth=1
	v_add_co_u32 v3, vcc_lo, v50, v25
	v_add_co_ci_u32_e32 v4, vcc_lo, v51, v26, vcc_lo
	v_add_co_u32 v5, vcc_lo, v52, v25
	v_add_co_ci_u32_e32 v6, vcc_lo, v53, v26, vcc_lo
	global_load_u16 v1, v[3:4], off
	global_load_u16 v3, v[5:6], off
	s_waitcnt vmcnt(1)
	v_lshlrev_b32_e32 v19, 16, v1
	s_waitcnt vmcnt(0)
	v_lshlrev_b32_e32 v11, 16, v3
	s_or_b32 exec_lo, exec_lo, s3
	s_and_saveexec_b32 s3, s2
	s_cbranch_execz .LBB193_34
.LBB193_45:                             ;   in Loop: Header=BB193_3 Depth=1
	v_add_co_u32 v3, vcc_lo, v46, v25
	v_add_co_ci_u32_e32 v4, vcc_lo, v47, v26, vcc_lo
	v_add_co_u32 v5, vcc_lo, v48, v25
	v_add_co_ci_u32_e32 v6, vcc_lo, v49, v26, vcc_lo
	global_load_u16 v1, v[3:4], off
	global_load_u16 v3, v[5:6], off
	s_waitcnt vmcnt(1)
	v_lshlrev_b32_e32 v20, 16, v1
	s_waitcnt vmcnt(0)
	v_lshlrev_b32_e32 v12, 16, v3
	s_or_b32 exec_lo, exec_lo, s3
	s_and_saveexec_b32 s3, s2
	s_cbranch_execz .LBB193_35
.LBB193_46:                             ;   in Loop: Header=BB193_3 Depth=1
	v_add_co_u32 v3, vcc_lo, v42, v25
	v_add_co_ci_u32_e32 v4, vcc_lo, v43, v26, vcc_lo
	v_add_co_u32 v5, vcc_lo, v44, v25
	v_add_co_ci_u32_e32 v6, vcc_lo, v45, v26, vcc_lo
	global_load_u16 v1, v[3:4], off
	global_load_u16 v3, v[5:6], off
	s_waitcnt vmcnt(1)
	v_lshlrev_b32_e32 v21, 16, v1
	s_waitcnt vmcnt(0)
	v_lshlrev_b32_e32 v13, 16, v3
	s_or_b32 exec_lo, exec_lo, s3
	s_and_saveexec_b32 s3, s2
	s_cbranch_execz .LBB193_36
.LBB193_47:                             ;   in Loop: Header=BB193_3 Depth=1
	v_add_co_u32 v3, vcc_lo, v38, v25
	v_add_co_ci_u32_e32 v4, vcc_lo, v39, v26, vcc_lo
	v_add_co_u32 v5, vcc_lo, v40, v25
	v_add_co_ci_u32_e32 v6, vcc_lo, v41, v26, vcc_lo
	global_load_u16 v1, v[3:4], off
	global_load_u16 v3, v[5:6], off
	s_waitcnt vmcnt(1)
	v_lshlrev_b32_e32 v22, 16, v1
	s_waitcnt vmcnt(0)
	v_lshlrev_b32_e32 v14, 16, v3
	s_or_b32 exec_lo, exec_lo, s3
	s_and_saveexec_b32 s3, s2
	s_cbranch_execz .LBB193_37
.LBB193_48:                             ;   in Loop: Header=BB193_3 Depth=1
	v_add_co_u32 v3, vcc_lo, v34, v25
	v_add_co_ci_u32_e32 v4, vcc_lo, v35, v26, vcc_lo
	v_add_co_u32 v5, vcc_lo, v36, v25
	v_add_co_ci_u32_e32 v6, vcc_lo, v37, v26, vcc_lo
	global_load_u16 v1, v[3:4], off
	global_load_u16 v3, v[5:6], off
	s_waitcnt vmcnt(1)
	v_lshlrev_b32_e32 v23, 16, v1
	s_waitcnt vmcnt(0)
	v_lshlrev_b32_e32 v15, 16, v3
	s_or_b32 exec_lo, exec_lo, s3
	s_and_saveexec_b32 s3, s2
	s_cbranch_execnz .LBB193_38
	s_branch .LBB193_39
.LBB193_49:
                                        ; implicit-def: $vgpr1
	s_branch .LBB193_51
.LBB193_50:
	s_cbranch_execnz .LBB193_83
.LBB193_51:
	v_mov_b32_e32 v1, 0
	s_and_not1_b32 vcc_lo, exec_lo, s15
	s_cbranch_vccnz .LBB193_83
; %bb.52:
	s_load_b32 s2, s[0:1], 0x44
	v_dual_mov_b32 v2, 0 :: v_dual_and_b32 v55, 0x3ff, v0
	v_bfe_u32 v56, v0, 10, 10
	s_add_u32 s26, s0, 64
	s_addc_u32 s27, s1, 0
	s_delay_alu instid0(VALU_DEP_2) | instskip(NEXT) | instid1(VALU_DEP_2)
	v_dual_mov_b32 v90, 0 :: v_dual_add_nc_u32 v1, s33, v55
	v_lshlrev_b32_e32 v3, 4, v56
	v_lshlrev_b32_e32 v57, 3, v56
	s_delay_alu instid0(VALU_DEP_3)
	v_lshlrev_b64 v[25:26], 1, v[1:2]
	s_waitcnt lgkmcnt(0)
	s_lshl_b32 s15, s2, 6
	s_add_u32 s28, s24, 63
	s_addc_u32 s29, 0, 0
	s_lshl_b64 s[2:3], s[24:25], 1
	s_mul_i32 s16, s7, s15
	v_add_co_u32 v1, s2, v3, s2
	s_delay_alu instid0(VALU_DEP_1) | instskip(SKIP_1) | instid1(VALU_DEP_3)
	v_add_co_ci_u32_e64 v3, null, 0, s3, s2
	v_add_co_u32 v74, s3, v57, s24
	v_add_co_u32 v7, vcc_lo, v1, 2
	s_delay_alu instid0(VALU_DEP_3) | instskip(SKIP_3) | instid1(VALU_DEP_4)
	v_add_co_ci_u32_e32 v4, vcc_lo, 0, v3, vcc_lo
	v_add_co_u32 v8, vcc_lo, v1, 4
	v_add_co_ci_u32_e32 v5, vcc_lo, 0, v3, vcc_lo
	v_add_co_u32 v11, vcc_lo, v1, 6
	v_mul_lo_u32 v9, s6, v4
	v_add_co_ci_u32_e32 v4, vcc_lo, 0, v3, vcc_lo
	v_add_co_u32 v14, vcc_lo, v1, 8
	v_mul_lo_u32 v12, s6, v5
	;; [unrolled: 3-line block ×4, first 2 shown]
	v_add_co_ci_u32_e32 v5, vcc_lo, 0, v3, vcc_lo
	v_add_co_ci_u32_e64 v75, null, 0, 0, s3
	v_add_co_u32 v1, vcc_lo, v1, 14
	v_mul_lo_u32 v21, s6, v4
	s_delay_alu instid0(VALU_DEP_4) | instskip(SKIP_4) | instid1(VALU_DEP_4)
	v_mul_lo_u32 v23, s6, v5
	v_add_co_ci_u32_e32 v5, vcc_lo, 0, v3, vcc_lo
	v_mul_lo_u32 v6, s7, v74
	v_mul_lo_u32 v41, s6, v75
	v_mad_u64_u32 v[3:4], null, s6, v74, 0
	v_mul_lo_u32 v60, s6, v5
	v_mad_u64_u32 v[27:28], null, s6, v7, s[8:9]
	;; [unrolled: 2-line block ×3, first 2 shown]
	v_add3_u32 v4, v4, v41, v6
	v_mad_u64_u32 v[41:42], null, s6, v7, s[10:11]
	v_mul_lo_u32 v13, s7, v8
	v_mad_u64_u32 v[43:44], null, s6, v8, s[10:11]
	s_delay_alu instid0(VALU_DEP_4)
	v_lshlrev_b64 v[5:6], 1, v[3:4]
	v_add3_u32 v28, v10, v28, v9
	v_mad_u64_u32 v[31:32], null, s6, v11, s[8:9]
	v_add3_u32 v42, v10, v42, v9
	v_add3_u32 v30, v13, v30, v12
	v_add_co_u32 v58, vcc_lo, s8, v5
	v_add_co_ci_u32_e32 v59, vcc_lo, s9, v6, vcc_lo
	v_add_co_u32 v9, vcc_lo, v74, 7
	v_add_co_ci_u32_e32 v7, vcc_lo, 0, v75, vcc_lo
	v_add3_u32 v44, v13, v44, v12
	v_add_co_u32 v12, vcc_lo, v74, 6
	v_mul_lo_u32 v16, s7, v11
	v_mad_u64_u32 v[39:40], null, s6, v1, s[8:9]
	v_mul_lo_u32 v61, s7, v1
	v_mad_u64_u32 v[45:46], null, s6, v11, s[10:11]
	v_mad_u64_u32 v[53:54], null, s6, v1, s[10:11]
	v_mul_lo_u32 v1, s7, v9
	v_mul_lo_u32 v11, s6, v7
	v_mad_u64_u32 v[7:8], null, s6, v9, 0
	v_add_co_ci_u32_e32 v10, vcc_lo, 0, v75, vcc_lo
	v_mad_u64_u32 v[33:34], null, s6, v14, s[8:9]
	v_mul_lo_u32 v19, s7, v14
	v_mad_u64_u32 v[47:48], null, s6, v14, s[10:11]
	v_mul_lo_u32 v13, s7, v12
	v_mul_lo_u32 v14, s6, v10
	v_mad_u64_u32 v[9:10], null, s6, v12, 0
	v_add3_u32 v8, v8, v11, v1
	v_add3_u32 v40, v61, v40, v60
	;; [unrolled: 1-line block ×3, first 2 shown]
	v_add_co_u32 v60, vcc_lo, s10, v5
	v_add_co_ci_u32_e32 v61, vcc_lo, s11, v6, vcc_lo
	v_lshlrev_b64 v[5:6], 1, v[7:8]
	v_add3_u32 v10, v10, v14, v13
	v_add_co_u32 v1, vcc_lo, v74, 5
	v_add_co_ci_u32_e32 v11, vcc_lo, 0, v75, vcc_lo
	s_delay_alu instid0(VALU_DEP_4) | instskip(NEXT) | instid1(VALU_DEP_4)
	v_add_co_u32 v62, vcc_lo, s8, v5
	v_lshlrev_b64 v[7:8], 1, v[9:10]
	v_add_co_ci_u32_e32 v63, vcc_lo, s9, v6, vcc_lo
	v_mul_lo_u32 v12, s7, v1
	v_mul_lo_u32 v11, s6, v11
	v_mad_u64_u32 v[9:10], null, s6, v1, 0
	v_add_co_u32 v64, vcc_lo, s10, v5
	v_add_co_ci_u32_e32 v65, vcc_lo, s11, v6, vcc_lo
	v_add_co_u32 v66, vcc_lo, s8, v7
	v_add_co_ci_u32_e32 v67, vcc_lo, s9, v8, vcc_lo
	s_mul_hi_u32 s2, s6, s15
	v_add_co_u32 v1, vcc_lo, v74, 4
	v_add3_u32 v10, v10, v11, v12
	s_add_i32 s3, s2, s16
	v_add_co_u32 v68, s2, s10, v7
	v_add_co_ci_u32_e32 v7, vcc_lo, 0, v75, vcc_lo
	v_add_co_u32 v12, vcc_lo, v74, 3
	v_lshlrev_b64 v[5:6], 1, v[9:10]
	v_add_co_ci_u32_e32 v9, vcc_lo, 0, v75, vcc_lo
	v_add_co_ci_u32_e64 v69, s2, s11, v8, s2
	v_mul_lo_u32 v11, s7, v1
	v_mul_lo_u32 v13, s6, v7
	v_mad_u64_u32 v[7:8], null, s6, v1, 0
	v_mul_lo_u32 v1, s7, v12
	v_mul_lo_u32 v14, s6, v9
	v_mad_u64_u32 v[9:10], null, s6, v12, 0
	v_add_co_u32 v70, vcc_lo, s8, v5
	v_add_co_ci_u32_e32 v71, vcc_lo, s9, v6, vcc_lo
	v_add3_u32 v8, v8, v13, v11
	v_add_co_u32 v72, vcc_lo, s10, v5
	v_add_co_ci_u32_e32 v73, vcc_lo, s11, v6, vcc_lo
	v_add3_u32 v10, v10, v14, v1
	v_add_co_u32 v1, vcc_lo, v74, 2
	v_lshlrev_b64 v[5:6], 1, v[7:8]
	v_add_co_ci_u32_e32 v11, vcc_lo, 0, v75, vcc_lo
	s_delay_alu instid0(VALU_DEP_4) | instskip(NEXT) | instid1(VALU_DEP_4)
	v_lshlrev_b64 v[7:8], 1, v[9:10]
	v_mul_lo_u32 v12, s7, v1
	v_mad_u64_u32 v[9:10], null, s6, v1, 0
	v_add_co_u32 v74, vcc_lo, s8, v5
	v_mul_lo_u32 v11, s6, v11
	v_add_co_ci_u32_e32 v75, vcc_lo, s9, v6, vcc_lo
	v_add_co_u32 v76, vcc_lo, s10, v5
	v_add_co_ci_u32_e32 v77, vcc_lo, s11, v6, vcc_lo
	v_add_co_u32 v78, vcc_lo, s8, v7
	v_add_co_ci_u32_e32 v79, vcc_lo, s9, v8, vcc_lo
	v_add3_u32 v10, v10, v11, v12
	v_add_co_u32 v80, vcc_lo, s10, v7
	v_add_co_ci_u32_e32 v81, vcc_lo, s11, v8, vcc_lo
	v_add_co_u32 v3, vcc_lo, v3, s6
	s_delay_alu instid0(VALU_DEP_4) | instskip(SKIP_3) | instid1(VALU_DEP_4)
	v_lshlrev_b64 v[5:6], 1, v[9:10]
	v_add_co_ci_u32_e32 v4, vcc_lo, s7, v4, vcc_lo
	v_mad_u64_u32 v[35:36], null, s6, v18, s[8:9]
	v_mul_lo_u32 v22, s7, v18
	v_add_co_u32 v82, vcc_lo, s8, v5
	s_delay_alu instid0(VALU_DEP_4)
	v_lshlrev_b64 v[3:4], 1, v[3:4]
	v_add_co_ci_u32_e32 v83, vcc_lo, s9, v6, vcc_lo
	v_mad_u64_u32 v[37:38], null, s6, v20, s[8:9]
	v_mul_lo_u32 v24, s7, v20
	v_mad_u64_u32 v[49:50], null, s6, v18, s[10:11]
	v_mad_u64_u32 v[51:52], null, s6, v20, s[10:11]
	v_add_co_u32 v84, vcc_lo, s10, v5
	v_add_co_ci_u32_e32 v85, vcc_lo, s11, v6, vcc_lo
	v_add_co_u32 v86, vcc_lo, s8, v3
	v_add_co_ci_u32_e32 v87, vcc_lo, s9, v4, vcc_lo
	v_add_co_u32 v88, vcc_lo, s10, v3
	v_add3_u32 v32, v16, v32, v15
	v_add3_u32 v34, v19, v34, v17
	;; [unrolled: 1-line block ×8, first 2 shown]
	v_add_co_ci_u32_e32 v89, vcc_lo, s11, v4, vcc_lo
	s_mul_i32 s2, s6, s15
	s_mov_b32 s16, 0
	s_lshl_b64 s[2:3], s[2:3], 1
.LBB193_53:                             ; =>This Inner Loop Header: Depth=1
	v_cmp_ge_i64_e64 s8, s[28:29], s[4:5]
	v_add_co_u32 v91, s9, v57, s28
	s_delay_alu instid0(VALU_DEP_1) | instskip(NEXT) | instid1(VALU_DEP_3)
	v_add_co_ci_u32_e64 v92, null, 0, s29, s9
	s_and_b32 vcc_lo, exec_lo, s8
	s_cbranch_vccz .LBB193_75
; %bb.54:                               ;   in Loop: Header=BB193_53 Depth=1
	s_load_b32 s8, s[26:27], 0xc
	v_mov_b32_e32 v93, 0
	s_waitcnt lgkmcnt(0)
	s_and_b32 s8, s8, 0xffff
	s_delay_alu instid0(SALU_CYCLE_1) | instskip(SKIP_1) | instid1(VALU_DEP_1)
	v_mad_u32_u24 v1, v56, s8, v55
	s_mov_b32 s8, exec_lo
	v_and_b32_e32 v1, 31, v1
	s_delay_alu instid0(VALU_DEP_1)
	v_cmpx_gt_u32_e32 8, v1
	s_cbranch_execz .LBB193_58
; %bb.55:                               ;   in Loop: Header=BB193_53 Depth=1
	v_add_co_u32 v1, vcc_lo, v91, v1
	v_add_co_ci_u32_e32 v4, vcc_lo, 0, v92, vcc_lo
	v_mov_b32_e32 v93, 0
	s_delay_alu instid0(VALU_DEP_3) | instskip(NEXT) | instid1(VALU_DEP_3)
	v_add_co_u32 v3, vcc_lo, 0xffffffc1, v1
	v_add_co_ci_u32_e32 v4, vcc_lo, -1, v4, vcc_lo
	s_mov_b32 s9, exec_lo
	s_delay_alu instid0(VALU_DEP_1)
	v_cmpx_gt_i64_e64 s[4:5], v[3:4]
	s_cbranch_execz .LBB193_57
; %bb.56:                               ;   in Loop: Header=BB193_53 Depth=1
	v_lshlrev_b64 v[3:4], 2, v[3:4]
	s_delay_alu instid0(VALU_DEP_1) | instskip(NEXT) | instid1(VALU_DEP_2)
	v_add_co_u32 v3, vcc_lo, s12, v3
	v_add_co_ci_u32_e32 v4, vcc_lo, s13, v4, vcc_lo
	global_load_b32 v93, v[3:4], off
.LBB193_57:                             ;   in Loop: Header=BB193_53 Depth=1
	s_or_b32 exec_lo, exec_lo, s9
.LBB193_58:                             ;   in Loop: Header=BB193_53 Depth=1
	s_delay_alu instid0(SALU_CYCLE_1)
	s_or_b32 exec_lo, exec_lo, s8
	s_mov_b32 s22, s16
	s_mov_b32 s23, s16
	;; [unrolled: 1-line block ×7, first 2 shown]
	v_dual_mov_b32 v9, s16 :: v_dual_mov_b32 v10, s17
	v_dual_mov_b32 v15, s22 :: v_dual_mov_b32 v16, s23
	;; [unrolled: 1-line block ×4, first 2 shown]
	v_add_co_u32 v3, vcc_lo, 0xffffffc1, v91
	s_delay_alu instid0(VALU_DEP_4) | instskip(SKIP_1) | instid1(VALU_DEP_4)
	v_dual_mov_b32 v24, v16 :: v_dual_mov_b32 v23, v15
	v_add_co_ci_u32_e32 v4, vcc_lo, -1, v92, vcc_lo
	v_dual_mov_b32 v22, v14 :: v_dual_mov_b32 v21, v13
	v_dual_mov_b32 v20, v12 :: v_dual_mov_b32 v19, v11
	;; [unrolled: 1-line block ×3, first 2 shown]
	s_mov_b32 s8, exec_lo
	v_cmpx_gt_i64_e64 s[4:5], v[3:4]
	s_cbranch_execz .LBB193_60
; %bb.59:                               ;   in Loop: Header=BB193_53 Depth=1
	v_add_co_u32 v3, vcc_lo, v58, v25
	v_add_co_ci_u32_e32 v4, vcc_lo, v59, v26, vcc_lo
	v_add_co_u32 v5, vcc_lo, v60, v25
	v_add_co_ci_u32_e32 v6, vcc_lo, v61, v26, vcc_lo
	v_mov_b32_e32 v8, v2
	global_load_u16 v1, v[3:4], off
	global_load_u16 v9, v[5:6], off
	v_mov_b32_e32 v3, v2
	v_mov_b32_e32 v4, v2
	;; [unrolled: 1-line block ×6, first 2 shown]
	s_waitcnt vmcnt(1)
	v_lshlrev_b32_e32 v1, 16, v1
	s_waitcnt vmcnt(0)
	v_lshlrev_b32_e32 v9, 16, v9
	v_dual_mov_b32 v11, v2 :: v_dual_mov_b32 v24, v8
	v_dual_mov_b32 v10, v2 :: v_dual_mov_b32 v23, v7
	;; [unrolled: 1-line block ×6, first 2 shown]
	v_mov_b32_e32 v22, v6
	v_mov_b32_e32 v18, v2
.LBB193_60:                             ;   in Loop: Header=BB193_53 Depth=1
	s_or_b32 exec_lo, exec_lo, s8
	v_add_co_u32 v3, vcc_lo, 0xffffffc2, v91
	v_add_co_ci_u32_e32 v4, vcc_lo, -1, v92, vcc_lo
	s_mov_b32 s8, exec_lo
	s_delay_alu instid0(VALU_DEP_1)
	v_cmpx_gt_i64_e64 s[4:5], v[3:4]
	s_cbranch_execz .LBB193_62
; %bb.61:                               ;   in Loop: Header=BB193_53 Depth=1
	v_add_co_u32 v3, vcc_lo, v86, v25
	v_add_co_ci_u32_e32 v4, vcc_lo, v87, v26, vcc_lo
	v_add_co_u32 v5, vcc_lo, v88, v25
	v_add_co_ci_u32_e32 v6, vcc_lo, v89, v26, vcc_lo
	global_load_u16 v1, v[3:4], off
	global_load_u16 v3, v[5:6], off
	s_waitcnt vmcnt(1)
	v_lshlrev_b32_e32 v18, 16, v1
	s_waitcnt vmcnt(0)
	v_lshlrev_b32_e32 v10, 16, v3
.LBB193_62:                             ;   in Loop: Header=BB193_53 Depth=1
	s_or_b32 exec_lo, exec_lo, s8
	v_add_co_u32 v3, vcc_lo, 0xffffffc3, v91
	v_add_co_ci_u32_e32 v4, vcc_lo, -1, v92, vcc_lo
	s_mov_b32 s8, exec_lo
	s_delay_alu instid0(VALU_DEP_1)
	v_cmpx_gt_i64_e64 s[4:5], v[3:4]
	s_cbranch_execz .LBB193_64
; %bb.63:                               ;   in Loop: Header=BB193_53 Depth=1
	v_add_co_u32 v3, vcc_lo, v82, v25
	v_add_co_ci_u32_e32 v4, vcc_lo, v83, v26, vcc_lo
	v_add_co_u32 v5, vcc_lo, v84, v25
	v_add_co_ci_u32_e32 v6, vcc_lo, v85, v26, vcc_lo
	global_load_u16 v1, v[3:4], off
	global_load_u16 v3, v[5:6], off
	s_waitcnt vmcnt(1)
	v_lshlrev_b32_e32 v19, 16, v1
	s_waitcnt vmcnt(0)
	v_lshlrev_b32_e32 v11, 16, v3
.LBB193_64:                             ;   in Loop: Header=BB193_53 Depth=1
	;; [unrolled: 19-line block ×7, first 2 shown]
	s_or_b32 exec_lo, exec_lo, s8
	s_waitcnt vmcnt(0)
	ds_bpermute_b32 v1, v2, v93
	ds_bpermute_b32 v3, v2, v93 offset:4
	ds_bpermute_b32 v4, v2, v93 offset:8
	v_mul_f32_e32 v5, v9, v17
	ds_bpermute_b32 v6, v2, v93 offset:12
	v_mul_f32_e32 v7, v10, v18
	ds_bpermute_b32 v8, v2, v93 offset:16
	ds_bpermute_b32 v9, v2, v93 offset:20
	s_waitcnt lgkmcnt(5)
	v_fma_f32 v1, v5, v1, v90
	v_mul_f32_e32 v5, v11, v19
	s_waitcnt lgkmcnt(4)
	s_delay_alu instid0(VALU_DEP_2)
	v_fmac_f32_e32 v1, v7, v3
	v_mul_f32_e32 v3, v12, v20
	ds_bpermute_b32 v7, v2, v93 offset:24
	s_waitcnt lgkmcnt(4)
	v_fmac_f32_e32 v1, v5, v4
	v_dual_mul_f32 v4, v13, v21 :: v_dual_mul_f32 v5, v14, v22
	s_waitcnt lgkmcnt(3)
	s_delay_alu instid0(VALU_DEP_2) | instskip(SKIP_4) | instid1(VALU_DEP_1)
	v_fmac_f32_e32 v1, v3, v6
	ds_bpermute_b32 v3, v2, v93 offset:28
	s_waitcnt lgkmcnt(3)
	v_dual_fmac_f32 v1, v4, v8 :: v_dual_mul_f32 v4, v15, v23
	s_waitcnt lgkmcnt(2)
	v_fmac_f32_e32 v1, v5, v9
	s_waitcnt lgkmcnt(1)
	s_delay_alu instid0(VALU_DEP_1) | instskip(SKIP_2) | instid1(VALU_DEP_1)
	v_fmac_f32_e32 v1, v4, v7
	v_mul_f32_e32 v4, v16, v24
	s_waitcnt lgkmcnt(0)
	v_fmac_f32_e32 v1, v4, v3
	s_branch .LBB193_81
.LBB193_75:                             ;   in Loop: Header=BB193_53 Depth=1
                                        ; implicit-def: $vgpr1
	s_cbranch_execz .LBB193_81
; %bb.76:                               ;   in Loop: Header=BB193_53 Depth=1
	s_load_b32 s8, s[26:27], 0x0
	s_waitcnt lgkmcnt(0)
	s_cmp_lt_u32 s14, s8
	s_cselect_b32 s8, 12, 18
	s_delay_alu instid0(SALU_CYCLE_1)
	s_add_u32 s8, s26, s8
	s_addc_u32 s9, s27, 0
	global_load_u16 v1, v2, s[8:9]
	s_mov_b32 s8, exec_lo
	s_waitcnt vmcnt(0)
	v_mad_u32_u24 v1, v56, v1, v55
	s_delay_alu instid0(VALU_DEP_1) | instskip(SKIP_1) | instid1(VALU_DEP_2)
	v_and_b32_e32 v3, 31, v1
	v_mov_b32_e32 v1, 0
	v_cmpx_gt_u32_e32 8, v3
	s_cbranch_execz .LBB193_80
; %bb.77:                               ;   in Loop: Header=BB193_53 Depth=1
	v_add_co_u32 v1, vcc_lo, v91, v3
	v_add_co_ci_u32_e32 v4, vcc_lo, 0, v92, vcc_lo
	s_mov_b32 s9, exec_lo
	s_delay_alu instid0(VALU_DEP_2) | instskip(NEXT) | instid1(VALU_DEP_2)
	v_add_co_u32 v3, vcc_lo, 0xffffffc1, v1
	v_add_co_ci_u32_e32 v4, vcc_lo, -1, v4, vcc_lo
	v_mov_b32_e32 v1, 0
	s_delay_alu instid0(VALU_DEP_2)
	v_cmpx_gt_i64_e64 s[4:5], v[3:4]
	s_cbranch_execz .LBB193_79
; %bb.78:                               ;   in Loop: Header=BB193_53 Depth=1
	v_lshlrev_b64 v[3:4], 2, v[3:4]
	s_delay_alu instid0(VALU_DEP_1) | instskip(NEXT) | instid1(VALU_DEP_2)
	v_add_co_u32 v3, vcc_lo, s12, v3
	v_add_co_ci_u32_e32 v4, vcc_lo, s13, v4, vcc_lo
	global_load_b32 v1, v[3:4], off
.LBB193_79:                             ;   in Loop: Header=BB193_53 Depth=1
	s_or_b32 exec_lo, exec_lo, s9
.LBB193_80:                             ;   in Loop: Header=BB193_53 Depth=1
	s_delay_alu instid0(SALU_CYCLE_1)
	s_or_b32 exec_lo, exec_lo, s8
	v_add_co_u32 v3, vcc_lo, v58, v25
	v_add_co_ci_u32_e32 v4, vcc_lo, v59, v26, vcc_lo
	v_add_co_u32 v5, vcc_lo, v60, v25
	v_add_co_ci_u32_e32 v6, vcc_lo, v61, v26, vcc_lo
	;; [unrolled: 2-line block ×4, first 2 shown]
	global_load_u16 v13, v[3:4], off
	global_load_u16 v14, v[5:6], off
	;; [unrolled: 1-line block ×4, first 2 shown]
	v_add_co_u32 v3, vcc_lo, v29, v25
	v_add_co_ci_u32_e32 v4, vcc_lo, v30, v26, vcc_lo
	v_add_co_u32 v5, vcc_lo, v43, v25
	v_add_co_ci_u32_e32 v6, vcc_lo, v44, v26, vcc_lo
	global_load_u16 v17, v[3:4], off
	v_add_co_u32 v3, vcc_lo, v31, v25
	v_add_co_ci_u32_e32 v4, vcc_lo, v32, v26, vcc_lo
	v_add_co_u32 v7, vcc_lo, v45, v25
	v_add_co_ci_u32_e32 v8, vcc_lo, v46, v26, vcc_lo
	;; [unrolled: 2-line block ×4, first 2 shown]
	global_load_u16 v18, v[5:6], off
	global_load_u16 v19, v[3:4], off
	;; [unrolled: 1-line block ×5, first 2 shown]
	v_add_co_u32 v3, vcc_lo, v35, v25
	v_add_co_ci_u32_e32 v4, vcc_lo, v36, v26, vcc_lo
	v_add_co_u32 v5, vcc_lo, v49, v25
	v_add_co_ci_u32_e32 v6, vcc_lo, v50, v26, vcc_lo
	v_add_co_u32 v7, vcc_lo, v37, v25
	v_add_co_ci_u32_e32 v8, vcc_lo, v38, v26, vcc_lo
	v_add_co_u32 v9, vcc_lo, v51, v25
	v_add_co_ci_u32_e32 v10, vcc_lo, v52, v26, vcc_lo
	global_load_u16 v12, v[3:4], off
	global_load_u16 v22, v[5:6], off
	;; [unrolled: 1-line block ×4, first 2 shown]
	v_add_co_u32 v3, vcc_lo, v53, v25
	v_add_co_ci_u32_e32 v4, vcc_lo, v54, v26, vcc_lo
	v_add_co_u32 v5, vcc_lo, v39, v25
	v_add_co_ci_u32_e32 v6, vcc_lo, v40, v26, vcc_lo
	global_load_u16 v3, v[3:4], off
	global_load_u16 v4, v[5:6], off
	s_waitcnt vmcnt(16)
	ds_bpermute_b32 v5, v2, v1
	ds_bpermute_b32 v6, v2, v1 offset:4
	ds_bpermute_b32 v9, v2, v1 offset:8
	s_waitcnt vmcnt(13)
	v_lshlrev_b32_e32 v15, 16, v15
	s_waitcnt vmcnt(11)
	v_lshlrev_b32_e32 v17, 16, v17
	;; [unrolled: 2-line block ×3, first 2 shown]
	v_lshlrev_b32_e32 v18, 16, v18
	s_delay_alu instid0(VALU_DEP_1) | instskip(NEXT) | instid1(VALU_DEP_1)
	v_dual_mul_f32 v17, v17, v18 :: v_dual_lshlrev_b32 v16, 16, v16
	v_dual_mul_f32 v15, v15, v16 :: v_dual_lshlrev_b32 v10, 16, v14
	v_lshlrev_b32_e32 v13, 16, v13
	ds_bpermute_b32 v14, v2, v1 offset:12
	v_mul_f32_e32 v10, v13, v10
	ds_bpermute_b32 v13, v2, v1 offset:16
	s_waitcnt vmcnt(3)
	v_lshlrev_b32_e32 v7, 16, v7
	s_waitcnt vmcnt(2)
	v_lshlrev_b32_e32 v8, 16, v8
	v_lshlrev_b32_e32 v16, 16, v19
	s_waitcnt lgkmcnt(4)
	v_fmac_f32_e32 v90, v10, v5
	ds_bpermute_b32 v5, v2, v1 offset:20
	v_mul_f32_e32 v7, v7, v8
	s_waitcnt lgkmcnt(4)
	v_fmac_f32_e32 v90, v15, v6
	ds_bpermute_b32 v6, v2, v1 offset:24
	ds_bpermute_b32 v1, v2, v1 offset:28
	s_waitcnt vmcnt(1)
	v_lshlrev_b32_e32 v3, 16, v3
	s_waitcnt vmcnt(0)
	v_lshlrev_b32_e32 v4, 16, v4
	s_waitcnt lgkmcnt(5)
	v_dual_fmac_f32 v90, v17, v9 :: v_dual_lshlrev_b32 v9, 16, v22
	s_delay_alu instid0(VALU_DEP_2) | instskip(NEXT) | instid1(VALU_DEP_1)
	v_dual_mul_f32 v3, v4, v3 :: v_dual_lshlrev_b32 v12, 16, v12
	v_dual_mul_f32 v9, v12, v9 :: v_dual_lshlrev_b32 v10, 16, v20
	s_delay_alu instid0(VALU_DEP_1) | instskip(SKIP_1) | instid1(VALU_DEP_1)
	v_dual_mul_f32 v10, v16, v10 :: v_dual_lshlrev_b32 v15, 16, v21
	s_waitcnt lgkmcnt(4)
	v_dual_fmac_f32 v90, v10, v14 :: v_dual_mul_f32 v11, v15, v11
	s_waitcnt lgkmcnt(3)
	s_delay_alu instid0(VALU_DEP_1) | instskip(SKIP_1) | instid1(VALU_DEP_1)
	v_fmac_f32_e32 v90, v11, v13
	s_waitcnt lgkmcnt(2)
	v_fmac_f32_e32 v90, v9, v5
	s_waitcnt lgkmcnt(1)
	s_delay_alu instid0(VALU_DEP_1) | instskip(SKIP_1) | instid1(VALU_DEP_1)
	v_fmac_f32_e32 v90, v7, v6
	s_waitcnt lgkmcnt(0)
	v_fmac_f32_e32 v90, v3, v1
	s_delay_alu instid0(VALU_DEP_1)
	v_mov_b32_e32 v1, v90
.LBB193_81:                             ;   in Loop: Header=BB193_53 Depth=1
	v_add_co_u32 v27, vcc_lo, v27, s2
	v_add_co_ci_u32_e32 v28, vcc_lo, s3, v28, vcc_lo
	v_add_co_u32 v29, vcc_lo, v29, s2
	v_add_co_ci_u32_e32 v30, vcc_lo, s3, v30, vcc_lo
	;; [unrolled: 2-line block ×27, first 2 shown]
	v_add_co_u32 v84, vcc_lo, v84, s2
	s_add_u32 s24, s24, s15
	v_add_co_ci_u32_e32 v85, vcc_lo, s3, v85, vcc_lo
	s_addc_u32 s25, s25, 0
	v_add_co_u32 v86, vcc_lo, v86, s2
	v_cmp_ge_i64_e64 s8, s[24:25], s[4:5]
	v_add_co_ci_u32_e32 v87, vcc_lo, s3, v87, vcc_lo
	v_add_co_u32 v88, vcc_lo, v88, s2
	v_add_co_ci_u32_e32 v89, vcc_lo, s3, v89, vcc_lo
	s_add_u32 s28, s28, s15
	s_addc_u32 s29, s29, 0
	s_and_b32 vcc_lo, exec_lo, s8
	s_cbranch_vccnz .LBB193_83
; %bb.82:                               ;   in Loop: Header=BB193_53 Depth=1
	v_mov_b32_e32 v90, v1
	s_branch .LBB193_53
.LBB193_83:
	v_and_b32_e32 v4, 0x3ff, v0
	v_bfe_u32 v0, v0, 10, 10
	s_mov_b32 s15, 0
	s_mov_b32 s2, exec_lo
	s_delay_alu instid0(VALU_DEP_1) | instskip(NEXT) | instid1(VALU_DEP_1)
	v_mad_u32_u24 v2, 0x41, v0, v4
	v_sub_nc_u32_e32 v0, v2, v0
	v_lshl_add_u32 v3, v2, 2, 0
	v_mov_b32_e32 v2, 0
	ds_store_b32 v3, v1
	ds_store_b32 v3, v2 offset:2080
	s_waitcnt lgkmcnt(0)
	s_barrier
	buffer_gl0_inv
	v_cmpx_gt_u32_e32 0x800, v0
	s_cbranch_execz .LBB193_90
; %bb.84:
	v_mbcnt_lo_u32_b32 v1, -1, 0
	s_load_b64 s[8:9], s[0:1], 0x30
	v_lshrrev_b32_e32 v3, 5, v0
	v_and_b32_e32 v5, 31, v4
	v_cmp_ne_u32_e32 vcc_lo, 0, v4
	v_xor_b32_e32 v0, 4, v1
	v_xor_b32_e32 v4, 2, v1
	s_lshl_b64 s[4:5], s[14:15], 6
	v_cmp_gt_u32_e64 s0, 8, v5
	v_mul_u32_u24_e32 v7, 0x104, v5
	v_cmp_gt_i32_e64 s1, 32, v0
	v_xor_b32_e32 v5, 1, v1
	v_lshlrev_b32_e32 v8, 2, v3
	s_delay_alu instid0(VALU_DEP_3) | instskip(SKIP_1) | instid1(VALU_DEP_3)
	v_cndmask_b32_e64 v0, v1, v0, s1
	v_cmp_gt_i32_e64 s1, 32, v4
	v_add3_u32 v7, v7, v8, 0
                                        ; implicit-def: $vgpr8
	s_delay_alu instid0(VALU_DEP_2)
	v_cndmask_b32_e64 v6, v1, v4, s1
	v_cmp_gt_i32_e64 s1, 32, v5
	s_waitcnt lgkmcnt(0)
	s_cmp_eq_u64 s[8:9], 0
	v_lshlrev_b32_e32 v4, 2, v0
	v_lshlrev_b32_e32 v0, 1, v3
	s_cselect_b32 s3, -1, 0
	s_lshl_b64 s[10:11], s[14:15], 7
	v_cndmask_b32_e64 v1, v1, v5, s1
	s_add_u32 s1, s8, s10
	s_addc_u32 s2, s9, s11
	v_add_co_u32 v0, s1, s1, v0
	v_lshlrev_b32_e32 v5, 2, v6
	v_lshlrev_b32_e32 v6, 2, v1
	v_add_co_ci_u32_e64 v1, null, s2, 0, s1
	s_branch .LBB193_86
.LBB193_85:                             ;   in Loop: Header=BB193_86 Depth=1
	s_or_b32 exec_lo, exec_lo, s2
	v_add_co_u32 v3, s1, v3, 16
	s_delay_alu instid0(VALU_DEP_1) | instskip(SKIP_1) | instid1(VALU_DEP_3)
	v_add_co_ci_u32_e64 v2, s1, 0, v2, s1
	v_add_co_u32 v0, s2, v0, 32
	v_add_nc_u32_e32 v9, -16, v3
	v_add_nc_u32_e32 v7, 64, v7
	v_add_co_ci_u32_e64 v1, s2, 0, v1, s2
	s_delay_alu instid0(VALU_DEP_3) | instskip(NEXT) | instid1(VALU_DEP_1)
	v_cmp_lt_u32_e64 s1, 47, v9
	s_or_b32 s15, s1, s15
	s_delay_alu instid0(SALU_CYCLE_1)
	s_and_not1_b32 exec_lo, exec_lo, s15
	s_cbranch_execz .LBB193_90
.LBB193_86:                             ; =>This Inner Loop Header: Depth=1
	s_and_saveexec_b32 s1, s0
	s_cbranch_execz .LBB193_88
; %bb.87:                               ;   in Loop: Header=BB193_86 Depth=1
	ds_load_b32 v8, v7
.LBB193_88:                             ;   in Loop: Header=BB193_86 Depth=1
	s_or_b32 exec_lo, exec_lo, s1
	s_waitcnt lgkmcnt(0)
	ds_bpermute_b32 v9, v4, v8
	s_waitcnt lgkmcnt(0)
	v_add_f32_e32 v8, v8, v9
	ds_bpermute_b32 v9, v5, v8
	s_waitcnt lgkmcnt(0)
	v_add_f32_e32 v10, v8, v9
	v_add_co_u32 v8, s1, s4, v3
	s_delay_alu instid0(VALU_DEP_1) | instskip(SKIP_2) | instid1(VALU_DEP_1)
	v_add_co_ci_u32_e64 v9, s1, s5, v2, s1
	ds_bpermute_b32 v11, v6, v10
	v_cmp_le_i64_e64 s1, s[6:7], v[8:9]
	s_or_b32 s1, vcc_lo, s1
	s_delay_alu instid0(SALU_CYCLE_1) | instskip(NEXT) | instid1(SALU_CYCLE_1)
	s_or_b32 s1, s3, s1
	s_xor_b32 s1, s1, -1
	s_waitcnt lgkmcnt(0)
	v_add_f32_e32 v8, v10, v11
	s_and_saveexec_b32 s2, s1
	s_cbranch_execz .LBB193_85
; %bb.89:                               ;   in Loop: Header=BB193_86 Depth=1
	s_delay_alu instid0(VALU_DEP_1) | instskip(SKIP_1) | instid1(VALU_DEP_2)
	v_bfe_u32 v9, v8, 16, 1
	v_cmp_o_f32_e64 s1, v8, v8
	v_add3_u32 v9, v8, v9, 0x7fff
	s_delay_alu instid0(VALU_DEP_1) | instskip(NEXT) | instid1(VALU_DEP_1)
	v_lshrrev_b32_e32 v9, 16, v9
	v_cndmask_b32_e64 v9, 0x7fc0, v9, s1
	global_store_b16 v[0:1], v9, off
	s_branch .LBB193_85
.LBB193_90:
	s_nop 0
	s_sendmsg sendmsg(MSG_DEALLOC_VGPRS)
	s_endpgm
	.section	.rodata,"a",@progbits
	.p2align	6, 0x0
	.amdhsa_kernel _ZN2at6native12_GLOBAL__N_135GammaBetaBackwardCUDAKernelTemplateIN3c108BFloat16EfLj64ELj8ELj64ELb0ELb0ELb1EEEvllPKT_S7_PKT0_SA_PS5_SB_
		.amdhsa_group_segment_fixed_size 0
		.amdhsa_private_segment_fixed_size 0
		.amdhsa_kernarg_size 320
		.amdhsa_user_sgpr_count 14
		.amdhsa_user_sgpr_dispatch_ptr 0
		.amdhsa_user_sgpr_queue_ptr 0
		.amdhsa_user_sgpr_kernarg_segment_ptr 1
		.amdhsa_user_sgpr_dispatch_id 0
		.amdhsa_user_sgpr_private_segment_size 0
		.amdhsa_wavefront_size32 1
		.amdhsa_uses_dynamic_stack 0
		.amdhsa_enable_private_segment 0
		.amdhsa_system_sgpr_workgroup_id_x 1
		.amdhsa_system_sgpr_workgroup_id_y 1
		.amdhsa_system_sgpr_workgroup_id_z 0
		.amdhsa_system_sgpr_workgroup_info 0
		.amdhsa_system_vgpr_workitem_id 1
		.amdhsa_next_free_vgpr 94
		.amdhsa_next_free_sgpr 37
		.amdhsa_reserve_vcc 1
		.amdhsa_float_round_mode_32 0
		.amdhsa_float_round_mode_16_64 0
		.amdhsa_float_denorm_mode_32 3
		.amdhsa_float_denorm_mode_16_64 3
		.amdhsa_dx10_clamp 1
		.amdhsa_ieee_mode 1
		.amdhsa_fp16_overflow 0
		.amdhsa_workgroup_processor_mode 1
		.amdhsa_memory_ordered 1
		.amdhsa_forward_progress 0
		.amdhsa_shared_vgpr_count 0
		.amdhsa_exception_fp_ieee_invalid_op 0
		.amdhsa_exception_fp_denorm_src 0
		.amdhsa_exception_fp_ieee_div_zero 0
		.amdhsa_exception_fp_ieee_overflow 0
		.amdhsa_exception_fp_ieee_underflow 0
		.amdhsa_exception_fp_ieee_inexact 0
		.amdhsa_exception_int_div_zero 0
	.end_amdhsa_kernel
	.section	.text._ZN2at6native12_GLOBAL__N_135GammaBetaBackwardCUDAKernelTemplateIN3c108BFloat16EfLj64ELj8ELj64ELb0ELb0ELb1EEEvllPKT_S7_PKT0_SA_PS5_SB_,"axG",@progbits,_ZN2at6native12_GLOBAL__N_135GammaBetaBackwardCUDAKernelTemplateIN3c108BFloat16EfLj64ELj8ELj64ELb0ELb0ELb1EEEvllPKT_S7_PKT0_SA_PS5_SB_,comdat
.Lfunc_end193:
	.size	_ZN2at6native12_GLOBAL__N_135GammaBetaBackwardCUDAKernelTemplateIN3c108BFloat16EfLj64ELj8ELj64ELb0ELb0ELb1EEEvllPKT_S7_PKT0_SA_PS5_SB_, .Lfunc_end193-_ZN2at6native12_GLOBAL__N_135GammaBetaBackwardCUDAKernelTemplateIN3c108BFloat16EfLj64ELj8ELj64ELb0ELb0ELb1EEEvllPKT_S7_PKT0_SA_PS5_SB_
                                        ; -- End function
	.section	.AMDGPU.csdata,"",@progbits
; Kernel info:
; codeLenInByte = 7828
; NumSgprs: 39
; NumVgprs: 94
; ScratchSize: 0
; MemoryBound: 0
; FloatMode: 240
; IeeeMode: 1
; LDSByteSize: 0 bytes/workgroup (compile time only)
; SGPRBlocks: 4
; VGPRBlocks: 11
; NumSGPRsForWavesPerEU: 39
; NumVGPRsForWavesPerEU: 94
; Occupancy: 16
; WaveLimiterHint : 0
; COMPUTE_PGM_RSRC2:SCRATCH_EN: 0
; COMPUTE_PGM_RSRC2:USER_SGPR: 14
; COMPUTE_PGM_RSRC2:TRAP_HANDLER: 0
; COMPUTE_PGM_RSRC2:TGID_X_EN: 1
; COMPUTE_PGM_RSRC2:TGID_Y_EN: 1
; COMPUTE_PGM_RSRC2:TGID_Z_EN: 0
; COMPUTE_PGM_RSRC2:TIDIG_COMP_CNT: 1
	.section	.text._ZN2at6native12_GLOBAL__N_135GammaBetaBackwardCUDAKernelTemplateIN3c108BFloat16EfLj64ELj16ELj128ELb0ELb1ELb1EEEvllPKT_S7_PKT0_SA_PS5_SB_,"axG",@progbits,_ZN2at6native12_GLOBAL__N_135GammaBetaBackwardCUDAKernelTemplateIN3c108BFloat16EfLj64ELj16ELj128ELb0ELb1ELb1EEEvllPKT_S7_PKT0_SA_PS5_SB_,comdat
	.globl	_ZN2at6native12_GLOBAL__N_135GammaBetaBackwardCUDAKernelTemplateIN3c108BFloat16EfLj64ELj16ELj128ELb0ELb1ELb1EEEvllPKT_S7_PKT0_SA_PS5_SB_ ; -- Begin function _ZN2at6native12_GLOBAL__N_135GammaBetaBackwardCUDAKernelTemplateIN3c108BFloat16EfLj64ELj16ELj128ELb0ELb1ELb1EEEvllPKT_S7_PKT0_SA_PS5_SB_
	.p2align	8
	.type	_ZN2at6native12_GLOBAL__N_135GammaBetaBackwardCUDAKernelTemplateIN3c108BFloat16EfLj64ELj16ELj128ELb0ELb1ELb1EEEvllPKT_S7_PKT0_SA_PS5_SB_,@function
_ZN2at6native12_GLOBAL__N_135GammaBetaBackwardCUDAKernelTemplateIN3c108BFloat16EfLj64ELj16ELj128ELb0ELb1ELb1EEEvllPKT_S7_PKT0_SA_PS5_SB_: ; @_ZN2at6native12_GLOBAL__N_135GammaBetaBackwardCUDAKernelTemplateIN3c108BFloat16EfLj64ELj16ELj128ELb0ELb1ELb1EEEvllPKT_S7_PKT0_SA_PS5_SB_
; %bb.0:
	s_load_b128 s[4:7], s[0:1], 0x0
	s_mov_b32 s13, 0
	s_lshl_b32 s12, s15, 7
	v_bfe_u32 v7, v0, 10, 10
	s_waitcnt lgkmcnt(0)
	v_cmp_lt_i64_e64 s2, s[12:13], s[4:5]
	s_delay_alu instid0(VALU_DEP_1)
	s_and_b32 vcc_lo, exec_lo, s2
	s_cbranch_vccnz .LBB194_2
; %bb.1:
	v_bfe_u32 v1, v0, 10, 10
	s_mov_b32 s8, 0
	s_mov_b32 s9, s13
	s_branch .LBB194_3
.LBB194_2:
	s_mov_b32 s9, -1
                                        ; implicit-def: $sgpr8
                                        ; implicit-def: $vgpr1
.LBB194_3:
	s_load_b64 s[2:3], s[0:1], 0x30
	v_and_b32_e32 v6, 0x3ff, v0
	v_mov_b32_e32 v0, s8
	s_and_not1_b32 vcc_lo, exec_lo, s9
	s_cbranch_vccnz .LBB194_11
; %bb.4:
	s_clause 0x3
	s_load_b32 s15, s[0:1], 0x4c
	s_load_b32 s16, s[0:1], 0x44
	s_load_b128 s[8:11], s[0:1], 0x10
	s_load_b64 s[18:19], s[0:1], 0x28
	v_dual_mov_b32 v9, 4 :: v_dual_lshlrev_b32 v2, 3, v7
	v_dual_mov_b32 v8, 8 :: v_dual_mov_b32 v1, 0
	v_lshl_add_u32 v0, s14, 6, v6
	s_delay_alu instid0(VALU_DEP_3) | instskip(NEXT) | instid1(VALU_DEP_1)
	v_add_co_u32 v2, s1, v2, s12
	v_add_co_ci_u32_e64 v3, null, 0, 0, s1
	s_delay_alu instid0(VALU_DEP_3) | instskip(NEXT) | instid1(VALU_DEP_3)
	v_lshlrev_b64 v[15:16], 1, v[0:1]
	v_mul_lo_u32 v17, s7, v2
	v_dual_mov_b32 v10, 12 :: v_dual_mov_b32 v11, 16
	s_delay_alu instid0(VALU_DEP_4)
	v_mul_lo_u32 v18, s6, v3
	v_dual_mov_b32 v13, 24 :: v_dual_mov_b32 v14, 28
	s_waitcnt lgkmcnt(0)
	s_and_b32 s0, s15, 0xffff
	s_lshl_b32 s16, s16, 7
	v_mad_u32_u24 v4, v7, s0, v6
	v_mov_b32_e32 v12, 20
	s_mul_i32 s1, s7, s16
	s_mul_hi_u32 s15, s6, s16
	s_delay_alu instid0(VALU_DEP_2) | instskip(SKIP_3) | instid1(VALU_DEP_2)
	v_dual_mov_b32 v0, 0 :: v_dual_and_b32 v21, 31, v4
	v_mad_u64_u32 v[4:5], null, s6, v2, 0
	s_mov_b32 s17, 0
	s_add_i32 s21, s15, s1
	v_add_co_u32 v2, vcc_lo, v2, v21
	v_add_co_ci_u32_e32 v3, vcc_lo, 0, v3, vcc_lo
	s_delay_alu instid0(VALU_DEP_3) | instskip(SKIP_2) | instid1(VALU_DEP_3)
	v_add3_u32 v5, v5, v18, v17
	v_cmp_gt_u32_e64 s0, 8, v21
	s_mul_i32 s20, s6, s16
	v_lshlrev_b64 v[17:18], 2, v[2:3]
	s_lshl_b64 s[20:21], s[20:21], 1
	v_lshlrev_b64 v[19:20], 1, v[4:5]
	s_lshl_b64 s[6:7], s[6:7], 1
	s_delay_alu instid0(VALU_DEP_2) | instskip(NEXT) | instid1(VALU_DEP_3)
	v_add_co_u32 v4, vcc_lo, s18, v17
	v_add_co_ci_u32_e32 v5, vcc_lo, s19, v18, vcc_lo
	s_delay_alu instid0(VALU_DEP_3) | instskip(NEXT) | instid1(VALU_DEP_4)
	v_add_co_u32 v15, vcc_lo, v19, v15
	v_add_co_ci_u32_e32 v16, vcc_lo, v20, v16, vcc_lo
	s_lshl_b64 s[18:19], s[16:17], 2
	s_branch .LBB194_7
.LBB194_5:                              ;   in Loop: Header=BB194_7 Depth=1
	s_or_b32 exec_lo, exec_lo, s15
.LBB194_6:                              ;   in Loop: Header=BB194_7 Depth=1
	s_delay_alu instid0(SALU_CYCLE_1)
	s_or_b32 exec_lo, exec_lo, s1
	v_add_co_u32 v18, vcc_lo, s8, v15
	v_add_co_ci_u32_e32 v19, vcc_lo, s9, v16, vcc_lo
	v_add_co_u32 v20, vcc_lo, s10, v15
	v_add_co_ci_u32_e32 v21, vcc_lo, s11, v16, vcc_lo
	global_load_u16 v28, v[18:19], off
	v_add_co_u32 v18, vcc_lo, v18, s6
	v_add_co_ci_u32_e32 v19, vcc_lo, s7, v19, vcc_lo
	v_add_co_u32 v22, vcc_lo, v20, s6
	v_add_co_ci_u32_e32 v23, vcc_lo, s7, v21, vcc_lo
	s_delay_alu instid0(VALU_DEP_4) | instskip(NEXT) | instid1(VALU_DEP_4)
	v_add_co_u32 v24, vcc_lo, v18, s6
	v_add_co_ci_u32_e32 v25, vcc_lo, s7, v19, vcc_lo
	s_delay_alu instid0(VALU_DEP_4) | instskip(NEXT) | instid1(VALU_DEP_4)
	v_add_co_u32 v26, vcc_lo, v22, s6
	v_add_co_ci_u32_e32 v27, vcc_lo, s7, v23, vcc_lo
	global_load_u16 v29, v[20:21], off
	global_load_u16 v30, v[18:19], off
	;; [unrolled: 1-line block ×5, first 2 shown]
	v_add_co_u32 v18, vcc_lo, v24, s6
	v_add_co_ci_u32_e32 v19, vcc_lo, s7, v25, vcc_lo
	v_add_co_u32 v20, vcc_lo, v26, s6
	v_add_co_ci_u32_e32 v21, vcc_lo, s7, v27, vcc_lo
	global_load_u16 v34, v[18:19], off
	v_add_co_u32 v18, vcc_lo, v18, s6
	v_add_co_ci_u32_e32 v19, vcc_lo, s7, v19, vcc_lo
	v_add_co_u32 v22, vcc_lo, v20, s6
	v_add_co_ci_u32_e32 v23, vcc_lo, s7, v21, vcc_lo
	s_delay_alu instid0(VALU_DEP_4) | instskip(NEXT) | instid1(VALU_DEP_4)
	v_add_co_u32 v24, vcc_lo, v18, s6
	v_add_co_ci_u32_e32 v25, vcc_lo, s7, v19, vcc_lo
	s_delay_alu instid0(VALU_DEP_4) | instskip(NEXT) | instid1(VALU_DEP_4)
	v_add_co_u32 v26, vcc_lo, v22, s6
	v_add_co_ci_u32_e32 v27, vcc_lo, s7, v23, vcc_lo
	global_load_u16 v35, v[20:21], off
	global_load_u16 v36, v[18:19], off
	;; [unrolled: 1-line block ×5, first 2 shown]
	v_add_co_u32 v18, vcc_lo, v26, s6
	v_add_co_ci_u32_e32 v19, vcc_lo, s7, v27, vcc_lo
	v_add_co_u32 v20, vcc_lo, v24, s6
	v_add_co_ci_u32_e32 v21, vcc_lo, s7, v25, vcc_lo
	global_load_u16 v24, v[18:19], off
	v_add_co_u32 v18, vcc_lo, v18, s6
	v_add_co_ci_u32_e32 v19, vcc_lo, s7, v19, vcc_lo
	v_add_co_u32 v22, vcc_lo, v20, s6
	v_add_co_ci_u32_e32 v23, vcc_lo, s7, v21, vcc_lo
	global_load_u16 v20, v[20:21], off
	global_load_u16 v18, v[18:19], off
	;; [unrolled: 1-line block ×3, first 2 shown]
	s_waitcnt vmcnt(16)
	ds_bpermute_b32 v21, v1, v17
	ds_bpermute_b32 v22, v9, v17
	ds_bpermute_b32 v26, v8, v17
	v_add_co_u32 v4, vcc_lo, v4, s18
	s_add_u32 s12, s12, s16
	v_add_co_ci_u32_e32 v5, vcc_lo, s19, v5, vcc_lo
	s_addc_u32 s13, s13, 0
	v_add_co_u32 v2, vcc_lo, v2, s16
	v_add_co_ci_u32_e32 v3, vcc_lo, 0, v3, vcc_lo
	v_cmp_lt_i64_e64 s1, s[12:13], s[4:5]
	v_add_co_u32 v15, vcc_lo, v15, s20
	v_add_co_ci_u32_e32 v16, vcc_lo, s21, v16, vcc_lo
	s_delay_alu instid0(VALU_DEP_3)
	s_and_b32 vcc_lo, exec_lo, s1
	s_waitcnt vmcnt(15)
	v_lshlrev_b32_e32 v25, 16, v28
	ds_bpermute_b32 v28, v10, v17
	s_waitcnt vmcnt(14)
	v_lshlrev_b32_e32 v23, 16, v29
	s_waitcnt vmcnt(12)
	v_lshlrev_b32_e32 v27, 16, v31
	s_delay_alu instid0(VALU_DEP_2) | instskip(SKIP_1) | instid1(VALU_DEP_1)
	v_mul_f32_e32 v23, v25, v23
	s_waitcnt lgkmcnt(3)
	v_dual_fmac_f32 v0, v23, v21 :: v_dual_lshlrev_b32 v25, 16, v30
	s_delay_alu instid0(VALU_DEP_1)
	v_mul_f32_e32 v21, v25, v27
	ds_bpermute_b32 v25, v11, v17
	s_waitcnt vmcnt(11)
	v_lshlrev_b32_e32 v23, 16, v32
	ds_bpermute_b32 v27, v12, v17
	s_waitcnt vmcnt(10) lgkmcnt(4)
	v_dual_fmac_f32 v0, v21, v22 :: v_dual_lshlrev_b32 v29, 16, v33
	s_waitcnt vmcnt(9)
	s_delay_alu instid0(VALU_DEP_1)
	v_dual_mul_f32 v21, v23, v29 :: v_dual_lshlrev_b32 v22, 16, v34
	ds_bpermute_b32 v23, v13, v17
	ds_bpermute_b32 v17, v14, v17
	s_waitcnt lgkmcnt(5)
	v_fmac_f32_e32 v0, v21, v26
	s_waitcnt vmcnt(8)
	v_lshlrev_b32_e32 v30, 16, v35
	s_waitcnt vmcnt(4)
	s_delay_alu instid0(VALU_DEP_1) | instskip(SKIP_2) | instid1(VALU_DEP_2)
	v_dual_mul_f32 v21, v22, v30 :: v_dual_lshlrev_b32 v26, 16, v39
	v_lshlrev_b32_e32 v22, 16, v36
	s_waitcnt lgkmcnt(4)
	v_fmac_f32_e32 v0, v21, v28
	s_waitcnt vmcnt(2)
	v_lshlrev_b32_e32 v20, 16, v20
	v_lshlrev_b32_e32 v29, 16, v37
	v_lshlrev_b32_e32 v30, 16, v38
	s_waitcnt vmcnt(1)
	s_delay_alu instid0(VALU_DEP_2) | instskip(SKIP_2) | instid1(VALU_DEP_2)
	v_dual_mul_f32 v21, v22, v29 :: v_dual_lshlrev_b32 v18, 16, v18
	v_lshlrev_b32_e32 v22, 16, v24
	s_waitcnt lgkmcnt(3)
	v_dual_fmac_f32 v0, v21, v25 :: v_dual_mul_f32 v21, v30, v26
	s_delay_alu instid0(VALU_DEP_2) | instskip(SKIP_1) | instid1(VALU_DEP_2)
	v_mul_f32_e32 v20, v20, v22
	s_waitcnt lgkmcnt(2)
	v_fmac_f32_e32 v0, v21, v27
	s_waitcnt lgkmcnt(1)
	s_delay_alu instid0(VALU_DEP_1) | instskip(SKIP_2) | instid1(VALU_DEP_1)
	v_fmac_f32_e32 v0, v20, v23
	s_waitcnt vmcnt(0)
	v_lshlrev_b32_e32 v19, 16, v19
	v_mul_f32_e32 v18, v19, v18
	s_waitcnt lgkmcnt(0)
	s_delay_alu instid0(VALU_DEP_1)
	v_fmac_f32_e32 v0, v18, v17
	s_cbranch_vccz .LBB194_10
.LBB194_7:                              ; =>This Inner Loop Header: Depth=1
	v_mov_b32_e32 v17, 0
	s_and_saveexec_b32 s1, s0
	s_cbranch_execz .LBB194_6
; %bb.8:                                ;   in Loop: Header=BB194_7 Depth=1
	v_mov_b32_e32 v17, 0
	s_mov_b32 s15, exec_lo
	v_cmpx_gt_i64_e64 s[4:5], v[2:3]
	s_cbranch_execz .LBB194_5
; %bb.9:                                ;   in Loop: Header=BB194_7 Depth=1
	global_load_b32 v17, v[4:5], off
	s_branch .LBB194_5
.LBB194_10:
	v_mov_b32_e32 v1, v7
.LBB194_11:
	s_delay_alu instid0(VALU_DEP_1) | instskip(SKIP_3) | instid1(VALU_DEP_2)
	v_mad_u32_u24 v2, 0x41, v1, v6
	v_mov_b32_e32 v3, 0
	s_mov_b32 s15, 0
	s_mov_b32 s0, exec_lo
	v_sub_nc_u32_e32 v1, v2, v1
	v_lshl_add_u32 v2, v2, 2, 0
	ds_store_b32 v2, v0
	ds_store_b32 v2, v3 offset:4160
	s_waitcnt lgkmcnt(0)
	s_barrier
	buffer_gl0_inv
	v_cmpx_gt_u32_e32 0x800, v1
	s_cbranch_execz .LBB194_18
; %bb.12:
	v_mbcnt_lo_u32_b32 v2, -1, 0
	v_cmp_eq_u32_e64 s0, 0, v6
	s_cmp_lg_u64 s[2:3], 0
	v_and_b32_e32 v0, 31, v6
	s_cselect_b32 s1, -1, 0
	v_xor_b32_e32 v3, 8, v2
	s_and_b32 s1, s0, s1
	v_xor_b32_e32 v4, 4, v2
	v_xor_b32_e32 v5, 2, v2
	;; [unrolled: 1-line block ×3, first 2 shown]
	v_cmp_gt_i32_e64 s0, 32, v3
	v_lshrrev_b32_e32 v1, 5, v1
	v_cmp_gt_u32_e32 vcc_lo, 16, v0
	v_mul_u32_u24_e32 v0, 0x104, v0
	s_lshl_b64 s[4:5], s[14:15], 7
	v_cndmask_b32_e64 v3, v2, v3, s0
	v_cmp_gt_i32_e64 s0, 32, v4
	v_lshlrev_b32_e32 v7, 2, v1
                                        ; implicit-def: $vgpr8
	s_delay_alu instid0(VALU_DEP_2) | instskip(SKIP_1) | instid1(VALU_DEP_1)
	v_cndmask_b32_e64 v4, v2, v4, s0
	v_cmp_gt_i32_e64 s0, 32, v5
	v_cndmask_b32_e64 v5, v2, v5, s0
	v_cmp_gt_i32_e64 s0, 32, v6
	s_delay_alu instid0(VALU_DEP_1)
	v_cndmask_b32_e64 v6, v2, v6, s0
	v_lshlrev_b32_e32 v2, 2, v3
	v_lshlrev_b32_e32 v3, 2, v4
	;; [unrolled: 1-line block ×3, first 2 shown]
	s_add_u32 s0, s2, s4
	v_lshlrev_b32_e32 v5, 2, v6
	v_add3_u32 v6, v0, v7, 0
	v_lshlrev_b32_e32 v0, 1, v1
	s_addc_u32 s2, s3, s5
	v_subrev_nc_u32_e32 v7, 32, v1
	s_delay_alu instid0(VALU_DEP_2) | instskip(NEXT) | instid1(VALU_DEP_1)
	v_add_co_u32 v0, s0, s0, v0
	v_add_co_ci_u32_e64 v1, null, s2, 0, s0
	s_set_inst_prefetch_distance 0x1
	s_branch .LBB194_14
	.p2align	6
.LBB194_13:                             ;   in Loop: Header=BB194_14 Depth=1
	s_or_b32 exec_lo, exec_lo, s2
	v_add_co_u32 v7, s0, v7, 32
	s_delay_alu instid0(VALU_DEP_1) | instskip(SKIP_4) | instid1(SALU_CYCLE_1)
	s_xor_b32 s2, s0, -1
	v_add_co_u32 v0, s0, v0, 64
	v_add_nc_u32_e32 v6, 0x80, v6
	v_add_co_ci_u32_e64 v1, s0, 0, v1, s0
	s_and_b32 s0, exec_lo, s2
	s_or_b32 s15, s0, s15
	s_delay_alu instid0(SALU_CYCLE_1)
	s_and_not1_b32 exec_lo, exec_lo, s15
	s_cbranch_execz .LBB194_18
.LBB194_14:                             ; =>This Inner Loop Header: Depth=1
	s_and_saveexec_b32 s0, vcc_lo
	s_cbranch_execz .LBB194_16
; %bb.15:                               ;   in Loop: Header=BB194_14 Depth=1
	ds_load_b32 v8, v6
.LBB194_16:                             ;   in Loop: Header=BB194_14 Depth=1
	s_or_b32 exec_lo, exec_lo, s0
	s_waitcnt lgkmcnt(0)
	ds_bpermute_b32 v9, v2, v8
	s_waitcnt lgkmcnt(0)
	v_add_f32_e32 v8, v8, v9
	ds_bpermute_b32 v9, v3, v8
	s_waitcnt lgkmcnt(0)
	v_add_f32_e32 v8, v8, v9
	;; [unrolled: 3-line block ×4, first 2 shown]
	s_and_saveexec_b32 s2, s1
	s_cbranch_execz .LBB194_13
; %bb.17:                               ;   in Loop: Header=BB194_14 Depth=1
	s_delay_alu instid0(VALU_DEP_1) | instskip(SKIP_1) | instid1(VALU_DEP_2)
	v_bfe_u32 v9, v8, 16, 1
	v_cmp_o_f32_e64 s0, v8, v8
	v_add3_u32 v9, v8, v9, 0x7fff
	s_delay_alu instid0(VALU_DEP_1) | instskip(NEXT) | instid1(VALU_DEP_1)
	v_lshrrev_b32_e32 v9, 16, v9
	v_cndmask_b32_e64 v9, 0x7fc0, v9, s0
	global_store_b16 v[0:1], v9, off
	s_branch .LBB194_13
.LBB194_18:
	s_set_inst_prefetch_distance 0x2
	s_nop 0
	s_sendmsg sendmsg(MSG_DEALLOC_VGPRS)
	s_endpgm
	.section	.rodata,"a",@progbits
	.p2align	6, 0x0
	.amdhsa_kernel _ZN2at6native12_GLOBAL__N_135GammaBetaBackwardCUDAKernelTemplateIN3c108BFloat16EfLj64ELj16ELj128ELb0ELb1ELb1EEEvllPKT_S7_PKT0_SA_PS5_SB_
		.amdhsa_group_segment_fixed_size 0
		.amdhsa_private_segment_fixed_size 0
		.amdhsa_kernarg_size 320
		.amdhsa_user_sgpr_count 14
		.amdhsa_user_sgpr_dispatch_ptr 0
		.amdhsa_user_sgpr_queue_ptr 0
		.amdhsa_user_sgpr_kernarg_segment_ptr 1
		.amdhsa_user_sgpr_dispatch_id 0
		.amdhsa_user_sgpr_private_segment_size 0
		.amdhsa_wavefront_size32 1
		.amdhsa_uses_dynamic_stack 0
		.amdhsa_enable_private_segment 0
		.amdhsa_system_sgpr_workgroup_id_x 1
		.amdhsa_system_sgpr_workgroup_id_y 1
		.amdhsa_system_sgpr_workgroup_id_z 0
		.amdhsa_system_sgpr_workgroup_info 0
		.amdhsa_system_vgpr_workitem_id 1
		.amdhsa_next_free_vgpr 40
		.amdhsa_next_free_sgpr 22
		.amdhsa_reserve_vcc 1
		.amdhsa_float_round_mode_32 0
		.amdhsa_float_round_mode_16_64 0
		.amdhsa_float_denorm_mode_32 3
		.amdhsa_float_denorm_mode_16_64 3
		.amdhsa_dx10_clamp 1
		.amdhsa_ieee_mode 1
		.amdhsa_fp16_overflow 0
		.amdhsa_workgroup_processor_mode 1
		.amdhsa_memory_ordered 1
		.amdhsa_forward_progress 0
		.amdhsa_shared_vgpr_count 0
		.amdhsa_exception_fp_ieee_invalid_op 0
		.amdhsa_exception_fp_denorm_src 0
		.amdhsa_exception_fp_ieee_div_zero 0
		.amdhsa_exception_fp_ieee_overflow 0
		.amdhsa_exception_fp_ieee_underflow 0
		.amdhsa_exception_fp_ieee_inexact 0
		.amdhsa_exception_int_div_zero 0
	.end_amdhsa_kernel
	.section	.text._ZN2at6native12_GLOBAL__N_135GammaBetaBackwardCUDAKernelTemplateIN3c108BFloat16EfLj64ELj16ELj128ELb0ELb1ELb1EEEvllPKT_S7_PKT0_SA_PS5_SB_,"axG",@progbits,_ZN2at6native12_GLOBAL__N_135GammaBetaBackwardCUDAKernelTemplateIN3c108BFloat16EfLj64ELj16ELj128ELb0ELb1ELb1EEEvllPKT_S7_PKT0_SA_PS5_SB_,comdat
.Lfunc_end194:
	.size	_ZN2at6native12_GLOBAL__N_135GammaBetaBackwardCUDAKernelTemplateIN3c108BFloat16EfLj64ELj16ELj128ELb0ELb1ELb1EEEvllPKT_S7_PKT0_SA_PS5_SB_, .Lfunc_end194-_ZN2at6native12_GLOBAL__N_135GammaBetaBackwardCUDAKernelTemplateIN3c108BFloat16EfLj64ELj16ELj128ELb0ELb1ELb1EEEvllPKT_S7_PKT0_SA_PS5_SB_
                                        ; -- End function
	.section	.AMDGPU.csdata,"",@progbits
; Kernel info:
; codeLenInByte = 1688
; NumSgprs: 24
; NumVgprs: 40
; ScratchSize: 0
; MemoryBound: 0
; FloatMode: 240
; IeeeMode: 1
; LDSByteSize: 0 bytes/workgroup (compile time only)
; SGPRBlocks: 2
; VGPRBlocks: 4
; NumSGPRsForWavesPerEU: 24
; NumVGPRsForWavesPerEU: 40
; Occupancy: 16
; WaveLimiterHint : 0
; COMPUTE_PGM_RSRC2:SCRATCH_EN: 0
; COMPUTE_PGM_RSRC2:USER_SGPR: 14
; COMPUTE_PGM_RSRC2:TRAP_HANDLER: 0
; COMPUTE_PGM_RSRC2:TGID_X_EN: 1
; COMPUTE_PGM_RSRC2:TGID_Y_EN: 1
; COMPUTE_PGM_RSRC2:TGID_Z_EN: 0
; COMPUTE_PGM_RSRC2:TIDIG_COMP_CNT: 1
	.section	.text._ZN2at6native12_GLOBAL__N_135GammaBetaBackwardCUDAKernelTemplateIN3c108BFloat16EfLj64ELj16ELj128ELb0ELb0ELb1EEEvllPKT_S7_PKT0_SA_PS5_SB_,"axG",@progbits,_ZN2at6native12_GLOBAL__N_135GammaBetaBackwardCUDAKernelTemplateIN3c108BFloat16EfLj64ELj16ELj128ELb0ELb0ELb1EEEvllPKT_S7_PKT0_SA_PS5_SB_,comdat
	.globl	_ZN2at6native12_GLOBAL__N_135GammaBetaBackwardCUDAKernelTemplateIN3c108BFloat16EfLj64ELj16ELj128ELb0ELb0ELb1EEEvllPKT_S7_PKT0_SA_PS5_SB_ ; -- Begin function _ZN2at6native12_GLOBAL__N_135GammaBetaBackwardCUDAKernelTemplateIN3c108BFloat16EfLj64ELj16ELj128ELb0ELb0ELb1EEEvllPKT_S7_PKT0_SA_PS5_SB_
	.p2align	8
	.type	_ZN2at6native12_GLOBAL__N_135GammaBetaBackwardCUDAKernelTemplateIN3c108BFloat16EfLj64ELj16ELj128ELb0ELb0ELb1EEEvllPKT_S7_PKT0_SA_PS5_SB_,@function
_ZN2at6native12_GLOBAL__N_135GammaBetaBackwardCUDAKernelTemplateIN3c108BFloat16EfLj64ELj16ELj128ELb0ELb0ELb1EEEvllPKT_S7_PKT0_SA_PS5_SB_: ; @_ZN2at6native12_GLOBAL__N_135GammaBetaBackwardCUDAKernelTemplateIN3c108BFloat16EfLj64ELj16ELj128ELb0ELb0ELb1EEEvllPKT_S7_PKT0_SA_PS5_SB_
; %bb.0:
	s_clause 0x1
	s_load_b256 s[4:11], s[0:1], 0x0
	s_load_b64 s[12:13], s[0:1], 0x28
	s_lshl_b32 s33, s14, 6
	s_mov_b32 s25, 0
	s_or_b32 s24, s33, 63
	s_waitcnt lgkmcnt(0)
	v_cmp_ge_i64_e64 s2, s[24:25], s[6:7]
	s_lshl_b32 s24, s15, 7
	s_delay_alu instid0(SALU_CYCLE_1) | instskip(NEXT) | instid1(VALU_DEP_2)
	v_cmp_lt_i64_e64 s15, s[24:25], s[4:5]
	s_and_b32 vcc_lo, exec_lo, s2
	s_delay_alu instid0(VALU_DEP_1) | instskip(NEXT) | instid1(VALU_DEP_1)
	v_cndmask_b32_e64 v1, 0, 1, s15
	v_cmp_ne_u32_e64 s2, 1, v1
	s_cbranch_vccz .LBB195_49
; %bb.1:
	v_mov_b32_e32 v1, 0
	s_delay_alu instid0(VALU_DEP_2)
	s_and_b32 vcc_lo, exec_lo, s2
	s_cbranch_vccnz .LBB195_50
; %bb.2:
	v_bfe_u32 v27, v0, 10, 10
	s_load_b32 s3, s[0:1], 0x44
	v_dual_mov_b32 v2, 0 :: v_dual_and_b32 v29, 0x3ff, v0
	s_add_u32 s26, s0, 64
	s_delay_alu instid0(VALU_DEP_2) | instskip(NEXT) | instid1(VALU_DEP_2)
	v_lshlrev_b32_e32 v28, 3, v27
	v_dual_mov_b32 v62, 0 :: v_dual_add_nc_u32 v1, s33, v29
	s_addc_u32 s27, s1, 0
	s_mov_b32 s16, 0
	s_delay_alu instid0(VALU_DEP_2) | instskip(NEXT) | instid1(VALU_DEP_1)
	v_add_co_u32 v9, s2, v28, s24
	v_add_co_ci_u32_e64 v10, null, 0, 0, s2
	v_cmp_gt_i64_e64 s2, s[6:7], v[1:2]
	s_delay_alu instid0(VALU_DEP_3) | instskip(NEXT) | instid1(VALU_DEP_3)
	v_add_co_u32 v5, vcc_lo, v9, 7
	v_add_co_ci_u32_e32 v3, vcc_lo, 0, v10, vcc_lo
	v_add_co_u32 v8, vcc_lo, v9, 6
	s_delay_alu instid0(VALU_DEP_3) | instskip(NEXT) | instid1(VALU_DEP_3)
	v_mul_lo_u32 v6, s7, v5
	v_mul_lo_u32 v7, s6, v3
	v_mad_u64_u32 v[3:4], null, s6, v5, 0
	v_add_co_ci_u32_e32 v5, vcc_lo, 0, v10, vcc_lo
	v_lshlrev_b64 v[25:26], 1, v[1:2]
	v_mul_lo_u32 v1, s7, v8
	s_waitcnt lgkmcnt(0)
	s_lshl_b32 s36, s3, 7
	s_mov_b64 s[34:35], s[24:25]
	s_delay_alu instid0(VALU_DEP_4) | instskip(SKIP_3) | instid1(VALU_DEP_3)
	v_add3_u32 v4, v4, v7, v6
	v_mul_lo_u32 v7, s6, v5
	v_mad_u64_u32 v[5:6], null, s6, v8, 0
	s_mul_i32 s3, s7, s36
	v_lshlrev_b64 v[3:4], 1, v[3:4]
	s_mul_hi_u32 s17, s6, s36
	s_mul_i32 s18, s6, s36
	s_add_i32 s19, s17, s3
	s_delay_alu instid0(VALU_DEP_2) | instskip(NEXT) | instid1(VALU_DEP_2)
	v_add3_u32 v6, v6, v7, v1
	v_add_co_u32 v30, vcc_lo, s8, v3
	v_add_co_ci_u32_e32 v31, vcc_lo, s9, v4, vcc_lo
	v_add_co_u32 v1, vcc_lo, v9, 5
	v_add_co_u32 v32, s3, s10, v3
	s_delay_alu instid0(VALU_DEP_1) | instskip(SKIP_4) | instid1(VALU_DEP_3)
	v_add_co_ci_u32_e64 v33, s3, s11, v4, s3
	v_lshlrev_b64 v[3:4], 1, v[5:6]
	v_add_co_ci_u32_e32 v5, vcc_lo, 0, v10, vcc_lo
	v_add_co_u32 v12, vcc_lo, v9, 4
	v_mul_lo_u32 v11, s7, v1
	v_mul_lo_u32 v13, s6, v5
	v_mad_u64_u32 v[5:6], null, s6, v1, 0
	v_add_co_ci_u32_e32 v7, vcc_lo, 0, v10, vcc_lo
	v_mul_lo_u32 v1, s7, v12
	v_add_co_u32 v34, vcc_lo, s8, v3
	s_delay_alu instid0(VALU_DEP_3)
	v_mul_lo_u32 v14, s6, v7
	v_mad_u64_u32 v[7:8], null, s6, v12, 0
	v_add3_u32 v6, v6, v13, v11
	v_add_co_ci_u32_e32 v35, vcc_lo, s9, v4, vcc_lo
	v_add_co_u32 v36, vcc_lo, s10, v3
	v_add_co_ci_u32_e32 v37, vcc_lo, s11, v4, vcc_lo
	s_delay_alu instid0(VALU_DEP_4) | instskip(SKIP_3) | instid1(VALU_DEP_4)
	v_lshlrev_b64 v[3:4], 1, v[5:6]
	v_add3_u32 v8, v8, v14, v1
	v_add_co_u32 v1, vcc_lo, v9, 3
	v_add_co_ci_u32_e32 v11, vcc_lo, 0, v10, vcc_lo
	v_add_co_u32 v38, vcc_lo, s8, v3
	s_delay_alu instid0(VALU_DEP_4)
	v_lshlrev_b64 v[5:6], 1, v[7:8]
	v_add_co_ci_u32_e32 v39, vcc_lo, s9, v4, vcc_lo
	v_mul_lo_u32 v12, s7, v1
	v_mul_lo_u32 v11, s6, v11
	v_mad_u64_u32 v[7:8], null, s6, v1, 0
	v_add_co_u32 v40, vcc_lo, s10, v3
	v_add_co_ci_u32_e32 v41, vcc_lo, s11, v4, vcc_lo
	v_add_co_u32 v42, vcc_lo, s8, v5
	v_add_co_ci_u32_e32 v43, vcc_lo, s9, v6, vcc_lo
	v_add_co_u32 v1, vcc_lo, v9, 2
	v_add3_u32 v8, v8, v11, v12
	v_add_co_ci_u32_e32 v11, vcc_lo, 0, v10, vcc_lo
	v_add_co_u32 v44, vcc_lo, s10, v5
	v_add_co_ci_u32_e32 v45, vcc_lo, s11, v6, vcc_lo
	v_mul_lo_u32 v12, s7, v1
	s_delay_alu instid0(VALU_DEP_4)
	v_mul_lo_u32 v11, s6, v11
	v_mad_u64_u32 v[5:6], null, s6, v1, 0
	v_lshlrev_b64 v[3:4], 1, v[7:8]
	v_mul_lo_u32 v1, s7, v9
	v_mul_lo_u32 v10, s6, v10
	v_mad_u64_u32 v[7:8], null, s6, v9, 0
	s_lshl_b64 s[28:29], s[18:19], 1
	s_delay_alu instid0(VALU_DEP_4)
	v_add_co_u32 v46, vcc_lo, s8, v3
	v_add3_u32 v6, v6, v11, v12
	v_add_co_ci_u32_e32 v47, vcc_lo, s9, v4, vcc_lo
	v_add_co_u32 v48, vcc_lo, s10, v3
	v_add3_u32 v8, v8, v10, v1
	v_add_co_ci_u32_e32 v49, vcc_lo, s11, v4, vcc_lo
	v_lshlrev_b64 v[3:4], 1, v[5:6]
	v_add_co_u32 v5, vcc_lo, v7, s6
	s_delay_alu instid0(VALU_DEP_4) | instskip(SKIP_1) | instid1(VALU_DEP_3)
	v_add_co_ci_u32_e32 v6, vcc_lo, s7, v8, vcc_lo
	s_add_u32 s30, s24, 0x7f
	v_add_co_u32 v50, vcc_lo, s8, v3
	s_delay_alu instid0(VALU_DEP_2) | instskip(SKIP_3) | instid1(VALU_DEP_4)
	v_lshlrev_b64 v[5:6], 1, v[5:6]
	v_add_co_ci_u32_e32 v51, vcc_lo, s9, v4, vcc_lo
	v_add_co_u32 v52, vcc_lo, s10, v3
	v_add_co_ci_u32_e32 v53, vcc_lo, s11, v4, vcc_lo
	v_add_co_u32 v54, vcc_lo, s8, v5
	v_lshlrev_b64 v[3:4], 1, v[7:8]
	v_add_co_ci_u32_e32 v55, vcc_lo, s9, v6, vcc_lo
	v_add_co_u32 v56, vcc_lo, s10, v5
	v_add_co_ci_u32_e32 v57, vcc_lo, s11, v6, vcc_lo
	s_delay_alu instid0(VALU_DEP_4)
	v_add_co_u32 v58, vcc_lo, s8, v3
	v_add_co_ci_u32_e32 v59, vcc_lo, s9, v4, vcc_lo
	v_add_co_u32 v60, vcc_lo, s10, v3
	v_add_co_ci_u32_e32 v61, vcc_lo, s11, v4, vcc_lo
	s_addc_u32 s31, 0, 0
.LBB195_3:                              ; =>This Inner Loop Header: Depth=1
	s_delay_alu instid0(SALU_CYCLE_1) | instskip(SKIP_1) | instid1(VALU_DEP_1)
	v_cmp_ge_i64_e64 s3, s[30:31], s[4:5]
	v_add_co_u32 v63, s17, v28, s30
	v_add_co_ci_u32_e64 v64, null, 0, s31, s17
	s_delay_alu instid0(VALU_DEP_3)
	s_and_b32 vcc_lo, exec_lo, s3
	s_cbranch_vccz .LBB195_25
; %bb.4:                                ;   in Loop: Header=BB195_3 Depth=1
	s_load_b32 s3, s[26:27], 0xc
	v_mov_b32_e32 v65, 0
	s_waitcnt lgkmcnt(0)
	s_and_b32 s3, s3, 0xffff
	s_delay_alu instid0(SALU_CYCLE_1) | instskip(SKIP_1) | instid1(VALU_DEP_1)
	v_mad_u32_u24 v1, v27, s3, v29
	s_mov_b32 s3, exec_lo
	v_and_b32_e32 v1, 31, v1
	s_delay_alu instid0(VALU_DEP_1)
	v_cmpx_gt_u32_e32 8, v1
	s_cbranch_execz .LBB195_8
; %bb.5:                                ;   in Loop: Header=BB195_3 Depth=1
	v_add_co_u32 v1, vcc_lo, v63, v1
	v_add_co_ci_u32_e32 v4, vcc_lo, 0, v64, vcc_lo
	v_mov_b32_e32 v65, 0
	s_delay_alu instid0(VALU_DEP_3) | instskip(NEXT) | instid1(VALU_DEP_3)
	v_add_co_u32 v3, vcc_lo, 0xffffff81, v1
	v_add_co_ci_u32_e32 v4, vcc_lo, -1, v4, vcc_lo
	s_mov_b32 s17, exec_lo
	s_delay_alu instid0(VALU_DEP_1)
	v_cmpx_gt_i64_e64 s[4:5], v[3:4]
	s_cbranch_execz .LBB195_7
; %bb.6:                                ;   in Loop: Header=BB195_3 Depth=1
	v_lshlrev_b64 v[3:4], 2, v[3:4]
	s_delay_alu instid0(VALU_DEP_1) | instskip(NEXT) | instid1(VALU_DEP_2)
	v_add_co_u32 v3, vcc_lo, s12, v3
	v_add_co_ci_u32_e32 v4, vcc_lo, s13, v4, vcc_lo
	global_load_b32 v65, v[3:4], off
.LBB195_7:                              ;   in Loop: Header=BB195_3 Depth=1
	s_or_b32 exec_lo, exec_lo, s17
.LBB195_8:                              ;   in Loop: Header=BB195_3 Depth=1
	s_delay_alu instid0(SALU_CYCLE_1)
	s_or_b32 exec_lo, exec_lo, s3
	v_add_co_u32 v3, vcc_lo, 0xffffff81, v63
	v_add_co_ci_u32_e32 v4, vcc_lo, -1, v64, vcc_lo
	s_mov_b32 s22, s16
	s_mov_b32 s23, s16
	s_mov_b32 s17, s16
	s_mov_b32 s18, s16
	s_mov_b32 s19, s16
	s_mov_b32 s20, s16
	s_mov_b32 s21, s16
	v_dual_mov_b32 v9, s16 :: v_dual_mov_b32 v10, s17
	v_dual_mov_b32 v15, s22 :: v_dual_mov_b32 v16, s23
	;; [unrolled: 1-line block ×4, first 2 shown]
	v_cmp_gt_i64_e32 vcc_lo, s[4:5], v[3:4]
	s_delay_alu instid0(VALU_DEP_4) | instskip(NEXT) | instid1(VALU_DEP_3)
	v_dual_mov_b32 v24, v16 :: v_dual_mov_b32 v23, v15
	v_dual_mov_b32 v21, v13 :: v_dual_mov_b32 v22, v14
	;; [unrolled: 1-line block ×4, first 2 shown]
	s_and_b32 s17, s2, vcc_lo
	s_delay_alu instid0(SALU_CYCLE_1)
	s_and_saveexec_b32 s3, s17
	s_cbranch_execz .LBB195_10
; %bb.9:                                ;   in Loop: Header=BB195_3 Depth=1
	v_add_co_u32 v3, vcc_lo, v58, v25
	v_add_co_ci_u32_e32 v4, vcc_lo, v59, v26, vcc_lo
	v_add_co_u32 v5, vcc_lo, v60, v25
	v_add_co_ci_u32_e32 v6, vcc_lo, v61, v26, vcc_lo
	v_mov_b32_e32 v8, v2
	global_load_u16 v1, v[3:4], off
	global_load_u16 v9, v[5:6], off
	v_mov_b32_e32 v3, v2
	v_mov_b32_e32 v4, v2
	;; [unrolled: 1-line block ×6, first 2 shown]
	s_waitcnt vmcnt(1)
	v_lshlrev_b32_e32 v1, 16, v1
	s_waitcnt vmcnt(0)
	v_lshlrev_b32_e32 v9, 16, v9
	v_dual_mov_b32 v11, v2 :: v_dual_mov_b32 v24, v8
	v_dual_mov_b32 v10, v2 :: v_dual_mov_b32 v23, v7
	;; [unrolled: 1-line block ×6, first 2 shown]
	v_mov_b32_e32 v22, v6
	v_mov_b32_e32 v18, v2
.LBB195_10:                             ;   in Loop: Header=BB195_3 Depth=1
	s_or_b32 exec_lo, exec_lo, s3
	v_add_co_u32 v3, vcc_lo, 0xffffff82, v63
	v_add_co_ci_u32_e32 v4, vcc_lo, -1, v64, vcc_lo
	s_delay_alu instid0(VALU_DEP_1) | instskip(SKIP_1) | instid1(SALU_CYCLE_1)
	v_cmp_gt_i64_e32 vcc_lo, s[4:5], v[3:4]
	s_and_b32 s17, s2, vcc_lo
	s_and_saveexec_b32 s3, s17
	s_cbranch_execz .LBB195_12
; %bb.11:                               ;   in Loop: Header=BB195_3 Depth=1
	v_add_co_u32 v3, vcc_lo, v54, v25
	v_add_co_ci_u32_e32 v4, vcc_lo, v55, v26, vcc_lo
	v_add_co_u32 v5, vcc_lo, v56, v25
	v_add_co_ci_u32_e32 v6, vcc_lo, v57, v26, vcc_lo
	global_load_u16 v1, v[3:4], off
	global_load_u16 v3, v[5:6], off
	s_waitcnt vmcnt(1)
	v_lshlrev_b32_e32 v18, 16, v1
	s_waitcnt vmcnt(0)
	v_lshlrev_b32_e32 v10, 16, v3
.LBB195_12:                             ;   in Loop: Header=BB195_3 Depth=1
	s_or_b32 exec_lo, exec_lo, s3
	v_add_co_u32 v3, vcc_lo, 0xffffff83, v63
	v_add_co_ci_u32_e32 v4, vcc_lo, -1, v64, vcc_lo
	s_delay_alu instid0(VALU_DEP_1) | instskip(SKIP_1) | instid1(SALU_CYCLE_1)
	v_cmp_gt_i64_e32 vcc_lo, s[4:5], v[3:4]
	s_and_b32 s17, s2, vcc_lo
	s_and_saveexec_b32 s3, s17
	s_cbranch_execz .LBB195_14
; %bb.13:                               ;   in Loop: Header=BB195_3 Depth=1
	v_add_co_u32 v3, vcc_lo, v50, v25
	v_add_co_ci_u32_e32 v4, vcc_lo, v51, v26, vcc_lo
	v_add_co_u32 v5, vcc_lo, v52, v25
	v_add_co_ci_u32_e32 v6, vcc_lo, v53, v26, vcc_lo
	global_load_u16 v1, v[3:4], off
	global_load_u16 v3, v[5:6], off
	s_waitcnt vmcnt(1)
	v_lshlrev_b32_e32 v19, 16, v1
	s_waitcnt vmcnt(0)
	v_lshlrev_b32_e32 v11, 16, v3
.LBB195_14:                             ;   in Loop: Header=BB195_3 Depth=1
	s_or_b32 exec_lo, exec_lo, s3
	v_add_co_u32 v3, vcc_lo, 0xffffff84, v63
	v_add_co_ci_u32_e32 v4, vcc_lo, -1, v64, vcc_lo
	s_delay_alu instid0(VALU_DEP_1) | instskip(SKIP_1) | instid1(SALU_CYCLE_1)
	v_cmp_gt_i64_e32 vcc_lo, s[4:5], v[3:4]
	s_and_b32 s17, s2, vcc_lo
	s_and_saveexec_b32 s3, s17
	s_cbranch_execz .LBB195_16
; %bb.15:                               ;   in Loop: Header=BB195_3 Depth=1
	v_add_co_u32 v3, vcc_lo, v46, v25
	v_add_co_ci_u32_e32 v4, vcc_lo, v47, v26, vcc_lo
	v_add_co_u32 v5, vcc_lo, v48, v25
	v_add_co_ci_u32_e32 v6, vcc_lo, v49, v26, vcc_lo
	global_load_u16 v1, v[3:4], off
	global_load_u16 v3, v[5:6], off
	s_waitcnt vmcnt(1)
	v_lshlrev_b32_e32 v20, 16, v1
	s_waitcnt vmcnt(0)
	v_lshlrev_b32_e32 v12, 16, v3
.LBB195_16:                             ;   in Loop: Header=BB195_3 Depth=1
	s_or_b32 exec_lo, exec_lo, s3
	v_add_co_u32 v3, vcc_lo, 0xffffff85, v63
	v_add_co_ci_u32_e32 v4, vcc_lo, -1, v64, vcc_lo
	s_delay_alu instid0(VALU_DEP_1) | instskip(SKIP_1) | instid1(SALU_CYCLE_1)
	v_cmp_gt_i64_e32 vcc_lo, s[4:5], v[3:4]
	s_and_b32 s17, s2, vcc_lo
	s_and_saveexec_b32 s3, s17
	s_cbranch_execz .LBB195_18
; %bb.17:                               ;   in Loop: Header=BB195_3 Depth=1
	v_add_co_u32 v3, vcc_lo, v42, v25
	v_add_co_ci_u32_e32 v4, vcc_lo, v43, v26, vcc_lo
	v_add_co_u32 v5, vcc_lo, v44, v25
	v_add_co_ci_u32_e32 v6, vcc_lo, v45, v26, vcc_lo
	global_load_u16 v1, v[3:4], off
	global_load_u16 v3, v[5:6], off
	s_waitcnt vmcnt(1)
	v_lshlrev_b32_e32 v21, 16, v1
	s_waitcnt vmcnt(0)
	v_lshlrev_b32_e32 v13, 16, v3
.LBB195_18:                             ;   in Loop: Header=BB195_3 Depth=1
	s_or_b32 exec_lo, exec_lo, s3
	v_add_co_u32 v3, vcc_lo, 0xffffff86, v63
	v_add_co_ci_u32_e32 v4, vcc_lo, -1, v64, vcc_lo
	s_delay_alu instid0(VALU_DEP_1) | instskip(SKIP_1) | instid1(SALU_CYCLE_1)
	v_cmp_gt_i64_e32 vcc_lo, s[4:5], v[3:4]
	s_and_b32 s17, s2, vcc_lo
	s_and_saveexec_b32 s3, s17
	s_cbranch_execz .LBB195_20
; %bb.19:                               ;   in Loop: Header=BB195_3 Depth=1
	v_add_co_u32 v3, vcc_lo, v38, v25
	v_add_co_ci_u32_e32 v4, vcc_lo, v39, v26, vcc_lo
	v_add_co_u32 v5, vcc_lo, v40, v25
	v_add_co_ci_u32_e32 v6, vcc_lo, v41, v26, vcc_lo
	global_load_u16 v1, v[3:4], off
	global_load_u16 v3, v[5:6], off
	s_waitcnt vmcnt(1)
	v_lshlrev_b32_e32 v22, 16, v1
	s_waitcnt vmcnt(0)
	v_lshlrev_b32_e32 v14, 16, v3
.LBB195_20:                             ;   in Loop: Header=BB195_3 Depth=1
	s_or_b32 exec_lo, exec_lo, s3
	v_add_co_u32 v3, vcc_lo, 0xffffff87, v63
	v_add_co_ci_u32_e32 v4, vcc_lo, -1, v64, vcc_lo
	s_delay_alu instid0(VALU_DEP_1) | instskip(SKIP_1) | instid1(SALU_CYCLE_1)
	v_cmp_gt_i64_e32 vcc_lo, s[4:5], v[3:4]
	s_and_b32 s17, s2, vcc_lo
	s_and_saveexec_b32 s3, s17
	s_cbranch_execz .LBB195_22
; %bb.21:                               ;   in Loop: Header=BB195_3 Depth=1
	v_add_co_u32 v3, vcc_lo, v34, v25
	v_add_co_ci_u32_e32 v4, vcc_lo, v35, v26, vcc_lo
	v_add_co_u32 v5, vcc_lo, v36, v25
	v_add_co_ci_u32_e32 v6, vcc_lo, v37, v26, vcc_lo
	global_load_u16 v1, v[3:4], off
	global_load_u16 v3, v[5:6], off
	s_waitcnt vmcnt(1)
	v_lshlrev_b32_e32 v23, 16, v1
	s_waitcnt vmcnt(0)
	v_lshlrev_b32_e32 v15, 16, v3
.LBB195_22:                             ;   in Loop: Header=BB195_3 Depth=1
	s_or_b32 exec_lo, exec_lo, s3
	v_add_co_u32 v3, vcc_lo, 0xffffff88, v63
	v_add_co_ci_u32_e32 v4, vcc_lo, -1, v64, vcc_lo
	s_delay_alu instid0(VALU_DEP_1) | instskip(SKIP_1) | instid1(SALU_CYCLE_1)
	v_cmp_gt_i64_e32 vcc_lo, s[4:5], v[3:4]
	s_and_b32 s17, s2, vcc_lo
	s_and_saveexec_b32 s3, s17
	s_cbranch_execz .LBB195_24
; %bb.23:                               ;   in Loop: Header=BB195_3 Depth=1
	v_add_co_u32 v3, vcc_lo, v30, v25
	v_add_co_ci_u32_e32 v4, vcc_lo, v31, v26, vcc_lo
	v_add_co_u32 v5, vcc_lo, v32, v25
	v_add_co_ci_u32_e32 v6, vcc_lo, v33, v26, vcc_lo
	global_load_u16 v1, v[3:4], off
	global_load_u16 v3, v[5:6], off
	s_waitcnt vmcnt(1)
	v_lshlrev_b32_e32 v24, 16, v1
	s_waitcnt vmcnt(0)
	v_lshlrev_b32_e32 v16, 16, v3
.LBB195_24:                             ;   in Loop: Header=BB195_3 Depth=1
	s_or_b32 exec_lo, exec_lo, s3
	s_waitcnt vmcnt(0)
	ds_bpermute_b32 v1, v2, v65
	ds_bpermute_b32 v3, v2, v65 offset:4
	ds_bpermute_b32 v4, v2, v65 offset:8
	v_mul_f32_e32 v5, v9, v17
	ds_bpermute_b32 v6, v2, v65 offset:12
	v_mul_f32_e32 v7, v10, v18
	ds_bpermute_b32 v8, v2, v65 offset:16
	ds_bpermute_b32 v9, v2, v65 offset:20
	s_waitcnt lgkmcnt(5)
	v_fma_f32 v1, v5, v1, v62
	v_mul_f32_e32 v5, v11, v19
	s_waitcnt lgkmcnt(4)
	s_delay_alu instid0(VALU_DEP_2) | instskip(SKIP_2) | instid1(VALU_DEP_2)
	v_fmac_f32_e32 v1, v7, v3
	v_mul_f32_e32 v3, v12, v20
	s_waitcnt lgkmcnt(3)
	v_fmac_f32_e32 v1, v5, v4
	ds_bpermute_b32 v4, v2, v65 offset:24
	v_mul_f32_e32 v5, v13, v21
	s_waitcnt lgkmcnt(3)
	v_fmac_f32_e32 v1, v3, v6
	v_mul_f32_e32 v6, v14, v22
	ds_bpermute_b32 v3, v2, v65 offset:28
	s_waitcnt lgkmcnt(3)
	v_fmac_f32_e32 v1, v5, v8
	v_mul_f32_e32 v5, v15, v23
	s_waitcnt lgkmcnt(2)
	s_delay_alu instid0(VALU_DEP_2) | instskip(SKIP_1) | instid1(VALU_DEP_1)
	v_fmac_f32_e32 v1, v6, v9
	s_waitcnt lgkmcnt(1)
	v_fmac_f32_e32 v1, v5, v4
	s_branch .LBB195_40
.LBB195_25:                             ;   in Loop: Header=BB195_3 Depth=1
                                        ; implicit-def: $vgpr1
                                        ; implicit-def: $vgpr9_vgpr10_vgpr11_vgpr12_vgpr13_vgpr14_vgpr15_vgpr16
                                        ; implicit-def: $vgpr17_vgpr18_vgpr19_vgpr20_vgpr21_vgpr22_vgpr23_vgpr24
                                        ; implicit-def: $vgpr3
	s_cbranch_execz .LBB195_40
; %bb.26:                               ;   in Loop: Header=BB195_3 Depth=1
	s_load_b32 s3, s[26:27], 0x0
	v_mov_b32_e32 v65, 0
	s_waitcnt lgkmcnt(0)
	s_cmp_lt_u32 s14, s3
	s_cselect_b32 s3, 12, 18
	s_delay_alu instid0(SALU_CYCLE_1)
	s_add_u32 s18, s26, s3
	s_addc_u32 s19, s27, 0
	s_mov_b32 s3, exec_lo
	global_load_u16 v1, v2, s[18:19]
	s_waitcnt vmcnt(0)
	v_mad_u32_u24 v1, v27, v1, v29
	s_delay_alu instid0(VALU_DEP_1) | instskip(NEXT) | instid1(VALU_DEP_1)
	v_and_b32_e32 v1, 31, v1
	v_cmpx_gt_u32_e32 8, v1
	s_cbranch_execz .LBB195_30
; %bb.27:                               ;   in Loop: Header=BB195_3 Depth=1
	v_add_co_u32 v1, vcc_lo, v63, v1
	v_add_co_ci_u32_e32 v4, vcc_lo, 0, v64, vcc_lo
	v_mov_b32_e32 v65, 0
	s_delay_alu instid0(VALU_DEP_3) | instskip(NEXT) | instid1(VALU_DEP_3)
	v_add_co_u32 v3, vcc_lo, 0xffffff81, v1
	v_add_co_ci_u32_e32 v4, vcc_lo, -1, v4, vcc_lo
	s_mov_b32 s17, exec_lo
	s_delay_alu instid0(VALU_DEP_1)
	v_cmpx_gt_i64_e64 s[4:5], v[3:4]
	s_cbranch_execz .LBB195_29
; %bb.28:                               ;   in Loop: Header=BB195_3 Depth=1
	v_lshlrev_b64 v[3:4], 2, v[3:4]
	s_delay_alu instid0(VALU_DEP_1) | instskip(NEXT) | instid1(VALU_DEP_2)
	v_add_co_u32 v3, vcc_lo, s12, v3
	v_add_co_ci_u32_e32 v4, vcc_lo, s13, v4, vcc_lo
	global_load_b32 v65, v[3:4], off
.LBB195_29:                             ;   in Loop: Header=BB195_3 Depth=1
	s_or_b32 exec_lo, exec_lo, s17
.LBB195_30:                             ;   in Loop: Header=BB195_3 Depth=1
	s_delay_alu instid0(SALU_CYCLE_1)
	s_or_b32 exec_lo, exec_lo, s3
	s_mov_b32 s22, s16
	s_mov_b32 s23, s16
	;; [unrolled: 1-line block ×7, first 2 shown]
	v_dual_mov_b32 v9, s16 :: v_dual_mov_b32 v10, s17
	v_dual_mov_b32 v15, s22 :: v_dual_mov_b32 v16, s23
	;; [unrolled: 1-line block ×4, first 2 shown]
	s_delay_alu instid0(VALU_DEP_3) | instskip(NEXT) | instid1(VALU_DEP_3)
	v_dual_mov_b32 v24, v16 :: v_dual_mov_b32 v23, v15
	v_dual_mov_b32 v20, v12 :: v_dual_mov_b32 v19, v11
	s_delay_alu instid0(VALU_DEP_3)
	v_dual_mov_b32 v22, v14 :: v_dual_mov_b32 v21, v13
	v_dual_mov_b32 v18, v10 :: v_dual_mov_b32 v17, v9
	s_and_saveexec_b32 s3, s2
	s_cbranch_execnz .LBB195_42
; %bb.31:                               ;   in Loop: Header=BB195_3 Depth=1
	s_or_b32 exec_lo, exec_lo, s3
	s_and_saveexec_b32 s3, s2
	s_cbranch_execnz .LBB195_43
.LBB195_32:                             ;   in Loop: Header=BB195_3 Depth=1
	s_or_b32 exec_lo, exec_lo, s3
	s_and_saveexec_b32 s3, s2
	s_cbranch_execnz .LBB195_44
.LBB195_33:                             ;   in Loop: Header=BB195_3 Depth=1
	s_or_b32 exec_lo, exec_lo, s3
	s_and_saveexec_b32 s3, s2
	s_cbranch_execnz .LBB195_45
.LBB195_34:                             ;   in Loop: Header=BB195_3 Depth=1
	s_or_b32 exec_lo, exec_lo, s3
	s_and_saveexec_b32 s3, s2
	s_cbranch_execnz .LBB195_46
.LBB195_35:                             ;   in Loop: Header=BB195_3 Depth=1
	s_or_b32 exec_lo, exec_lo, s3
	s_and_saveexec_b32 s3, s2
	s_cbranch_execnz .LBB195_47
.LBB195_36:                             ;   in Loop: Header=BB195_3 Depth=1
	s_or_b32 exec_lo, exec_lo, s3
	s_and_saveexec_b32 s3, s2
	s_cbranch_execnz .LBB195_48
.LBB195_37:                             ;   in Loop: Header=BB195_3 Depth=1
	s_or_b32 exec_lo, exec_lo, s3
	s_and_saveexec_b32 s3, s2
	s_cbranch_execz .LBB195_39
.LBB195_38:                             ;   in Loop: Header=BB195_3 Depth=1
	v_add_co_u32 v3, vcc_lo, v30, v25
	v_add_co_ci_u32_e32 v4, vcc_lo, v31, v26, vcc_lo
	v_add_co_u32 v5, vcc_lo, v32, v25
	v_add_co_ci_u32_e32 v6, vcc_lo, v33, v26, vcc_lo
	global_load_u16 v1, v[3:4], off
	global_load_u16 v3, v[5:6], off
	s_waitcnt vmcnt(1)
	v_lshlrev_b32_e32 v24, 16, v1
	s_waitcnt vmcnt(0)
	v_lshlrev_b32_e32 v16, 16, v3
.LBB195_39:                             ;   in Loop: Header=BB195_3 Depth=1
	s_or_b32 exec_lo, exec_lo, s3
	s_waitcnt vmcnt(0)
	ds_bpermute_b32 v1, v2, v65
	ds_bpermute_b32 v3, v2, v65 offset:4
	ds_bpermute_b32 v4, v2, v65 offset:8
	ds_bpermute_b32 v6, v2, v65 offset:12
	v_mul_f32_e32 v7, v10, v18
	v_mul_f32_e32 v5, v9, v17
	ds_bpermute_b32 v8, v2, v65 offset:16
	s_waitcnt lgkmcnt(4)
	v_dual_fmac_f32 v62, v5, v1 :: v_dual_mul_f32 v1, v11, v19
	ds_bpermute_b32 v5, v2, v65 offset:20
	s_waitcnt lgkmcnt(4)
	v_dual_fmac_f32 v62, v7, v3 :: v_dual_mul_f32 v3, v12, v20
	s_waitcnt lgkmcnt(3)
	s_delay_alu instid0(VALU_DEP_1)
	v_fmac_f32_e32 v62, v1, v4
	ds_bpermute_b32 v1, v2, v65 offset:24
	v_mul_f32_e32 v4, v13, v21
	s_waitcnt lgkmcnt(3)
	v_fmac_f32_e32 v62, v3, v6
	v_mul_f32_e32 v6, v14, v22
	ds_bpermute_b32 v3, v2, v65 offset:28
	s_waitcnt lgkmcnt(3)
	v_fmac_f32_e32 v62, v4, v8
	v_mul_f32_e32 v4, v15, v23
	s_waitcnt lgkmcnt(2)
	s_delay_alu instid0(VALU_DEP_2) | instskip(SKIP_1) | instid1(VALU_DEP_1)
	v_fmac_f32_e32 v62, v6, v5
	s_waitcnt lgkmcnt(1)
	v_fmac_f32_e32 v62, v4, v1
	s_delay_alu instid0(VALU_DEP_1)
	v_mov_b32_e32 v1, v62
.LBB195_40:                             ;   in Loop: Header=BB195_3 Depth=1
	v_add_co_u32 v30, vcc_lo, v30, s28
	v_add_co_ci_u32_e32 v31, vcc_lo, s29, v31, vcc_lo
	v_add_co_u32 v32, vcc_lo, v32, s28
	v_add_co_ci_u32_e32 v33, vcc_lo, s29, v33, vcc_lo
	;; [unrolled: 2-line block ×13, first 2 shown]
	v_add_co_u32 v56, vcc_lo, v56, s28
	s_add_u32 s34, s34, s36
	v_add_co_ci_u32_e32 v57, vcc_lo, s29, v57, vcc_lo
	v_mul_f32_e32 v4, v24, v16
	s_addc_u32 s35, s35, 0
	v_add_co_u32 v58, vcc_lo, v58, s28
	v_cmp_lt_i64_e64 s3, s[34:35], s[4:5]
	v_add_co_ci_u32_e32 v59, vcc_lo, s29, v59, vcc_lo
	v_add_co_u32 v60, vcc_lo, v60, s28
	s_waitcnt lgkmcnt(0)
	v_fmac_f32_e32 v1, v4, v3
	v_add_co_ci_u32_e32 v61, vcc_lo, s29, v61, vcc_lo
	s_add_u32 s30, s30, s36
	s_addc_u32 s31, s31, 0
	s_and_b32 vcc_lo, exec_lo, s3
	s_cbranch_vccz .LBB195_50
; %bb.41:                               ;   in Loop: Header=BB195_3 Depth=1
	v_mov_b32_e32 v62, v1
	s_branch .LBB195_3
.LBB195_42:                             ;   in Loop: Header=BB195_3 Depth=1
	v_add_co_u32 v3, vcc_lo, v58, v25
	v_add_co_ci_u32_e32 v4, vcc_lo, v59, v26, vcc_lo
	v_add_co_u32 v5, vcc_lo, v60, v25
	v_add_co_ci_u32_e32 v6, vcc_lo, v61, v26, vcc_lo
	v_mov_b32_e32 v8, v2
	global_load_u16 v1, v[3:4], off
	global_load_u16 v9, v[5:6], off
	v_mov_b32_e32 v3, v2
	v_mov_b32_e32 v4, v2
	;; [unrolled: 1-line block ×6, first 2 shown]
	s_waitcnt vmcnt(1)
	v_lshlrev_b32_e32 v1, 16, v1
	s_waitcnt vmcnt(0)
	v_lshlrev_b32_e32 v9, 16, v9
	v_dual_mov_b32 v11, v2 :: v_dual_mov_b32 v24, v8
	v_dual_mov_b32 v10, v2 :: v_dual_mov_b32 v23, v7
	;; [unrolled: 1-line block ×6, first 2 shown]
	v_mov_b32_e32 v22, v6
	v_mov_b32_e32 v18, v2
	s_or_b32 exec_lo, exec_lo, s3
	s_and_saveexec_b32 s3, s2
	s_cbranch_execz .LBB195_32
.LBB195_43:                             ;   in Loop: Header=BB195_3 Depth=1
	v_add_co_u32 v3, vcc_lo, v54, v25
	v_add_co_ci_u32_e32 v4, vcc_lo, v55, v26, vcc_lo
	v_add_co_u32 v5, vcc_lo, v56, v25
	v_add_co_ci_u32_e32 v6, vcc_lo, v57, v26, vcc_lo
	global_load_u16 v1, v[3:4], off
	global_load_u16 v3, v[5:6], off
	s_waitcnt vmcnt(1)
	v_lshlrev_b32_e32 v18, 16, v1
	s_waitcnt vmcnt(0)
	v_lshlrev_b32_e32 v10, 16, v3
	s_or_b32 exec_lo, exec_lo, s3
	s_and_saveexec_b32 s3, s2
	s_cbranch_execz .LBB195_33
.LBB195_44:                             ;   in Loop: Header=BB195_3 Depth=1
	v_add_co_u32 v3, vcc_lo, v50, v25
	v_add_co_ci_u32_e32 v4, vcc_lo, v51, v26, vcc_lo
	v_add_co_u32 v5, vcc_lo, v52, v25
	v_add_co_ci_u32_e32 v6, vcc_lo, v53, v26, vcc_lo
	global_load_u16 v1, v[3:4], off
	global_load_u16 v3, v[5:6], off
	s_waitcnt vmcnt(1)
	v_lshlrev_b32_e32 v19, 16, v1
	s_waitcnt vmcnt(0)
	v_lshlrev_b32_e32 v11, 16, v3
	s_or_b32 exec_lo, exec_lo, s3
	s_and_saveexec_b32 s3, s2
	s_cbranch_execz .LBB195_34
.LBB195_45:                             ;   in Loop: Header=BB195_3 Depth=1
	v_add_co_u32 v3, vcc_lo, v46, v25
	v_add_co_ci_u32_e32 v4, vcc_lo, v47, v26, vcc_lo
	v_add_co_u32 v5, vcc_lo, v48, v25
	v_add_co_ci_u32_e32 v6, vcc_lo, v49, v26, vcc_lo
	global_load_u16 v1, v[3:4], off
	global_load_u16 v3, v[5:6], off
	s_waitcnt vmcnt(1)
	v_lshlrev_b32_e32 v20, 16, v1
	s_waitcnt vmcnt(0)
	v_lshlrev_b32_e32 v12, 16, v3
	s_or_b32 exec_lo, exec_lo, s3
	s_and_saveexec_b32 s3, s2
	s_cbranch_execz .LBB195_35
.LBB195_46:                             ;   in Loop: Header=BB195_3 Depth=1
	v_add_co_u32 v3, vcc_lo, v42, v25
	v_add_co_ci_u32_e32 v4, vcc_lo, v43, v26, vcc_lo
	v_add_co_u32 v5, vcc_lo, v44, v25
	v_add_co_ci_u32_e32 v6, vcc_lo, v45, v26, vcc_lo
	global_load_u16 v1, v[3:4], off
	global_load_u16 v3, v[5:6], off
	s_waitcnt vmcnt(1)
	v_lshlrev_b32_e32 v21, 16, v1
	s_waitcnt vmcnt(0)
	v_lshlrev_b32_e32 v13, 16, v3
	s_or_b32 exec_lo, exec_lo, s3
	s_and_saveexec_b32 s3, s2
	s_cbranch_execz .LBB195_36
.LBB195_47:                             ;   in Loop: Header=BB195_3 Depth=1
	v_add_co_u32 v3, vcc_lo, v38, v25
	v_add_co_ci_u32_e32 v4, vcc_lo, v39, v26, vcc_lo
	v_add_co_u32 v5, vcc_lo, v40, v25
	v_add_co_ci_u32_e32 v6, vcc_lo, v41, v26, vcc_lo
	global_load_u16 v1, v[3:4], off
	global_load_u16 v3, v[5:6], off
	s_waitcnt vmcnt(1)
	v_lshlrev_b32_e32 v22, 16, v1
	s_waitcnt vmcnt(0)
	v_lshlrev_b32_e32 v14, 16, v3
	s_or_b32 exec_lo, exec_lo, s3
	s_and_saveexec_b32 s3, s2
	s_cbranch_execz .LBB195_37
.LBB195_48:                             ;   in Loop: Header=BB195_3 Depth=1
	v_add_co_u32 v3, vcc_lo, v34, v25
	v_add_co_ci_u32_e32 v4, vcc_lo, v35, v26, vcc_lo
	v_add_co_u32 v5, vcc_lo, v36, v25
	v_add_co_ci_u32_e32 v6, vcc_lo, v37, v26, vcc_lo
	global_load_u16 v1, v[3:4], off
	global_load_u16 v3, v[5:6], off
	s_waitcnt vmcnt(1)
	v_lshlrev_b32_e32 v23, 16, v1
	s_waitcnt vmcnt(0)
	v_lshlrev_b32_e32 v15, 16, v3
	s_or_b32 exec_lo, exec_lo, s3
	s_and_saveexec_b32 s3, s2
	s_cbranch_execnz .LBB195_38
	s_branch .LBB195_39
.LBB195_49:
                                        ; implicit-def: $vgpr1
	s_branch .LBB195_51
.LBB195_50:
	s_cbranch_execnz .LBB195_83
.LBB195_51:
	v_mov_b32_e32 v1, 0
	s_and_not1_b32 vcc_lo, exec_lo, s15
	s_cbranch_vccnz .LBB195_83
; %bb.52:
	s_load_b32 s2, s[0:1], 0x44
	v_dual_mov_b32 v2, 0 :: v_dual_and_b32 v55, 0x3ff, v0
	v_bfe_u32 v56, v0, 10, 10
	s_add_u32 s26, s0, 64
	s_addc_u32 s27, s1, 0
	s_delay_alu instid0(VALU_DEP_2) | instskip(NEXT) | instid1(VALU_DEP_2)
	v_dual_mov_b32 v90, 0 :: v_dual_add_nc_u32 v1, s33, v55
	v_lshlrev_b32_e32 v3, 4, v56
	v_lshlrev_b32_e32 v57, 3, v56
	s_delay_alu instid0(VALU_DEP_3)
	v_lshlrev_b64 v[25:26], 1, v[1:2]
	s_waitcnt lgkmcnt(0)
	s_lshl_b32 s15, s2, 7
	s_add_u32 s28, s24, 0x7f
	s_addc_u32 s29, 0, 0
	s_lshl_b64 s[2:3], s[24:25], 1
	s_mul_i32 s16, s7, s15
	v_add_co_u32 v1, s2, v3, s2
	s_delay_alu instid0(VALU_DEP_1) | instskip(SKIP_1) | instid1(VALU_DEP_3)
	v_add_co_ci_u32_e64 v3, null, 0, s3, s2
	v_add_co_u32 v74, s3, v57, s24
	v_add_co_u32 v7, vcc_lo, v1, 2
	s_delay_alu instid0(VALU_DEP_3) | instskip(SKIP_3) | instid1(VALU_DEP_4)
	v_add_co_ci_u32_e32 v4, vcc_lo, 0, v3, vcc_lo
	v_add_co_u32 v8, vcc_lo, v1, 4
	v_add_co_ci_u32_e32 v5, vcc_lo, 0, v3, vcc_lo
	v_add_co_u32 v11, vcc_lo, v1, 6
	v_mul_lo_u32 v9, s6, v4
	v_add_co_ci_u32_e32 v4, vcc_lo, 0, v3, vcc_lo
	v_add_co_u32 v14, vcc_lo, v1, 8
	v_mul_lo_u32 v12, s6, v5
	;; [unrolled: 3-line block ×4, first 2 shown]
	v_add_co_ci_u32_e32 v5, vcc_lo, 0, v3, vcc_lo
	v_add_co_ci_u32_e64 v75, null, 0, 0, s3
	v_add_co_u32 v1, vcc_lo, v1, 14
	v_mul_lo_u32 v21, s6, v4
	s_delay_alu instid0(VALU_DEP_4) | instskip(SKIP_4) | instid1(VALU_DEP_4)
	v_mul_lo_u32 v23, s6, v5
	v_add_co_ci_u32_e32 v5, vcc_lo, 0, v3, vcc_lo
	v_mul_lo_u32 v6, s7, v74
	v_mul_lo_u32 v41, s6, v75
	v_mad_u64_u32 v[3:4], null, s6, v74, 0
	v_mul_lo_u32 v60, s6, v5
	v_mad_u64_u32 v[27:28], null, s6, v7, s[8:9]
	;; [unrolled: 2-line block ×3, first 2 shown]
	v_add3_u32 v4, v4, v41, v6
	v_mad_u64_u32 v[41:42], null, s6, v7, s[10:11]
	v_mul_lo_u32 v13, s7, v8
	v_mad_u64_u32 v[43:44], null, s6, v8, s[10:11]
	s_delay_alu instid0(VALU_DEP_4)
	v_lshlrev_b64 v[5:6], 1, v[3:4]
	v_add3_u32 v28, v10, v28, v9
	v_mad_u64_u32 v[31:32], null, s6, v11, s[8:9]
	v_add3_u32 v42, v10, v42, v9
	v_add3_u32 v30, v13, v30, v12
	v_add_co_u32 v58, vcc_lo, s8, v5
	v_add_co_ci_u32_e32 v59, vcc_lo, s9, v6, vcc_lo
	v_add_co_u32 v9, vcc_lo, v74, 7
	v_add_co_ci_u32_e32 v7, vcc_lo, 0, v75, vcc_lo
	v_add3_u32 v44, v13, v44, v12
	v_add_co_u32 v12, vcc_lo, v74, 6
	v_mul_lo_u32 v16, s7, v11
	v_mad_u64_u32 v[39:40], null, s6, v1, s[8:9]
	v_mul_lo_u32 v61, s7, v1
	v_mad_u64_u32 v[45:46], null, s6, v11, s[10:11]
	v_mad_u64_u32 v[53:54], null, s6, v1, s[10:11]
	v_mul_lo_u32 v1, s7, v9
	v_mul_lo_u32 v11, s6, v7
	v_mad_u64_u32 v[7:8], null, s6, v9, 0
	v_add_co_ci_u32_e32 v10, vcc_lo, 0, v75, vcc_lo
	v_mad_u64_u32 v[33:34], null, s6, v14, s[8:9]
	v_mul_lo_u32 v19, s7, v14
	v_mad_u64_u32 v[47:48], null, s6, v14, s[10:11]
	v_mul_lo_u32 v13, s7, v12
	v_mul_lo_u32 v14, s6, v10
	v_mad_u64_u32 v[9:10], null, s6, v12, 0
	v_add3_u32 v8, v8, v11, v1
	v_add3_u32 v40, v61, v40, v60
	;; [unrolled: 1-line block ×3, first 2 shown]
	v_add_co_u32 v60, vcc_lo, s10, v5
	v_add_co_ci_u32_e32 v61, vcc_lo, s11, v6, vcc_lo
	v_lshlrev_b64 v[5:6], 1, v[7:8]
	v_add3_u32 v10, v10, v14, v13
	v_add_co_u32 v1, vcc_lo, v74, 5
	v_add_co_ci_u32_e32 v11, vcc_lo, 0, v75, vcc_lo
	s_delay_alu instid0(VALU_DEP_4) | instskip(NEXT) | instid1(VALU_DEP_4)
	v_add_co_u32 v62, vcc_lo, s8, v5
	v_lshlrev_b64 v[7:8], 1, v[9:10]
	v_add_co_ci_u32_e32 v63, vcc_lo, s9, v6, vcc_lo
	v_mul_lo_u32 v12, s7, v1
	v_mul_lo_u32 v11, s6, v11
	v_mad_u64_u32 v[9:10], null, s6, v1, 0
	v_add_co_u32 v64, vcc_lo, s10, v5
	v_add_co_ci_u32_e32 v65, vcc_lo, s11, v6, vcc_lo
	v_add_co_u32 v66, vcc_lo, s8, v7
	v_add_co_ci_u32_e32 v67, vcc_lo, s9, v8, vcc_lo
	s_mul_hi_u32 s2, s6, s15
	v_add_co_u32 v1, vcc_lo, v74, 4
	v_add3_u32 v10, v10, v11, v12
	s_add_i32 s3, s2, s16
	v_add_co_u32 v68, s2, s10, v7
	v_add_co_ci_u32_e32 v7, vcc_lo, 0, v75, vcc_lo
	v_add_co_u32 v12, vcc_lo, v74, 3
	v_lshlrev_b64 v[5:6], 1, v[9:10]
	v_add_co_ci_u32_e32 v9, vcc_lo, 0, v75, vcc_lo
	v_add_co_ci_u32_e64 v69, s2, s11, v8, s2
	v_mul_lo_u32 v11, s7, v1
	v_mul_lo_u32 v13, s6, v7
	v_mad_u64_u32 v[7:8], null, s6, v1, 0
	v_mul_lo_u32 v1, s7, v12
	v_mul_lo_u32 v14, s6, v9
	v_mad_u64_u32 v[9:10], null, s6, v12, 0
	v_add_co_u32 v70, vcc_lo, s8, v5
	v_add_co_ci_u32_e32 v71, vcc_lo, s9, v6, vcc_lo
	v_add3_u32 v8, v8, v13, v11
	v_add_co_u32 v72, vcc_lo, s10, v5
	v_add_co_ci_u32_e32 v73, vcc_lo, s11, v6, vcc_lo
	v_add3_u32 v10, v10, v14, v1
	v_add_co_u32 v1, vcc_lo, v74, 2
	v_lshlrev_b64 v[5:6], 1, v[7:8]
	v_add_co_ci_u32_e32 v11, vcc_lo, 0, v75, vcc_lo
	s_delay_alu instid0(VALU_DEP_4) | instskip(NEXT) | instid1(VALU_DEP_4)
	v_lshlrev_b64 v[7:8], 1, v[9:10]
	v_mul_lo_u32 v12, s7, v1
	v_mad_u64_u32 v[9:10], null, s6, v1, 0
	v_add_co_u32 v74, vcc_lo, s8, v5
	v_mul_lo_u32 v11, s6, v11
	v_add_co_ci_u32_e32 v75, vcc_lo, s9, v6, vcc_lo
	v_add_co_u32 v76, vcc_lo, s10, v5
	v_add_co_ci_u32_e32 v77, vcc_lo, s11, v6, vcc_lo
	v_add_co_u32 v78, vcc_lo, s8, v7
	v_add_co_ci_u32_e32 v79, vcc_lo, s9, v8, vcc_lo
	v_add3_u32 v10, v10, v11, v12
	v_add_co_u32 v80, vcc_lo, s10, v7
	v_add_co_ci_u32_e32 v81, vcc_lo, s11, v8, vcc_lo
	v_add_co_u32 v3, vcc_lo, v3, s6
	s_delay_alu instid0(VALU_DEP_4) | instskip(SKIP_3) | instid1(VALU_DEP_4)
	v_lshlrev_b64 v[5:6], 1, v[9:10]
	v_add_co_ci_u32_e32 v4, vcc_lo, s7, v4, vcc_lo
	v_mad_u64_u32 v[35:36], null, s6, v18, s[8:9]
	v_mul_lo_u32 v22, s7, v18
	v_add_co_u32 v82, vcc_lo, s8, v5
	s_delay_alu instid0(VALU_DEP_4)
	v_lshlrev_b64 v[3:4], 1, v[3:4]
	v_add_co_ci_u32_e32 v83, vcc_lo, s9, v6, vcc_lo
	v_mad_u64_u32 v[37:38], null, s6, v20, s[8:9]
	v_mul_lo_u32 v24, s7, v20
	v_mad_u64_u32 v[49:50], null, s6, v18, s[10:11]
	v_mad_u64_u32 v[51:52], null, s6, v20, s[10:11]
	v_add_co_u32 v84, vcc_lo, s10, v5
	v_add_co_ci_u32_e32 v85, vcc_lo, s11, v6, vcc_lo
	v_add_co_u32 v86, vcc_lo, s8, v3
	v_add_co_ci_u32_e32 v87, vcc_lo, s9, v4, vcc_lo
	v_add_co_u32 v88, vcc_lo, s10, v3
	v_add3_u32 v32, v16, v32, v15
	v_add3_u32 v34, v19, v34, v17
	;; [unrolled: 1-line block ×8, first 2 shown]
	v_add_co_ci_u32_e32 v89, vcc_lo, s11, v4, vcc_lo
	s_mul_i32 s2, s6, s15
	s_mov_b32 s16, 0
	s_lshl_b64 s[2:3], s[2:3], 1
.LBB195_53:                             ; =>This Inner Loop Header: Depth=1
	v_cmp_ge_i64_e64 s8, s[28:29], s[4:5]
	v_add_co_u32 v91, s9, v57, s28
	s_delay_alu instid0(VALU_DEP_1) | instskip(NEXT) | instid1(VALU_DEP_3)
	v_add_co_ci_u32_e64 v92, null, 0, s29, s9
	s_and_b32 vcc_lo, exec_lo, s8
	s_cbranch_vccz .LBB195_75
; %bb.54:                               ;   in Loop: Header=BB195_53 Depth=1
	s_load_b32 s8, s[26:27], 0xc
	v_mov_b32_e32 v93, 0
	s_waitcnt lgkmcnt(0)
	s_and_b32 s8, s8, 0xffff
	s_delay_alu instid0(SALU_CYCLE_1) | instskip(SKIP_1) | instid1(VALU_DEP_1)
	v_mad_u32_u24 v1, v56, s8, v55
	s_mov_b32 s8, exec_lo
	v_and_b32_e32 v1, 31, v1
	s_delay_alu instid0(VALU_DEP_1)
	v_cmpx_gt_u32_e32 8, v1
	s_cbranch_execz .LBB195_58
; %bb.55:                               ;   in Loop: Header=BB195_53 Depth=1
	v_add_co_u32 v1, vcc_lo, v91, v1
	v_add_co_ci_u32_e32 v4, vcc_lo, 0, v92, vcc_lo
	v_mov_b32_e32 v93, 0
	s_delay_alu instid0(VALU_DEP_3) | instskip(NEXT) | instid1(VALU_DEP_3)
	v_add_co_u32 v3, vcc_lo, 0xffffff81, v1
	v_add_co_ci_u32_e32 v4, vcc_lo, -1, v4, vcc_lo
	s_mov_b32 s9, exec_lo
	s_delay_alu instid0(VALU_DEP_1)
	v_cmpx_gt_i64_e64 s[4:5], v[3:4]
	s_cbranch_execz .LBB195_57
; %bb.56:                               ;   in Loop: Header=BB195_53 Depth=1
	v_lshlrev_b64 v[3:4], 2, v[3:4]
	s_delay_alu instid0(VALU_DEP_1) | instskip(NEXT) | instid1(VALU_DEP_2)
	v_add_co_u32 v3, vcc_lo, s12, v3
	v_add_co_ci_u32_e32 v4, vcc_lo, s13, v4, vcc_lo
	global_load_b32 v93, v[3:4], off
.LBB195_57:                             ;   in Loop: Header=BB195_53 Depth=1
	s_or_b32 exec_lo, exec_lo, s9
.LBB195_58:                             ;   in Loop: Header=BB195_53 Depth=1
	s_delay_alu instid0(SALU_CYCLE_1)
	s_or_b32 exec_lo, exec_lo, s8
	s_mov_b32 s22, s16
	s_mov_b32 s23, s16
	;; [unrolled: 1-line block ×7, first 2 shown]
	v_dual_mov_b32 v9, s16 :: v_dual_mov_b32 v10, s17
	v_dual_mov_b32 v15, s22 :: v_dual_mov_b32 v16, s23
	;; [unrolled: 1-line block ×4, first 2 shown]
	v_add_co_u32 v3, vcc_lo, 0xffffff81, v91
	s_delay_alu instid0(VALU_DEP_4) | instskip(SKIP_1) | instid1(VALU_DEP_4)
	v_dual_mov_b32 v24, v16 :: v_dual_mov_b32 v23, v15
	v_add_co_ci_u32_e32 v4, vcc_lo, -1, v92, vcc_lo
	v_dual_mov_b32 v22, v14 :: v_dual_mov_b32 v21, v13
	v_dual_mov_b32 v20, v12 :: v_dual_mov_b32 v19, v11
	;; [unrolled: 1-line block ×3, first 2 shown]
	s_mov_b32 s8, exec_lo
	v_cmpx_gt_i64_e64 s[4:5], v[3:4]
	s_cbranch_execz .LBB195_60
; %bb.59:                               ;   in Loop: Header=BB195_53 Depth=1
	v_add_co_u32 v3, vcc_lo, v58, v25
	v_add_co_ci_u32_e32 v4, vcc_lo, v59, v26, vcc_lo
	v_add_co_u32 v5, vcc_lo, v60, v25
	v_add_co_ci_u32_e32 v6, vcc_lo, v61, v26, vcc_lo
	v_mov_b32_e32 v8, v2
	global_load_u16 v1, v[3:4], off
	global_load_u16 v9, v[5:6], off
	v_mov_b32_e32 v3, v2
	v_mov_b32_e32 v4, v2
	;; [unrolled: 1-line block ×6, first 2 shown]
	s_waitcnt vmcnt(1)
	v_lshlrev_b32_e32 v1, 16, v1
	s_waitcnt vmcnt(0)
	v_lshlrev_b32_e32 v9, 16, v9
	v_dual_mov_b32 v11, v2 :: v_dual_mov_b32 v24, v8
	v_dual_mov_b32 v10, v2 :: v_dual_mov_b32 v23, v7
	;; [unrolled: 1-line block ×6, first 2 shown]
	v_mov_b32_e32 v22, v6
	v_mov_b32_e32 v18, v2
.LBB195_60:                             ;   in Loop: Header=BB195_53 Depth=1
	s_or_b32 exec_lo, exec_lo, s8
	v_add_co_u32 v3, vcc_lo, 0xffffff82, v91
	v_add_co_ci_u32_e32 v4, vcc_lo, -1, v92, vcc_lo
	s_mov_b32 s8, exec_lo
	s_delay_alu instid0(VALU_DEP_1)
	v_cmpx_gt_i64_e64 s[4:5], v[3:4]
	s_cbranch_execz .LBB195_62
; %bb.61:                               ;   in Loop: Header=BB195_53 Depth=1
	v_add_co_u32 v3, vcc_lo, v86, v25
	v_add_co_ci_u32_e32 v4, vcc_lo, v87, v26, vcc_lo
	v_add_co_u32 v5, vcc_lo, v88, v25
	v_add_co_ci_u32_e32 v6, vcc_lo, v89, v26, vcc_lo
	global_load_u16 v1, v[3:4], off
	global_load_u16 v3, v[5:6], off
	s_waitcnt vmcnt(1)
	v_lshlrev_b32_e32 v18, 16, v1
	s_waitcnt vmcnt(0)
	v_lshlrev_b32_e32 v10, 16, v3
.LBB195_62:                             ;   in Loop: Header=BB195_53 Depth=1
	s_or_b32 exec_lo, exec_lo, s8
	v_add_co_u32 v3, vcc_lo, 0xffffff83, v91
	v_add_co_ci_u32_e32 v4, vcc_lo, -1, v92, vcc_lo
	s_mov_b32 s8, exec_lo
	s_delay_alu instid0(VALU_DEP_1)
	v_cmpx_gt_i64_e64 s[4:5], v[3:4]
	s_cbranch_execz .LBB195_64
; %bb.63:                               ;   in Loop: Header=BB195_53 Depth=1
	v_add_co_u32 v3, vcc_lo, v82, v25
	v_add_co_ci_u32_e32 v4, vcc_lo, v83, v26, vcc_lo
	v_add_co_u32 v5, vcc_lo, v84, v25
	v_add_co_ci_u32_e32 v6, vcc_lo, v85, v26, vcc_lo
	global_load_u16 v1, v[3:4], off
	global_load_u16 v3, v[5:6], off
	s_waitcnt vmcnt(1)
	v_lshlrev_b32_e32 v19, 16, v1
	s_waitcnt vmcnt(0)
	v_lshlrev_b32_e32 v11, 16, v3
.LBB195_64:                             ;   in Loop: Header=BB195_53 Depth=1
	s_or_b32 exec_lo, exec_lo, s8
	v_add_co_u32 v3, vcc_lo, 0xffffff84, v91
	v_add_co_ci_u32_e32 v4, vcc_lo, -1, v92, vcc_lo
	s_mov_b32 s8, exec_lo
	s_delay_alu instid0(VALU_DEP_1)
	v_cmpx_gt_i64_e64 s[4:5], v[3:4]
	s_cbranch_execz .LBB195_66
; %bb.65:                               ;   in Loop: Header=BB195_53 Depth=1
	v_add_co_u32 v3, vcc_lo, v78, v25
	v_add_co_ci_u32_e32 v4, vcc_lo, v79, v26, vcc_lo
	v_add_co_u32 v5, vcc_lo, v80, v25
	v_add_co_ci_u32_e32 v6, vcc_lo, v81, v26, vcc_lo
	global_load_u16 v1, v[3:4], off
	global_load_u16 v3, v[5:6], off
	s_waitcnt vmcnt(1)
	v_lshlrev_b32_e32 v20, 16, v1
	s_waitcnt vmcnt(0)
	v_lshlrev_b32_e32 v12, 16, v3
.LBB195_66:                             ;   in Loop: Header=BB195_53 Depth=1
	s_or_b32 exec_lo, exec_lo, s8
	v_add_co_u32 v3, vcc_lo, 0xffffff85, v91
	v_add_co_ci_u32_e32 v4, vcc_lo, -1, v92, vcc_lo
	s_mov_b32 s8, exec_lo
	s_delay_alu instid0(VALU_DEP_1)
	v_cmpx_gt_i64_e64 s[4:5], v[3:4]
	s_cbranch_execz .LBB195_68
; %bb.67:                               ;   in Loop: Header=BB195_53 Depth=1
	v_add_co_u32 v3, vcc_lo, v74, v25
	v_add_co_ci_u32_e32 v4, vcc_lo, v75, v26, vcc_lo
	v_add_co_u32 v5, vcc_lo, v76, v25
	v_add_co_ci_u32_e32 v6, vcc_lo, v77, v26, vcc_lo
	global_load_u16 v1, v[3:4], off
	global_load_u16 v3, v[5:6], off
	s_waitcnt vmcnt(1)
	v_lshlrev_b32_e32 v21, 16, v1
	s_waitcnt vmcnt(0)
	v_lshlrev_b32_e32 v13, 16, v3
.LBB195_68:                             ;   in Loop: Header=BB195_53 Depth=1
	s_or_b32 exec_lo, exec_lo, s8
	v_add_co_u32 v3, vcc_lo, 0xffffff86, v91
	v_add_co_ci_u32_e32 v4, vcc_lo, -1, v92, vcc_lo
	s_mov_b32 s8, exec_lo
	s_delay_alu instid0(VALU_DEP_1)
	v_cmpx_gt_i64_e64 s[4:5], v[3:4]
	s_cbranch_execz .LBB195_70
; %bb.69:                               ;   in Loop: Header=BB195_53 Depth=1
	v_add_co_u32 v3, vcc_lo, v70, v25
	v_add_co_ci_u32_e32 v4, vcc_lo, v71, v26, vcc_lo
	v_add_co_u32 v5, vcc_lo, v72, v25
	v_add_co_ci_u32_e32 v6, vcc_lo, v73, v26, vcc_lo
	global_load_u16 v1, v[3:4], off
	global_load_u16 v3, v[5:6], off
	s_waitcnt vmcnt(1)
	v_lshlrev_b32_e32 v22, 16, v1
	s_waitcnt vmcnt(0)
	v_lshlrev_b32_e32 v14, 16, v3
.LBB195_70:                             ;   in Loop: Header=BB195_53 Depth=1
	s_or_b32 exec_lo, exec_lo, s8
	v_add_co_u32 v3, vcc_lo, 0xffffff87, v91
	v_add_co_ci_u32_e32 v4, vcc_lo, -1, v92, vcc_lo
	s_mov_b32 s8, exec_lo
	s_delay_alu instid0(VALU_DEP_1)
	v_cmpx_gt_i64_e64 s[4:5], v[3:4]
	s_cbranch_execz .LBB195_72
; %bb.71:                               ;   in Loop: Header=BB195_53 Depth=1
	v_add_co_u32 v3, vcc_lo, v66, v25
	v_add_co_ci_u32_e32 v4, vcc_lo, v67, v26, vcc_lo
	v_add_co_u32 v5, vcc_lo, v68, v25
	v_add_co_ci_u32_e32 v6, vcc_lo, v69, v26, vcc_lo
	global_load_u16 v1, v[3:4], off
	global_load_u16 v3, v[5:6], off
	s_waitcnt vmcnt(1)
	v_lshlrev_b32_e32 v23, 16, v1
	s_waitcnt vmcnt(0)
	v_lshlrev_b32_e32 v15, 16, v3
.LBB195_72:                             ;   in Loop: Header=BB195_53 Depth=1
	s_or_b32 exec_lo, exec_lo, s8
	v_add_co_u32 v3, vcc_lo, 0xffffff88, v91
	v_add_co_ci_u32_e32 v4, vcc_lo, -1, v92, vcc_lo
	s_mov_b32 s8, exec_lo
	s_delay_alu instid0(VALU_DEP_1)
	v_cmpx_gt_i64_e64 s[4:5], v[3:4]
	s_cbranch_execz .LBB195_74
; %bb.73:                               ;   in Loop: Header=BB195_53 Depth=1
	v_add_co_u32 v3, vcc_lo, v62, v25
	v_add_co_ci_u32_e32 v4, vcc_lo, v63, v26, vcc_lo
	v_add_co_u32 v5, vcc_lo, v64, v25
	v_add_co_ci_u32_e32 v6, vcc_lo, v65, v26, vcc_lo
	global_load_u16 v1, v[3:4], off
	global_load_u16 v3, v[5:6], off
	s_waitcnt vmcnt(1)
	v_lshlrev_b32_e32 v24, 16, v1
	s_waitcnt vmcnt(0)
	v_lshlrev_b32_e32 v16, 16, v3
.LBB195_74:                             ;   in Loop: Header=BB195_53 Depth=1
	s_or_b32 exec_lo, exec_lo, s8
	s_waitcnt vmcnt(0)
	ds_bpermute_b32 v1, v2, v93
	ds_bpermute_b32 v3, v2, v93 offset:4
	ds_bpermute_b32 v4, v2, v93 offset:8
	v_mul_f32_e32 v5, v9, v17
	ds_bpermute_b32 v6, v2, v93 offset:12
	v_mul_f32_e32 v7, v10, v18
	ds_bpermute_b32 v8, v2, v93 offset:16
	ds_bpermute_b32 v9, v2, v93 offset:20
	s_waitcnt lgkmcnt(5)
	v_fma_f32 v1, v5, v1, v90
	v_mul_f32_e32 v5, v11, v19
	s_waitcnt lgkmcnt(4)
	s_delay_alu instid0(VALU_DEP_2)
	v_fmac_f32_e32 v1, v7, v3
	v_mul_f32_e32 v3, v12, v20
	ds_bpermute_b32 v7, v2, v93 offset:24
	s_waitcnt lgkmcnt(4)
	v_fmac_f32_e32 v1, v5, v4
	v_dual_mul_f32 v4, v13, v21 :: v_dual_mul_f32 v5, v14, v22
	s_waitcnt lgkmcnt(3)
	s_delay_alu instid0(VALU_DEP_2) | instskip(SKIP_4) | instid1(VALU_DEP_1)
	v_fmac_f32_e32 v1, v3, v6
	ds_bpermute_b32 v3, v2, v93 offset:28
	s_waitcnt lgkmcnt(3)
	v_dual_fmac_f32 v1, v4, v8 :: v_dual_mul_f32 v4, v15, v23
	s_waitcnt lgkmcnt(2)
	v_fmac_f32_e32 v1, v5, v9
	s_waitcnt lgkmcnt(1)
	s_delay_alu instid0(VALU_DEP_1) | instskip(SKIP_2) | instid1(VALU_DEP_1)
	v_fmac_f32_e32 v1, v4, v7
	v_mul_f32_e32 v4, v16, v24
	s_waitcnt lgkmcnt(0)
	v_fmac_f32_e32 v1, v4, v3
	s_branch .LBB195_81
.LBB195_75:                             ;   in Loop: Header=BB195_53 Depth=1
                                        ; implicit-def: $vgpr1
	s_cbranch_execz .LBB195_81
; %bb.76:                               ;   in Loop: Header=BB195_53 Depth=1
	s_load_b32 s8, s[26:27], 0x0
	s_waitcnt lgkmcnt(0)
	s_cmp_lt_u32 s14, s8
	s_cselect_b32 s8, 12, 18
	s_delay_alu instid0(SALU_CYCLE_1)
	s_add_u32 s8, s26, s8
	s_addc_u32 s9, s27, 0
	global_load_u16 v1, v2, s[8:9]
	s_mov_b32 s8, exec_lo
	s_waitcnt vmcnt(0)
	v_mad_u32_u24 v1, v56, v1, v55
	s_delay_alu instid0(VALU_DEP_1) | instskip(SKIP_1) | instid1(VALU_DEP_2)
	v_and_b32_e32 v3, 31, v1
	v_mov_b32_e32 v1, 0
	v_cmpx_gt_u32_e32 8, v3
	s_cbranch_execz .LBB195_80
; %bb.77:                               ;   in Loop: Header=BB195_53 Depth=1
	v_add_co_u32 v1, vcc_lo, v91, v3
	v_add_co_ci_u32_e32 v4, vcc_lo, 0, v92, vcc_lo
	s_mov_b32 s9, exec_lo
	s_delay_alu instid0(VALU_DEP_2) | instskip(NEXT) | instid1(VALU_DEP_2)
	v_add_co_u32 v3, vcc_lo, 0xffffff81, v1
	v_add_co_ci_u32_e32 v4, vcc_lo, -1, v4, vcc_lo
	v_mov_b32_e32 v1, 0
	s_delay_alu instid0(VALU_DEP_2)
	v_cmpx_gt_i64_e64 s[4:5], v[3:4]
	s_cbranch_execz .LBB195_79
; %bb.78:                               ;   in Loop: Header=BB195_53 Depth=1
	v_lshlrev_b64 v[3:4], 2, v[3:4]
	s_delay_alu instid0(VALU_DEP_1) | instskip(NEXT) | instid1(VALU_DEP_2)
	v_add_co_u32 v3, vcc_lo, s12, v3
	v_add_co_ci_u32_e32 v4, vcc_lo, s13, v4, vcc_lo
	global_load_b32 v1, v[3:4], off
.LBB195_79:                             ;   in Loop: Header=BB195_53 Depth=1
	s_or_b32 exec_lo, exec_lo, s9
.LBB195_80:                             ;   in Loop: Header=BB195_53 Depth=1
	s_delay_alu instid0(SALU_CYCLE_1)
	s_or_b32 exec_lo, exec_lo, s8
	v_add_co_u32 v3, vcc_lo, v58, v25
	v_add_co_ci_u32_e32 v4, vcc_lo, v59, v26, vcc_lo
	v_add_co_u32 v5, vcc_lo, v60, v25
	v_add_co_ci_u32_e32 v6, vcc_lo, v61, v26, vcc_lo
	;; [unrolled: 2-line block ×4, first 2 shown]
	global_load_u16 v13, v[3:4], off
	global_load_u16 v14, v[5:6], off
	global_load_u16 v15, v[7:8], off
	global_load_u16 v16, v[9:10], off
	v_add_co_u32 v3, vcc_lo, v29, v25
	v_add_co_ci_u32_e32 v4, vcc_lo, v30, v26, vcc_lo
	v_add_co_u32 v5, vcc_lo, v43, v25
	v_add_co_ci_u32_e32 v6, vcc_lo, v44, v26, vcc_lo
	global_load_u16 v17, v[3:4], off
	v_add_co_u32 v3, vcc_lo, v31, v25
	v_add_co_ci_u32_e32 v4, vcc_lo, v32, v26, vcc_lo
	v_add_co_u32 v7, vcc_lo, v45, v25
	v_add_co_ci_u32_e32 v8, vcc_lo, v46, v26, vcc_lo
	;; [unrolled: 2-line block ×4, first 2 shown]
	global_load_u16 v18, v[5:6], off
	global_load_u16 v19, v[3:4], off
	global_load_u16 v20, v[7:8], off
	global_load_u16 v21, v[9:10], off
	global_load_u16 v11, v[11:12], off
	v_add_co_u32 v3, vcc_lo, v35, v25
	v_add_co_ci_u32_e32 v4, vcc_lo, v36, v26, vcc_lo
	v_add_co_u32 v5, vcc_lo, v49, v25
	v_add_co_ci_u32_e32 v6, vcc_lo, v50, v26, vcc_lo
	;; [unrolled: 2-line block ×4, first 2 shown]
	global_load_u16 v12, v[3:4], off
	global_load_u16 v22, v[5:6], off
	;; [unrolled: 1-line block ×4, first 2 shown]
	v_add_co_u32 v3, vcc_lo, v53, v25
	v_add_co_ci_u32_e32 v4, vcc_lo, v54, v26, vcc_lo
	v_add_co_u32 v5, vcc_lo, v39, v25
	v_add_co_ci_u32_e32 v6, vcc_lo, v40, v26, vcc_lo
	global_load_u16 v3, v[3:4], off
	global_load_u16 v4, v[5:6], off
	s_waitcnt vmcnt(16)
	ds_bpermute_b32 v5, v2, v1
	ds_bpermute_b32 v6, v2, v1 offset:4
	ds_bpermute_b32 v9, v2, v1 offset:8
	s_waitcnt vmcnt(13)
	v_lshlrev_b32_e32 v15, 16, v15
	s_waitcnt vmcnt(11)
	v_lshlrev_b32_e32 v17, 16, v17
	;; [unrolled: 2-line block ×3, first 2 shown]
	v_lshlrev_b32_e32 v18, 16, v18
	s_delay_alu instid0(VALU_DEP_1) | instskip(NEXT) | instid1(VALU_DEP_1)
	v_dual_mul_f32 v17, v17, v18 :: v_dual_lshlrev_b32 v16, 16, v16
	v_dual_mul_f32 v15, v15, v16 :: v_dual_lshlrev_b32 v10, 16, v14
	v_lshlrev_b32_e32 v13, 16, v13
	ds_bpermute_b32 v14, v2, v1 offset:12
	v_mul_f32_e32 v10, v13, v10
	ds_bpermute_b32 v13, v2, v1 offset:16
	s_waitcnt vmcnt(3)
	v_lshlrev_b32_e32 v7, 16, v7
	s_waitcnt vmcnt(2)
	v_lshlrev_b32_e32 v8, 16, v8
	v_lshlrev_b32_e32 v16, 16, v19
	s_waitcnt lgkmcnt(4)
	v_fmac_f32_e32 v90, v10, v5
	ds_bpermute_b32 v5, v2, v1 offset:20
	v_mul_f32_e32 v7, v7, v8
	s_waitcnt lgkmcnt(4)
	v_fmac_f32_e32 v90, v15, v6
	ds_bpermute_b32 v6, v2, v1 offset:24
	ds_bpermute_b32 v1, v2, v1 offset:28
	s_waitcnt vmcnt(1)
	v_lshlrev_b32_e32 v3, 16, v3
	s_waitcnt vmcnt(0)
	v_lshlrev_b32_e32 v4, 16, v4
	s_waitcnt lgkmcnt(5)
	v_dual_fmac_f32 v90, v17, v9 :: v_dual_lshlrev_b32 v9, 16, v22
	s_delay_alu instid0(VALU_DEP_2) | instskip(NEXT) | instid1(VALU_DEP_1)
	v_dual_mul_f32 v3, v4, v3 :: v_dual_lshlrev_b32 v12, 16, v12
	v_dual_mul_f32 v9, v12, v9 :: v_dual_lshlrev_b32 v10, 16, v20
	s_delay_alu instid0(VALU_DEP_1) | instskip(SKIP_1) | instid1(VALU_DEP_1)
	v_dual_mul_f32 v10, v16, v10 :: v_dual_lshlrev_b32 v15, 16, v21
	s_waitcnt lgkmcnt(4)
	v_dual_fmac_f32 v90, v10, v14 :: v_dual_mul_f32 v11, v15, v11
	s_waitcnt lgkmcnt(3)
	s_delay_alu instid0(VALU_DEP_1) | instskip(SKIP_1) | instid1(VALU_DEP_1)
	v_fmac_f32_e32 v90, v11, v13
	s_waitcnt lgkmcnt(2)
	v_fmac_f32_e32 v90, v9, v5
	s_waitcnt lgkmcnt(1)
	s_delay_alu instid0(VALU_DEP_1) | instskip(SKIP_1) | instid1(VALU_DEP_1)
	v_fmac_f32_e32 v90, v7, v6
	s_waitcnt lgkmcnt(0)
	v_fmac_f32_e32 v90, v3, v1
	s_delay_alu instid0(VALU_DEP_1)
	v_mov_b32_e32 v1, v90
.LBB195_81:                             ;   in Loop: Header=BB195_53 Depth=1
	v_add_co_u32 v27, vcc_lo, v27, s2
	v_add_co_ci_u32_e32 v28, vcc_lo, s3, v28, vcc_lo
	v_add_co_u32 v29, vcc_lo, v29, s2
	v_add_co_ci_u32_e32 v30, vcc_lo, s3, v30, vcc_lo
	;; [unrolled: 2-line block ×27, first 2 shown]
	v_add_co_u32 v84, vcc_lo, v84, s2
	s_add_u32 s24, s24, s15
	v_add_co_ci_u32_e32 v85, vcc_lo, s3, v85, vcc_lo
	s_addc_u32 s25, s25, 0
	v_add_co_u32 v86, vcc_lo, v86, s2
	v_cmp_ge_i64_e64 s8, s[24:25], s[4:5]
	v_add_co_ci_u32_e32 v87, vcc_lo, s3, v87, vcc_lo
	v_add_co_u32 v88, vcc_lo, v88, s2
	v_add_co_ci_u32_e32 v89, vcc_lo, s3, v89, vcc_lo
	s_add_u32 s28, s28, s15
	s_addc_u32 s29, s29, 0
	s_and_b32 vcc_lo, exec_lo, s8
	s_cbranch_vccnz .LBB195_83
; %bb.82:                               ;   in Loop: Header=BB195_53 Depth=1
	v_mov_b32_e32 v90, v1
	s_branch .LBB195_53
.LBB195_83:
	v_and_b32_e32 v4, 0x3ff, v0
	v_bfe_u32 v0, v0, 10, 10
	s_mov_b32 s15, 0
	s_mov_b32 s2, exec_lo
	s_delay_alu instid0(VALU_DEP_1) | instskip(NEXT) | instid1(VALU_DEP_1)
	v_mad_u32_u24 v2, 0x41, v0, v4
	v_sub_nc_u32_e32 v0, v2, v0
	v_lshl_add_u32 v3, v2, 2, 0
	v_mov_b32_e32 v2, 0
	ds_store_b32 v3, v1
	ds_store_b32 v3, v2 offset:4160
	s_waitcnt lgkmcnt(0)
	s_barrier
	buffer_gl0_inv
	v_cmpx_gt_u32_e32 0x800, v0
	s_cbranch_execz .LBB195_90
; %bb.84:
	v_mbcnt_lo_u32_b32 v5, -1, 0
	v_lshrrev_b32_e32 v3, 5, v0
	s_load_b64 s[8:9], s[0:1], 0x30
	v_and_b32_e32 v1, 31, v4
	v_cmp_ne_u32_e32 vcc_lo, 0, v4
	v_xor_b32_e32 v0, 8, v5
	v_xor_b32_e32 v4, 4, v5
	;; [unrolled: 1-line block ×4, first 2 shown]
	s_lshl_b64 s[4:5], s[14:15], 6
	v_cmp_gt_i32_e64 s1, 32, v0
	v_cmp_gt_u32_e64 s0, 16, v1
	v_mul_u32_u24_e32 v1, 0x104, v1
	v_lshlrev_b32_e32 v9, 1, v3
	s_delay_alu instid0(VALU_DEP_4) | instskip(SKIP_1) | instid1(VALU_DEP_1)
	v_cndmask_b32_e64 v0, v5, v0, s1
	v_cmp_gt_i32_e64 s1, 32, v4
	v_cndmask_b32_e64 v8, v5, v4, s1
	v_cmp_gt_i32_e64 s1, 32, v6
	s_waitcnt lgkmcnt(0)
	s_cmp_eq_u64 s[8:9], 0
	v_lshlrev_b32_e32 v4, 2, v0
	v_lshlrev_b32_e32 v0, 2, v3
	s_cselect_b32 s3, -1, 0
	v_cndmask_b32_e64 v6, v5, v6, s1
	v_cmp_gt_i32_e64 s1, 32, v7
	s_lshl_b64 s[10:11], s[14:15], 7
	s_delay_alu instid0(VALU_DEP_2) | instskip(NEXT) | instid1(VALU_DEP_2)
	v_lshlrev_b32_e32 v6, 2, v6
	v_cndmask_b32_e64 v7, v5, v7, s1
	s_add_u32 s1, s8, s10
	v_lshlrev_b32_e32 v5, 2, v8
	v_add3_u32 v8, v1, v0, 0
	s_addc_u32 s2, s9, s11
	v_add_co_u32 v0, s1, s1, v9
	v_lshlrev_b32_e32 v7, 2, v7
	v_add_co_ci_u32_e64 v1, null, s2, 0, s1
                                        ; implicit-def: $vgpr9
	s_branch .LBB195_86
.LBB195_85:                             ;   in Loop: Header=BB195_86 Depth=1
	s_or_b32 exec_lo, exec_lo, s2
	v_add_co_u32 v3, s1, v3, 32
	s_delay_alu instid0(VALU_DEP_1) | instskip(SKIP_1) | instid1(VALU_DEP_3)
	v_add_co_ci_u32_e64 v2, s1, 0, v2, s1
	v_add_co_u32 v0, s2, v0, 64
	v_subrev_nc_u32_e32 v10, 32, v3
	v_add_nc_u32_e32 v8, 0x80, v8
	v_add_co_ci_u32_e64 v1, s2, 0, v1, s2
	s_delay_alu instid0(VALU_DEP_3) | instskip(NEXT) | instid1(VALU_DEP_1)
	v_cmp_lt_u32_e64 s1, 31, v10
	s_or_b32 s15, s1, s15
	s_delay_alu instid0(SALU_CYCLE_1)
	s_and_not1_b32 exec_lo, exec_lo, s15
	s_cbranch_execz .LBB195_90
.LBB195_86:                             ; =>This Inner Loop Header: Depth=1
	s_and_saveexec_b32 s1, s0
	s_cbranch_execz .LBB195_88
; %bb.87:                               ;   in Loop: Header=BB195_86 Depth=1
	ds_load_b32 v9, v8
.LBB195_88:                             ;   in Loop: Header=BB195_86 Depth=1
	s_or_b32 exec_lo, exec_lo, s1
	s_waitcnt lgkmcnt(0)
	ds_bpermute_b32 v10, v4, v9
	s_waitcnt lgkmcnt(0)
	v_add_f32_e32 v9, v9, v10
	ds_bpermute_b32 v10, v5, v9
	s_waitcnt lgkmcnt(0)
	v_add_f32_e32 v9, v9, v10
	;; [unrolled: 3-line block ×3, first 2 shown]
	v_add_co_u32 v9, s1, s4, v3
	s_delay_alu instid0(VALU_DEP_1) | instskip(SKIP_2) | instid1(VALU_DEP_1)
	v_add_co_ci_u32_e64 v10, s1, s5, v2, s1
	ds_bpermute_b32 v12, v7, v11
	v_cmp_le_i64_e64 s1, s[6:7], v[9:10]
	s_or_b32 s1, vcc_lo, s1
	s_delay_alu instid0(SALU_CYCLE_1) | instskip(NEXT) | instid1(SALU_CYCLE_1)
	s_or_b32 s1, s3, s1
	s_xor_b32 s1, s1, -1
	s_waitcnt lgkmcnt(0)
	v_add_f32_e32 v9, v11, v12
	s_and_saveexec_b32 s2, s1
	s_cbranch_execz .LBB195_85
; %bb.89:                               ;   in Loop: Header=BB195_86 Depth=1
	s_delay_alu instid0(VALU_DEP_1) | instskip(SKIP_1) | instid1(VALU_DEP_2)
	v_bfe_u32 v10, v9, 16, 1
	v_cmp_o_f32_e64 s1, v9, v9
	v_add3_u32 v10, v9, v10, 0x7fff
	s_delay_alu instid0(VALU_DEP_1) | instskip(NEXT) | instid1(VALU_DEP_1)
	v_lshrrev_b32_e32 v10, 16, v10
	v_cndmask_b32_e64 v10, 0x7fc0, v10, s1
	global_store_b16 v[0:1], v10, off
	s_branch .LBB195_85
.LBB195_90:
	s_nop 0
	s_sendmsg sendmsg(MSG_DEALLOC_VGPRS)
	s_endpgm
	.section	.rodata,"a",@progbits
	.p2align	6, 0x0
	.amdhsa_kernel _ZN2at6native12_GLOBAL__N_135GammaBetaBackwardCUDAKernelTemplateIN3c108BFloat16EfLj64ELj16ELj128ELb0ELb0ELb1EEEvllPKT_S7_PKT0_SA_PS5_SB_
		.amdhsa_group_segment_fixed_size 0
		.amdhsa_private_segment_fixed_size 0
		.amdhsa_kernarg_size 320
		.amdhsa_user_sgpr_count 14
		.amdhsa_user_sgpr_dispatch_ptr 0
		.amdhsa_user_sgpr_queue_ptr 0
		.amdhsa_user_sgpr_kernarg_segment_ptr 1
		.amdhsa_user_sgpr_dispatch_id 0
		.amdhsa_user_sgpr_private_segment_size 0
		.amdhsa_wavefront_size32 1
		.amdhsa_uses_dynamic_stack 0
		.amdhsa_enable_private_segment 0
		.amdhsa_system_sgpr_workgroup_id_x 1
		.amdhsa_system_sgpr_workgroup_id_y 1
		.amdhsa_system_sgpr_workgroup_id_z 0
		.amdhsa_system_sgpr_workgroup_info 0
		.amdhsa_system_vgpr_workitem_id 1
		.amdhsa_next_free_vgpr 94
		.amdhsa_next_free_sgpr 37
		.amdhsa_reserve_vcc 1
		.amdhsa_float_round_mode_32 0
		.amdhsa_float_round_mode_16_64 0
		.amdhsa_float_denorm_mode_32 3
		.amdhsa_float_denorm_mode_16_64 3
		.amdhsa_dx10_clamp 1
		.amdhsa_ieee_mode 1
		.amdhsa_fp16_overflow 0
		.amdhsa_workgroup_processor_mode 1
		.amdhsa_memory_ordered 1
		.amdhsa_forward_progress 0
		.amdhsa_shared_vgpr_count 0
		.amdhsa_exception_fp_ieee_invalid_op 0
		.amdhsa_exception_fp_denorm_src 0
		.amdhsa_exception_fp_ieee_div_zero 0
		.amdhsa_exception_fp_ieee_overflow 0
		.amdhsa_exception_fp_ieee_underflow 0
		.amdhsa_exception_fp_ieee_inexact 0
		.amdhsa_exception_int_div_zero 0
	.end_amdhsa_kernel
	.section	.text._ZN2at6native12_GLOBAL__N_135GammaBetaBackwardCUDAKernelTemplateIN3c108BFloat16EfLj64ELj16ELj128ELb0ELb0ELb1EEEvllPKT_S7_PKT0_SA_PS5_SB_,"axG",@progbits,_ZN2at6native12_GLOBAL__N_135GammaBetaBackwardCUDAKernelTemplateIN3c108BFloat16EfLj64ELj16ELj128ELb0ELb0ELb1EEEvllPKT_S7_PKT0_SA_PS5_SB_,comdat
.Lfunc_end195:
	.size	_ZN2at6native12_GLOBAL__N_135GammaBetaBackwardCUDAKernelTemplateIN3c108BFloat16EfLj64ELj16ELj128ELb0ELb0ELb1EEEvllPKT_S7_PKT0_SA_PS5_SB_, .Lfunc_end195-_ZN2at6native12_GLOBAL__N_135GammaBetaBackwardCUDAKernelTemplateIN3c108BFloat16EfLj64ELj16ELj128ELb0ELb0ELb1EEEvllPKT_S7_PKT0_SA_PS5_SB_
                                        ; -- End function
	.section	.AMDGPU.csdata,"",@progbits
; Kernel info:
; codeLenInByte = 7880
; NumSgprs: 39
; NumVgprs: 94
; ScratchSize: 0
; MemoryBound: 0
; FloatMode: 240
; IeeeMode: 1
; LDSByteSize: 0 bytes/workgroup (compile time only)
; SGPRBlocks: 4
; VGPRBlocks: 11
; NumSGPRsForWavesPerEU: 39
; NumVGPRsForWavesPerEU: 94
; Occupancy: 16
; WaveLimiterHint : 0
; COMPUTE_PGM_RSRC2:SCRATCH_EN: 0
; COMPUTE_PGM_RSRC2:USER_SGPR: 14
; COMPUTE_PGM_RSRC2:TRAP_HANDLER: 0
; COMPUTE_PGM_RSRC2:TGID_X_EN: 1
; COMPUTE_PGM_RSRC2:TGID_Y_EN: 1
; COMPUTE_PGM_RSRC2:TGID_Z_EN: 0
; COMPUTE_PGM_RSRC2:TIDIG_COMP_CNT: 1
	.section	.text._ZN2at6native12_GLOBAL__N_135GammaBetaBackwardCUDAKernelTemplateIN3c108BFloat16EfLj64ELj16ELj256ELb0ELb1ELb1EEEvllPKT_S7_PKT0_SA_PS5_SB_,"axG",@progbits,_ZN2at6native12_GLOBAL__N_135GammaBetaBackwardCUDAKernelTemplateIN3c108BFloat16EfLj64ELj16ELj256ELb0ELb1ELb1EEEvllPKT_S7_PKT0_SA_PS5_SB_,comdat
	.globl	_ZN2at6native12_GLOBAL__N_135GammaBetaBackwardCUDAKernelTemplateIN3c108BFloat16EfLj64ELj16ELj256ELb0ELb1ELb1EEEvllPKT_S7_PKT0_SA_PS5_SB_ ; -- Begin function _ZN2at6native12_GLOBAL__N_135GammaBetaBackwardCUDAKernelTemplateIN3c108BFloat16EfLj64ELj16ELj256ELb0ELb1ELb1EEEvllPKT_S7_PKT0_SA_PS5_SB_
	.p2align	8
	.type	_ZN2at6native12_GLOBAL__N_135GammaBetaBackwardCUDAKernelTemplateIN3c108BFloat16EfLj64ELj16ELj256ELb0ELb1ELb1EEEvllPKT_S7_PKT0_SA_PS5_SB_,@function
_ZN2at6native12_GLOBAL__N_135GammaBetaBackwardCUDAKernelTemplateIN3c108BFloat16EfLj64ELj16ELj256ELb0ELb1ELb1EEEvllPKT_S7_PKT0_SA_PS5_SB_: ; @_ZN2at6native12_GLOBAL__N_135GammaBetaBackwardCUDAKernelTemplateIN3c108BFloat16EfLj64ELj16ELj256ELb0ELb1ELb1EEEvllPKT_S7_PKT0_SA_PS5_SB_
; %bb.0:
	s_load_b128 s[4:7], s[0:1], 0x0
	s_mov_b32 s13, 0
	s_lshl_b32 s12, s15, 8
	v_bfe_u32 v7, v0, 10, 10
	s_waitcnt lgkmcnt(0)
	v_cmp_lt_i64_e64 s2, s[12:13], s[4:5]
	s_delay_alu instid0(VALU_DEP_1)
	s_and_b32 vcc_lo, exec_lo, s2
	s_cbranch_vccnz .LBB196_2
; %bb.1:
	v_bfe_u32 v1, v0, 10, 10
	s_mov_b32 s8, 0
	s_mov_b32 s9, s13
	s_branch .LBB196_3
.LBB196_2:
	s_mov_b32 s9, -1
                                        ; implicit-def: $sgpr8
                                        ; implicit-def: $vgpr1
.LBB196_3:
	s_load_b64 s[2:3], s[0:1], 0x30
	v_and_b32_e32 v6, 0x3ff, v0
	v_mov_b32_e32 v0, s8
	s_and_not1_b32 vcc_lo, exec_lo, s9
	s_cbranch_vccnz .LBB196_11
; %bb.4:
	s_clause 0x3
	s_load_b32 s15, s[0:1], 0x4c
	s_load_b32 s16, s[0:1], 0x44
	s_load_b128 s[8:11], s[0:1], 0x10
	s_load_b64 s[18:19], s[0:1], 0x28
	v_dual_mov_b32 v1, 0 :: v_dual_lshlrev_b32 v2, 4, v7
	v_lshl_add_u32 v0, s14, 6, v6
	v_dual_mov_b32 v8, 16 :: v_dual_mov_b32 v9, 4
	v_dual_mov_b32 v10, 8 :: v_dual_mov_b32 v11, 12
	s_delay_alu instid0(VALU_DEP_3)
	v_lshlrev_b64 v[27:28], 1, v[0:1]
	v_dual_mov_b32 v12, 20 :: v_dual_mov_b32 v13, 24
	v_dual_mov_b32 v14, 28 :: v_dual_mov_b32 v15, 32
	;; [unrolled: 1-line block ×3, first 2 shown]
	v_mov_b32_e32 v0, 0
	s_mov_b32 s17, 0
	s_waitcnt lgkmcnt(0)
	s_and_b32 s0, s15, 0xffff
	s_lshl_b32 s16, s16, 8
	v_mad_u32_u24 v3, v7, s0, v6
	v_add_co_u32 v2, s0, v2, s12
	s_delay_alu instid0(VALU_DEP_1) | instskip(NEXT) | instid1(VALU_DEP_3)
	v_add_co_ci_u32_e64 v19, null, 0, 0, s0
	v_dual_mov_b32 v18, 44 :: v_dual_and_b32 v3, 31, v3
	s_delay_alu instid0(VALU_DEP_3) | instskip(NEXT) | instid1(VALU_DEP_3)
	v_mul_lo_u32 v21, s7, v2
	v_mul_lo_u32 v22, s6, v19
	v_mad_u64_u32 v[4:5], null, s6, v2, 0
	s_delay_alu instid0(VALU_DEP_4) | instskip(SKIP_3) | instid1(VALU_DEP_4)
	v_add_co_u32 v2, vcc_lo, v2, v3
	v_cmp_gt_u32_e64 s0, 16, v3
	v_add_co_ci_u32_e32 v3, vcc_lo, 0, v19, vcc_lo
	s_mul_i32 s1, s7, s16
	v_add3_u32 v5, v5, v22, v21
	s_mul_hi_u32 s15, s6, s16
	s_delay_alu instid0(VALU_DEP_2) | instskip(SKIP_1) | instid1(VALU_DEP_3)
	v_lshlrev_b64 v[23:24], 2, v[2:3]
	v_dual_mov_b32 v19, 48 :: v_dual_mov_b32 v20, 52
	v_lshlrev_b64 v[25:26], 1, v[4:5]
	v_dual_mov_b32 v21, 56 :: v_dual_mov_b32 v22, 60
	s_delay_alu instid0(VALU_DEP_4) | instskip(SKIP_1) | instid1(VALU_DEP_4)
	v_add_co_u32 v4, vcc_lo, s18, v23
	v_add_co_ci_u32_e32 v5, vcc_lo, s19, v24, vcc_lo
	v_add_co_u32 v23, vcc_lo, v25, v27
	v_add_co_ci_u32_e32 v24, vcc_lo, v26, v28, vcc_lo
	s_add_i32 s21, s15, s1
	s_mul_i32 s20, s6, s16
	s_lshl_b64 s[18:19], s[16:17], 2
	s_lshl_b64 s[20:21], s[20:21], 1
	;; [unrolled: 1-line block ×3, first 2 shown]
	s_branch .LBB196_7
.LBB196_5:                              ;   in Loop: Header=BB196_7 Depth=1
	s_or_b32 exec_lo, exec_lo, s15
.LBB196_6:                              ;   in Loop: Header=BB196_7 Depth=1
	s_delay_alu instid0(SALU_CYCLE_1)
	s_or_b32 exec_lo, exec_lo, s1
	v_add_co_u32 v26, vcc_lo, s8, v23
	v_add_co_ci_u32_e32 v27, vcc_lo, s9, v24, vcc_lo
	v_add_co_u32 v28, vcc_lo, s10, v23
	v_add_co_ci_u32_e32 v29, vcc_lo, s11, v24, vcc_lo
	global_load_u16 v36, v[26:27], off
	v_add_co_u32 v26, vcc_lo, v26, s6
	v_add_co_ci_u32_e32 v27, vcc_lo, s7, v27, vcc_lo
	v_add_co_u32 v30, vcc_lo, v28, s6
	v_add_co_ci_u32_e32 v31, vcc_lo, s7, v29, vcc_lo
	s_delay_alu instid0(VALU_DEP_4) | instskip(NEXT) | instid1(VALU_DEP_4)
	v_add_co_u32 v32, vcc_lo, v26, s6
	v_add_co_ci_u32_e32 v33, vcc_lo, s7, v27, vcc_lo
	s_delay_alu instid0(VALU_DEP_4) | instskip(NEXT) | instid1(VALU_DEP_4)
	v_add_co_u32 v34, vcc_lo, v30, s6
	v_add_co_ci_u32_e32 v35, vcc_lo, s7, v31, vcc_lo
	global_load_u16 v37, v[28:29], off
	global_load_u16 v38, v[26:27], off
	;; [unrolled: 1-line block ×5, first 2 shown]
	v_add_co_u32 v26, vcc_lo, v32, s6
	v_add_co_ci_u32_e32 v27, vcc_lo, s7, v33, vcc_lo
	v_add_co_u32 v28, vcc_lo, v34, s6
	v_add_co_ci_u32_e32 v29, vcc_lo, s7, v35, vcc_lo
	s_delay_alu instid0(VALU_DEP_4) | instskip(NEXT) | instid1(VALU_DEP_4)
	v_add_co_u32 v30, vcc_lo, v26, s6
	v_add_co_ci_u32_e32 v31, vcc_lo, s7, v27, vcc_lo
	s_delay_alu instid0(VALU_DEP_4) | instskip(NEXT) | instid1(VALU_DEP_4)
	;; [unrolled: 3-line block ×3, first 2 shown]
	v_add_co_u32 v34, vcc_lo, v30, s6
	v_add_co_ci_u32_e32 v35, vcc_lo, s7, v31, vcc_lo
	global_load_u16 v42, v[26:27], off
	global_load_u16 v43, v[28:29], off
	;; [unrolled: 1-line block ×5, first 2 shown]
	v_add_co_u32 v26, vcc_lo, v32, s6
	v_add_co_ci_u32_e32 v27, vcc_lo, s7, v33, vcc_lo
	v_add_co_u32 v28, vcc_lo, v34, s6
	v_add_co_ci_u32_e32 v29, vcc_lo, s7, v35, vcc_lo
	s_delay_alu instid0(VALU_DEP_4) | instskip(NEXT) | instid1(VALU_DEP_4)
	v_add_co_u32 v30, vcc_lo, v26, s6
	v_add_co_ci_u32_e32 v31, vcc_lo, s7, v27, vcc_lo
	s_delay_alu instid0(VALU_DEP_4) | instskip(NEXT) | instid1(VALU_DEP_4)
	;; [unrolled: 3-line block ×3, first 2 shown]
	v_add_co_u32 v34, vcc_lo, v30, s6
	v_add_co_ci_u32_e32 v35, vcc_lo, s7, v31, vcc_lo
	global_load_u16 v47, v[26:27], off
	global_load_u16 v48, v[28:29], off
	;; [unrolled: 1-line block ×5, first 2 shown]
	v_add_co_u32 v26, vcc_lo, v32, s6
	v_add_co_ci_u32_e32 v27, vcc_lo, s7, v33, vcc_lo
	v_add_co_u32 v28, vcc_lo, v34, s6
	v_add_co_ci_u32_e32 v29, vcc_lo, s7, v35, vcc_lo
	global_load_u16 v52, v[26:27], off
	v_add_co_u32 v26, vcc_lo, v26, s6
	v_add_co_ci_u32_e32 v27, vcc_lo, s7, v27, vcc_lo
	v_add_co_u32 v30, vcc_lo, v28, s6
	v_add_co_ci_u32_e32 v31, vcc_lo, s7, v29, vcc_lo
	s_delay_alu instid0(VALU_DEP_4) | instskip(NEXT) | instid1(VALU_DEP_4)
	v_add_co_u32 v32, vcc_lo, v26, s6
	v_add_co_ci_u32_e32 v33, vcc_lo, s7, v27, vcc_lo
	s_delay_alu instid0(VALU_DEP_4) | instskip(NEXT) | instid1(VALU_DEP_4)
	v_add_co_u32 v34, vcc_lo, v30, s6
	v_add_co_ci_u32_e32 v35, vcc_lo, s7, v31, vcc_lo
	global_load_u16 v53, v[28:29], off
	global_load_u16 v54, v[26:27], off
	;; [unrolled: 1-line block ×5, first 2 shown]
	v_add_co_u32 v26, vcc_lo, v32, s6
	v_add_co_ci_u32_e32 v27, vcc_lo, s7, v33, vcc_lo
	v_add_co_u32 v28, vcc_lo, v34, s6
	v_add_co_ci_u32_e32 v29, vcc_lo, s7, v35, vcc_lo
	global_load_u16 v58, v[26:27], off
	v_add_co_u32 v26, vcc_lo, v26, s6
	v_add_co_ci_u32_e32 v27, vcc_lo, s7, v27, vcc_lo
	v_add_co_u32 v30, vcc_lo, v28, s6
	v_add_co_ci_u32_e32 v31, vcc_lo, s7, v29, vcc_lo
	s_delay_alu instid0(VALU_DEP_4) | instskip(NEXT) | instid1(VALU_DEP_4)
	v_add_co_u32 v32, vcc_lo, v26, s6
	v_add_co_ci_u32_e32 v33, vcc_lo, s7, v27, vcc_lo
	s_delay_alu instid0(VALU_DEP_4) | instskip(NEXT) | instid1(VALU_DEP_4)
	v_add_co_u32 v34, vcc_lo, v30, s6
	v_add_co_ci_u32_e32 v35, vcc_lo, s7, v31, vcc_lo
	global_load_u16 v59, v[28:29], off
	global_load_u16 v60, v[26:27], off
	;; [unrolled: 1-line block ×5, first 2 shown]
	v_add_co_u32 v26, vcc_lo, v34, s6
	v_add_co_ci_u32_e32 v27, vcc_lo, s7, v35, vcc_lo
	v_add_co_u32 v28, vcc_lo, v32, s6
	v_add_co_ci_u32_e32 v29, vcc_lo, s7, v33, vcc_lo
	global_load_u16 v32, v[26:27], off
	v_add_co_u32 v26, vcc_lo, v26, s6
	v_add_co_ci_u32_e32 v27, vcc_lo, s7, v27, vcc_lo
	v_add_co_u32 v30, vcc_lo, v28, s6
	v_add_co_ci_u32_e32 v31, vcc_lo, s7, v29, vcc_lo
	global_load_u16 v28, v[28:29], off
	global_load_u16 v26, v[26:27], off
	;; [unrolled: 1-line block ×3, first 2 shown]
	s_waitcnt vmcnt(32)
	ds_bpermute_b32 v29, v1, v25
	ds_bpermute_b32 v30, v9, v25
	;; [unrolled: 1-line block ×3, first 2 shown]
	v_add_co_u32 v4, vcc_lo, v4, s18
	s_add_u32 s12, s12, s16
	v_add_co_ci_u32_e32 v5, vcc_lo, s19, v5, vcc_lo
	s_addc_u32 s13, s13, 0
	v_add_co_u32 v2, vcc_lo, v2, s16
	v_add_co_ci_u32_e32 v3, vcc_lo, 0, v3, vcc_lo
	v_cmp_lt_i64_e64 s1, s[12:13], s[4:5]
	v_add_co_u32 v23, vcc_lo, v23, s20
	v_add_co_ci_u32_e32 v24, vcc_lo, s21, v24, vcc_lo
	s_delay_alu instid0(VALU_DEP_3)
	s_and_b32 vcc_lo, exec_lo, s1
	s_waitcnt vmcnt(31)
	v_lshlrev_b32_e32 v31, 16, v36
	ds_bpermute_b32 v36, v11, v25
	s_waitcnt vmcnt(30)
	v_lshlrev_b32_e32 v33, 16, v37
	s_delay_alu instid0(VALU_DEP_1) | instskip(SKIP_3) | instid1(VALU_DEP_2)
	v_mul_f32_e32 v31, v31, v33
	s_waitcnt vmcnt(29)
	v_lshlrev_b32_e32 v35, 16, v38
	s_waitcnt vmcnt(28) lgkmcnt(3)
	v_dual_fmac_f32 v0, v31, v29 :: v_dual_lshlrev_b32 v33, 16, v39
	s_waitcnt vmcnt(26)
	v_lshlrev_b32_e32 v31, 16, v41
	s_delay_alu instid0(VALU_DEP_2) | instskip(SKIP_3) | instid1(VALU_DEP_1)
	v_mul_f32_e32 v29, v35, v33
	ds_bpermute_b32 v33, v8, v25
	s_waitcnt lgkmcnt(3)
	v_dual_fmac_f32 v0, v29, v30 :: v_dual_lshlrev_b32 v37, 16, v40
	v_mul_f32_e32 v29, v37, v31
	ds_bpermute_b32 v31, v12, v25
	s_waitcnt vmcnt(25)
	v_lshlrev_b32_e32 v35, 16, v42
	s_waitcnt vmcnt(24)
	v_lshlrev_b32_e32 v30, 16, v43
	s_waitcnt vmcnt(23) lgkmcnt(3)
	v_dual_fmac_f32 v0, v29, v34 :: v_dual_lshlrev_b32 v37, 16, v44
	ds_bpermute_b32 v34, v13, v25
	s_waitcnt vmcnt(22)
	v_dual_mul_f32 v29, v35, v30 :: v_dual_lshlrev_b32 v30, 16, v45
	s_waitcnt lgkmcnt(3)
	s_delay_alu instid0(VALU_DEP_1) | instskip(NEXT) | instid1(VALU_DEP_2)
	v_fmac_f32_e32 v0, v29, v36
	v_mul_f32_e32 v29, v37, v30
	ds_bpermute_b32 v36, v14, v25
	s_waitcnt vmcnt(21) lgkmcnt(3)
	v_dual_fmac_f32 v0, v29, v33 :: v_dual_lshlrev_b32 v35, 16, v46
	ds_bpermute_b32 v33, v15, v25
	s_waitcnt vmcnt(20)
	v_lshlrev_b32_e32 v30, 16, v47
	s_waitcnt vmcnt(19)
	s_delay_alu instid0(VALU_DEP_1) | instskip(SKIP_1) | instid1(VALU_DEP_1)
	v_dual_mul_f32 v29, v35, v30 :: v_dual_lshlrev_b32 v30, 16, v48
	s_waitcnt lgkmcnt(3)
	v_fmac_f32_e32 v0, v29, v31
	ds_bpermute_b32 v31, v16, v25
	s_waitcnt vmcnt(18)
	v_lshlrev_b32_e32 v37, 16, v49
	s_waitcnt vmcnt(17)
	s_delay_alu instid0(VALU_DEP_1) | instskip(SKIP_1) | instid1(VALU_DEP_1)
	v_dual_mul_f32 v29, v30, v37 :: v_dual_lshlrev_b32 v30, 16, v50
	s_waitcnt lgkmcnt(3)
	v_fmac_f32_e32 v0, v29, v34
	;; [unrolled: 8-line block ×3, first 2 shown]
	ds_bpermute_b32 v36, v18, v25
	s_waitcnt vmcnt(14)
	v_lshlrev_b32_e32 v37, 16, v53
	s_waitcnt vmcnt(13)
	s_delay_alu instid0(VALU_DEP_1) | instskip(SKIP_3) | instid1(VALU_DEP_2)
	v_dual_mul_f32 v29, v30, v37 :: v_dual_lshlrev_b32 v30, 16, v54
	s_waitcnt vmcnt(8)
	v_lshlrev_b32_e32 v38, 16, v59
	s_waitcnt lgkmcnt(3)
	v_fmac_f32_e32 v0, v29, v33
	ds_bpermute_b32 v33, v19, v25
	v_lshlrev_b32_e32 v35, 16, v55
	s_delay_alu instid0(VALU_DEP_1)
	v_dual_mul_f32 v29, v30, v35 :: v_dual_lshlrev_b32 v30, 16, v56
	ds_bpermute_b32 v35, v20, v25
	s_waitcnt lgkmcnt(4)
	v_dual_fmac_f32 v0, v29, v31 :: v_dual_lshlrev_b32 v37, 16, v57
	ds_bpermute_b32 v31, v21, v25
	ds_bpermute_b32 v25, v22, v25
	v_dual_mul_f32 v29, v30, v37 :: v_dual_lshlrev_b32 v30, 16, v58
	s_waitcnt lgkmcnt(5)
	s_delay_alu instid0(VALU_DEP_1) | instskip(SKIP_1) | instid1(VALU_DEP_2)
	v_fmac_f32_e32 v0, v29, v34
	s_waitcnt vmcnt(4)
	v_dual_mul_f32 v29, v30, v38 :: v_dual_lshlrev_b32 v34, 16, v63
	v_lshlrev_b32_e32 v30, 16, v60
	s_waitcnt vmcnt(2)
	v_lshlrev_b32_e32 v28, 16, v28
	v_lshlrev_b32_e32 v37, 16, v61
	;; [unrolled: 1-line block ×3, first 2 shown]
	s_waitcnt lgkmcnt(4)
	v_fmac_f32_e32 v0, v29, v36
	s_waitcnt vmcnt(1)
	v_dual_mul_f32 v29, v30, v37 :: v_dual_lshlrev_b32 v26, 16, v26
	v_lshlrev_b32_e32 v30, 16, v32
	s_waitcnt lgkmcnt(3)
	s_delay_alu instid0(VALU_DEP_2) | instskip(NEXT) | instid1(VALU_DEP_2)
	v_dual_fmac_f32 v0, v29, v33 :: v_dual_mul_f32 v29, v38, v34
	v_mul_f32_e32 v28, v28, v30
	s_waitcnt lgkmcnt(2)
	s_delay_alu instid0(VALU_DEP_2) | instskip(SKIP_1) | instid1(VALU_DEP_1)
	v_fmac_f32_e32 v0, v29, v35
	s_waitcnt lgkmcnt(1)
	v_fmac_f32_e32 v0, v28, v31
	s_waitcnt vmcnt(0)
	v_lshlrev_b32_e32 v27, 16, v27
	s_delay_alu instid0(VALU_DEP_1) | instskip(SKIP_1) | instid1(VALU_DEP_1)
	v_mul_f32_e32 v26, v27, v26
	s_waitcnt lgkmcnt(0)
	v_fmac_f32_e32 v0, v26, v25
	s_cbranch_vccz .LBB196_10
.LBB196_7:                              ; =>This Inner Loop Header: Depth=1
	v_mov_b32_e32 v25, 0
	s_and_saveexec_b32 s1, s0
	s_cbranch_execz .LBB196_6
; %bb.8:                                ;   in Loop: Header=BB196_7 Depth=1
	v_mov_b32_e32 v25, 0
	s_mov_b32 s15, exec_lo
	v_cmpx_gt_i64_e64 s[4:5], v[2:3]
	s_cbranch_execz .LBB196_5
; %bb.9:                                ;   in Loop: Header=BB196_7 Depth=1
	global_load_b32 v25, v[4:5], off
	s_branch .LBB196_5
.LBB196_10:
	v_mov_b32_e32 v1, v7
.LBB196_11:
	s_delay_alu instid0(VALU_DEP_1) | instskip(SKIP_3) | instid1(VALU_DEP_2)
	v_mad_u32_u24 v2, 0x41, v1, v6
	v_mov_b32_e32 v3, 0
	s_mov_b32 s15, 0
	s_mov_b32 s0, exec_lo
	v_sub_nc_u32_e32 v1, v2, v1
	v_lshl_add_u32 v2, v2, 2, 0
	ds_store_b32 v2, v0
	ds_store_b32 v2, v3 offset:4160
	s_waitcnt lgkmcnt(0)
	s_barrier
	buffer_gl0_inv
	v_cmpx_gt_u32_e32 0x800, v1
	s_cbranch_execz .LBB196_18
; %bb.12:
	v_mbcnt_lo_u32_b32 v2, -1, 0
	v_cmp_eq_u32_e64 s0, 0, v6
	s_cmp_lg_u64 s[2:3], 0
	v_and_b32_e32 v0, 31, v6
	s_cselect_b32 s1, -1, 0
	v_xor_b32_e32 v3, 8, v2
	s_and_b32 s1, s0, s1
	v_xor_b32_e32 v4, 4, v2
	v_xor_b32_e32 v5, 2, v2
	;; [unrolled: 1-line block ×3, first 2 shown]
	v_cmp_gt_i32_e64 s0, 32, v3
	v_lshrrev_b32_e32 v1, 5, v1
	v_cmp_gt_u32_e32 vcc_lo, 16, v0
	v_mul_u32_u24_e32 v0, 0x104, v0
	s_lshl_b64 s[4:5], s[14:15], 7
	v_cndmask_b32_e64 v3, v2, v3, s0
	v_cmp_gt_i32_e64 s0, 32, v4
	v_lshlrev_b32_e32 v7, 2, v1
                                        ; implicit-def: $vgpr8
	s_delay_alu instid0(VALU_DEP_2) | instskip(SKIP_1) | instid1(VALU_DEP_1)
	v_cndmask_b32_e64 v4, v2, v4, s0
	v_cmp_gt_i32_e64 s0, 32, v5
	v_cndmask_b32_e64 v5, v2, v5, s0
	v_cmp_gt_i32_e64 s0, 32, v6
	s_delay_alu instid0(VALU_DEP_1)
	v_cndmask_b32_e64 v6, v2, v6, s0
	v_lshlrev_b32_e32 v2, 2, v3
	v_lshlrev_b32_e32 v3, 2, v4
	;; [unrolled: 1-line block ×3, first 2 shown]
	s_add_u32 s0, s2, s4
	v_lshlrev_b32_e32 v5, 2, v6
	v_add3_u32 v6, v0, v7, 0
	v_lshlrev_b32_e32 v0, 1, v1
	s_addc_u32 s2, s3, s5
	v_subrev_nc_u32_e32 v7, 32, v1
	s_delay_alu instid0(VALU_DEP_2) | instskip(NEXT) | instid1(VALU_DEP_1)
	v_add_co_u32 v0, s0, s0, v0
	v_add_co_ci_u32_e64 v1, null, s2, 0, s0
	s_set_inst_prefetch_distance 0x1
	s_branch .LBB196_14
	.p2align	6
.LBB196_13:                             ;   in Loop: Header=BB196_14 Depth=1
	s_or_b32 exec_lo, exec_lo, s2
	v_add_co_u32 v7, s0, v7, 32
	s_delay_alu instid0(VALU_DEP_1) | instskip(SKIP_4) | instid1(SALU_CYCLE_1)
	s_xor_b32 s2, s0, -1
	v_add_co_u32 v0, s0, v0, 64
	v_add_nc_u32_e32 v6, 0x80, v6
	v_add_co_ci_u32_e64 v1, s0, 0, v1, s0
	s_and_b32 s0, exec_lo, s2
	s_or_b32 s15, s0, s15
	s_delay_alu instid0(SALU_CYCLE_1)
	s_and_not1_b32 exec_lo, exec_lo, s15
	s_cbranch_execz .LBB196_18
.LBB196_14:                             ; =>This Inner Loop Header: Depth=1
	s_and_saveexec_b32 s0, vcc_lo
	s_cbranch_execz .LBB196_16
; %bb.15:                               ;   in Loop: Header=BB196_14 Depth=1
	ds_load_b32 v8, v6
.LBB196_16:                             ;   in Loop: Header=BB196_14 Depth=1
	s_or_b32 exec_lo, exec_lo, s0
	s_waitcnt lgkmcnt(0)
	ds_bpermute_b32 v9, v2, v8
	s_waitcnt lgkmcnt(0)
	v_add_f32_e32 v8, v8, v9
	ds_bpermute_b32 v9, v3, v8
	s_waitcnt lgkmcnt(0)
	v_add_f32_e32 v8, v8, v9
	ds_bpermute_b32 v9, v4, v8
	s_waitcnt lgkmcnt(0)
	v_add_f32_e32 v8, v8, v9
	ds_bpermute_b32 v9, v5, v8
	s_waitcnt lgkmcnt(0)
	v_add_f32_e32 v8, v8, v9
	s_and_saveexec_b32 s2, s1
	s_cbranch_execz .LBB196_13
; %bb.17:                               ;   in Loop: Header=BB196_14 Depth=1
	s_delay_alu instid0(VALU_DEP_1) | instskip(SKIP_1) | instid1(VALU_DEP_2)
	v_bfe_u32 v9, v8, 16, 1
	v_cmp_o_f32_e64 s0, v8, v8
	v_add3_u32 v9, v8, v9, 0x7fff
	s_delay_alu instid0(VALU_DEP_1) | instskip(NEXT) | instid1(VALU_DEP_1)
	v_lshrrev_b32_e32 v9, 16, v9
	v_cndmask_b32_e64 v9, 0x7fc0, v9, s0
	global_store_b16 v[0:1], v9, off
	s_branch .LBB196_13
.LBB196_18:
	s_set_inst_prefetch_distance 0x2
	s_nop 0
	s_sendmsg sendmsg(MSG_DEALLOC_VGPRS)
	s_endpgm
	.section	.rodata,"a",@progbits
	.p2align	6, 0x0
	.amdhsa_kernel _ZN2at6native12_GLOBAL__N_135GammaBetaBackwardCUDAKernelTemplateIN3c108BFloat16EfLj64ELj16ELj256ELb0ELb1ELb1EEEvllPKT_S7_PKT0_SA_PS5_SB_
		.amdhsa_group_segment_fixed_size 0
		.amdhsa_private_segment_fixed_size 0
		.amdhsa_kernarg_size 320
		.amdhsa_user_sgpr_count 14
		.amdhsa_user_sgpr_dispatch_ptr 0
		.amdhsa_user_sgpr_queue_ptr 0
		.amdhsa_user_sgpr_kernarg_segment_ptr 1
		.amdhsa_user_sgpr_dispatch_id 0
		.amdhsa_user_sgpr_private_segment_size 0
		.amdhsa_wavefront_size32 1
		.amdhsa_uses_dynamic_stack 0
		.amdhsa_enable_private_segment 0
		.amdhsa_system_sgpr_workgroup_id_x 1
		.amdhsa_system_sgpr_workgroup_id_y 1
		.amdhsa_system_sgpr_workgroup_id_z 0
		.amdhsa_system_sgpr_workgroup_info 0
		.amdhsa_system_vgpr_workitem_id 1
		.amdhsa_next_free_vgpr 64
		.amdhsa_next_free_sgpr 22
		.amdhsa_reserve_vcc 1
		.amdhsa_float_round_mode_32 0
		.amdhsa_float_round_mode_16_64 0
		.amdhsa_float_denorm_mode_32 3
		.amdhsa_float_denorm_mode_16_64 3
		.amdhsa_dx10_clamp 1
		.amdhsa_ieee_mode 1
		.amdhsa_fp16_overflow 0
		.amdhsa_workgroup_processor_mode 1
		.amdhsa_memory_ordered 1
		.amdhsa_forward_progress 0
		.amdhsa_shared_vgpr_count 0
		.amdhsa_exception_fp_ieee_invalid_op 0
		.amdhsa_exception_fp_denorm_src 0
		.amdhsa_exception_fp_ieee_div_zero 0
		.amdhsa_exception_fp_ieee_overflow 0
		.amdhsa_exception_fp_ieee_underflow 0
		.amdhsa_exception_fp_ieee_inexact 0
		.amdhsa_exception_int_div_zero 0
	.end_amdhsa_kernel
	.section	.text._ZN2at6native12_GLOBAL__N_135GammaBetaBackwardCUDAKernelTemplateIN3c108BFloat16EfLj64ELj16ELj256ELb0ELb1ELb1EEEvllPKT_S7_PKT0_SA_PS5_SB_,"axG",@progbits,_ZN2at6native12_GLOBAL__N_135GammaBetaBackwardCUDAKernelTemplateIN3c108BFloat16EfLj64ELj16ELj256ELb0ELb1ELb1EEEvllPKT_S7_PKT0_SA_PS5_SB_,comdat
.Lfunc_end196:
	.size	_ZN2at6native12_GLOBAL__N_135GammaBetaBackwardCUDAKernelTemplateIN3c108BFloat16EfLj64ELj16ELj256ELb0ELb1ELb1EEEvllPKT_S7_PKT0_SA_PS5_SB_, .Lfunc_end196-_ZN2at6native12_GLOBAL__N_135GammaBetaBackwardCUDAKernelTemplateIN3c108BFloat16EfLj64ELj16ELj256ELb0ELb1ELb1EEEvllPKT_S7_PKT0_SA_PS5_SB_
                                        ; -- End function
	.section	.AMDGPU.csdata,"",@progbits
; Kernel info:
; codeLenInByte = 2348
; NumSgprs: 24
; NumVgprs: 64
; ScratchSize: 0
; MemoryBound: 0
; FloatMode: 240
; IeeeMode: 1
; LDSByteSize: 0 bytes/workgroup (compile time only)
; SGPRBlocks: 2
; VGPRBlocks: 7
; NumSGPRsForWavesPerEU: 24
; NumVGPRsForWavesPerEU: 64
; Occupancy: 16
; WaveLimiterHint : 0
; COMPUTE_PGM_RSRC2:SCRATCH_EN: 0
; COMPUTE_PGM_RSRC2:USER_SGPR: 14
; COMPUTE_PGM_RSRC2:TRAP_HANDLER: 0
; COMPUTE_PGM_RSRC2:TGID_X_EN: 1
; COMPUTE_PGM_RSRC2:TGID_Y_EN: 1
; COMPUTE_PGM_RSRC2:TGID_Z_EN: 0
; COMPUTE_PGM_RSRC2:TIDIG_COMP_CNT: 1
	.section	.text._ZN2at6native12_GLOBAL__N_135GammaBetaBackwardCUDAKernelTemplateIN3c108BFloat16EfLj64ELj16ELj256ELb0ELb0ELb1EEEvllPKT_S7_PKT0_SA_PS5_SB_,"axG",@progbits,_ZN2at6native12_GLOBAL__N_135GammaBetaBackwardCUDAKernelTemplateIN3c108BFloat16EfLj64ELj16ELj256ELb0ELb0ELb1EEEvllPKT_S7_PKT0_SA_PS5_SB_,comdat
	.globl	_ZN2at6native12_GLOBAL__N_135GammaBetaBackwardCUDAKernelTemplateIN3c108BFloat16EfLj64ELj16ELj256ELb0ELb0ELb1EEEvllPKT_S7_PKT0_SA_PS5_SB_ ; -- Begin function _ZN2at6native12_GLOBAL__N_135GammaBetaBackwardCUDAKernelTemplateIN3c108BFloat16EfLj64ELj16ELj256ELb0ELb0ELb1EEEvllPKT_S7_PKT0_SA_PS5_SB_
	.p2align	8
	.type	_ZN2at6native12_GLOBAL__N_135GammaBetaBackwardCUDAKernelTemplateIN3c108BFloat16EfLj64ELj16ELj256ELb0ELb0ELb1EEEvllPKT_S7_PKT0_SA_PS5_SB_,@function
_ZN2at6native12_GLOBAL__N_135GammaBetaBackwardCUDAKernelTemplateIN3c108BFloat16EfLj64ELj16ELj256ELb0ELb0ELb1EEEvllPKT_S7_PKT0_SA_PS5_SB_: ; @_ZN2at6native12_GLOBAL__N_135GammaBetaBackwardCUDAKernelTemplateIN3c108BFloat16EfLj64ELj16ELj256ELb0ELb0ELb1EEEvllPKT_S7_PKT0_SA_PS5_SB_
; %bb.0:
	s_clause 0x1
	s_load_b256 s[4:11], s[0:1], 0x0
	s_load_b64 s[12:13], s[0:1], 0x28
	s_lshl_b32 s33, s14, 6
	s_mov_b32 s35, 0
	s_or_b32 s34, s33, 63
	s_waitcnt lgkmcnt(0)
	v_cmp_ge_i64_e64 s2, s[34:35], s[6:7]
	s_lshl_b32 s34, s15, 8
	s_delay_alu instid0(SALU_CYCLE_1) | instskip(NEXT) | instid1(VALU_DEP_2)
	v_cmp_lt_i64_e64 s15, s[34:35], s[4:5]
	s_and_b32 vcc_lo, exec_lo, s2
	s_delay_alu instid0(VALU_DEP_1) | instskip(NEXT) | instid1(VALU_DEP_1)
	v_cndmask_b32_e64 v1, 0, 1, s15
	v_cmp_ne_u32_e64 s2, 1, v1
	s_cbranch_vccz .LBB197_81
; %bb.1:
	v_mov_b32_e32 v1, 0
	s_delay_alu instid0(VALU_DEP_2)
	s_and_b32 vcc_lo, exec_lo, s2
	s_cbranch_vccnz .LBB197_82
; %bb.2:
	v_bfe_u32 v51, v0, 10, 10
	v_and_b32_e32 v53, 0x3ff, v0
	s_load_b32 s3, s[0:1], 0x44
	s_add_u32 s36, s0, 64
	s_addc_u32 s37, s1, 0
	v_lshlrev_b32_e32 v52, 4, v51
	s_mov_b32 s16, 0
	s_mov_b64 s[42:43], s[34:35]
	v_mov_b32_e32 v118, 0
	s_delay_alu instid0(VALU_DEP_2) | instskip(NEXT) | instid1(VALU_DEP_1)
	v_add_co_u32 v9, s2, v52, s34
	v_add_co_ci_u32_e64 v10, null, 0, 0, s2
	s_delay_alu instid0(VALU_DEP_2) | instskip(NEXT) | instid1(VALU_DEP_2)
	v_add_co_u32 v1, vcc_lo, v9, 15
	v_add_co_ci_u32_e32 v2, vcc_lo, 0, v10, vcc_lo
	v_add_co_u32 v7, vcc_lo, v9, 14
	s_delay_alu instid0(VALU_DEP_3) | instskip(NEXT) | instid1(VALU_DEP_3)
	v_mul_lo_u32 v5, s7, v1
	v_mul_lo_u32 v6, s6, v2
	v_mov_b32_e32 v2, 0
	v_mad_u64_u32 v[3:4], null, s6, v1, 0
	v_add_nc_u32_e32 v1, s33, v53
	s_waitcnt lgkmcnt(0)
	s_lshl_b32 s44, s3, 8
	s_delay_alu instid0(SALU_CYCLE_1) | instskip(SKIP_2) | instid1(VALU_DEP_3)
	s_mul_i32 s3, s7, s44
	s_mul_hi_u32 s17, s6, s44
	v_cmp_gt_i64_e64 s2, s[6:7], v[1:2]
	v_add3_u32 v4, v4, v6, v5
	v_add_co_ci_u32_e32 v5, vcc_lo, 0, v10, vcc_lo
	v_lshlrev_b64 v[49:50], 1, v[1:2]
	v_mul_lo_u32 v1, s7, v7
	s_delay_alu instid0(VALU_DEP_4) | instskip(NEXT) | instid1(VALU_DEP_4)
	v_lshlrev_b64 v[3:4], 1, v[3:4]
	v_mul_lo_u32 v11, s6, v5
	v_mad_u64_u32 v[5:6], null, s6, v7, 0
	s_add_i32 s19, s17, s3
	s_mul_i32 s18, s6, s44
	s_delay_alu instid0(VALU_DEP_3) | instskip(SKIP_4) | instid1(VALU_DEP_3)
	v_add_co_u32 v54, vcc_lo, s8, v3
	v_add_co_ci_u32_e32 v55, vcc_lo, s9, v4, vcc_lo
	v_add_co_u32 v12, vcc_lo, v9, 13
	v_add_co_ci_u32_e32 v8, vcc_lo, 0, v10, vcc_lo
	v_add3_u32 v6, v6, v11, v1
	v_mul_lo_u32 v13, s7, v12
	v_add_co_u32 v56, vcc_lo, s10, v3
	s_delay_alu instid0(VALU_DEP_4)
	v_mul_lo_u32 v14, s6, v8
	v_mad_u64_u32 v[7:8], null, s6, v12, 0
	v_add_co_ci_u32_e32 v57, vcc_lo, s11, v4, vcc_lo
	v_lshlrev_b64 v[3:4], 1, v[5:6]
	v_add_co_u32 v1, vcc_lo, v9, 12
	v_add_co_ci_u32_e32 v11, vcc_lo, 0, v10, vcc_lo
	v_add3_u32 v8, v8, v14, v13
	s_delay_alu instid0(VALU_DEP_4) | instskip(SKIP_1) | instid1(VALU_DEP_3)
	v_add_co_u32 v58, vcc_lo, s8, v3
	v_add_co_ci_u32_e32 v59, vcc_lo, s9, v4, vcc_lo
	v_lshlrev_b64 v[5:6], 1, v[7:8]
	v_add_co_u32 v60, vcc_lo, s10, v3
	v_mul_lo_u32 v12, s7, v1
	v_mul_lo_u32 v11, s6, v11
	v_mad_u64_u32 v[7:8], null, s6, v1, 0
	v_add_co_ci_u32_e32 v61, vcc_lo, s11, v4, vcc_lo
	v_add_co_u32 v62, vcc_lo, s8, v5
	v_add_co_ci_u32_e32 v63, vcc_lo, s9, v6, vcc_lo
	v_add_co_u32 v1, vcc_lo, v9, 11
	v_add_co_u32 v64, s3, s10, v5
	v_add_co_ci_u32_e32 v5, vcc_lo, 0, v10, vcc_lo
	v_add3_u32 v8, v8, v11, v12
	v_add_co_u32 v12, vcc_lo, v9, 10
	v_add_co_ci_u32_e64 v65, s3, s11, v6, s3
	v_mul_lo_u32 v11, s7, v1
	v_mul_lo_u32 v13, s6, v5
	v_mad_u64_u32 v[5:6], null, s6, v1, 0
	v_lshlrev_b64 v[3:4], 1, v[7:8]
	v_add_co_ci_u32_e32 v7, vcc_lo, 0, v10, vcc_lo
	v_mul_lo_u32 v1, s7, v12
	s_lshl_b64 s[38:39], s[18:19], 1
	s_add_u32 s40, s34, 0xff
	s_delay_alu instid0(VALU_DEP_2)
	v_mul_lo_u32 v14, s6, v7
	v_mad_u64_u32 v[7:8], null, s6, v12, 0
	v_add_co_u32 v66, vcc_lo, s8, v3
	v_add3_u32 v6, v6, v13, v11
	v_add_co_ci_u32_e32 v67, vcc_lo, s9, v4, vcc_lo
	v_add_co_u32 v68, vcc_lo, s10, v3
	v_add_co_ci_u32_e32 v69, vcc_lo, s11, v4, vcc_lo
	s_delay_alu instid0(VALU_DEP_4) | instskip(SKIP_3) | instid1(VALU_DEP_4)
	v_lshlrev_b64 v[3:4], 1, v[5:6]
	v_add3_u32 v8, v8, v14, v1
	v_add_co_u32 v1, vcc_lo, v9, 9
	v_add_co_ci_u32_e32 v11, vcc_lo, 0, v10, vcc_lo
	v_add_co_u32 v70, vcc_lo, s8, v3
	s_delay_alu instid0(VALU_DEP_4)
	v_lshlrev_b64 v[5:6], 1, v[7:8]
	v_add_co_ci_u32_e32 v71, vcc_lo, s9, v4, vcc_lo
	v_add_co_u32 v72, vcc_lo, s10, v3
	v_mul_lo_u32 v12, s7, v1
	v_mul_lo_u32 v11, s6, v11
	v_mad_u64_u32 v[7:8], null, s6, v1, 0
	v_add_co_ci_u32_e32 v73, vcc_lo, s11, v4, vcc_lo
	v_add_co_u32 v74, vcc_lo, s8, v5
	v_add_co_ci_u32_e32 v75, vcc_lo, s9, v6, vcc_lo
	v_add_co_u32 v1, vcc_lo, v9, 8
	v_add_co_u32 v76, s3, s10, v5
	v_add_co_ci_u32_e32 v5, vcc_lo, 0, v10, vcc_lo
	v_add3_u32 v8, v8, v11, v12
	v_add_co_u32 v12, vcc_lo, v9, 7
	v_add_co_ci_u32_e64 v77, s3, s11, v6, s3
	v_mul_lo_u32 v11, s7, v1
	v_mul_lo_u32 v13, s6, v5
	v_mad_u64_u32 v[5:6], null, s6, v1, 0
	v_lshlrev_b64 v[3:4], 1, v[7:8]
	v_add_co_ci_u32_e32 v7, vcc_lo, 0, v10, vcc_lo
	v_mul_lo_u32 v1, s7, v12
	s_addc_u32 s41, 0, 0
	s_delay_alu instid0(VALU_DEP_2)
	v_mul_lo_u32 v14, s6, v7
	v_mad_u64_u32 v[7:8], null, s6, v12, 0
	v_add_co_u32 v78, vcc_lo, s8, v3
	v_add3_u32 v6, v6, v13, v11
	v_add_co_ci_u32_e32 v79, vcc_lo, s9, v4, vcc_lo
	v_add_co_u32 v80, vcc_lo, s10, v3
	v_add_co_ci_u32_e32 v81, vcc_lo, s11, v4, vcc_lo
	s_delay_alu instid0(VALU_DEP_4) | instskip(SKIP_3) | instid1(VALU_DEP_4)
	v_lshlrev_b64 v[3:4], 1, v[5:6]
	v_add3_u32 v8, v8, v14, v1
	v_add_co_u32 v1, vcc_lo, v9, 6
	v_add_co_ci_u32_e32 v11, vcc_lo, 0, v10, vcc_lo
	v_add_co_u32 v82, vcc_lo, s8, v3
	s_delay_alu instid0(VALU_DEP_4)
	v_lshlrev_b64 v[5:6], 1, v[7:8]
	v_add_co_ci_u32_e32 v83, vcc_lo, s9, v4, vcc_lo
	v_add_co_u32 v84, vcc_lo, s10, v3
	v_mul_lo_u32 v12, s7, v1
	v_mul_lo_u32 v11, s6, v11
	v_mad_u64_u32 v[7:8], null, s6, v1, 0
	v_add_co_ci_u32_e32 v85, vcc_lo, s11, v4, vcc_lo
	v_add_co_u32 v86, vcc_lo, s8, v5
	v_add_co_ci_u32_e32 v87, vcc_lo, s9, v6, vcc_lo
	v_add_co_u32 v1, vcc_lo, v9, 5
	v_add_co_u32 v88, s3, s10, v5
	v_add_co_ci_u32_e32 v5, vcc_lo, 0, v10, vcc_lo
	v_add3_u32 v8, v8, v11, v12
	v_add_co_u32 v12, vcc_lo, v9, 4
	v_add_co_ci_u32_e64 v89, s3, s11, v6, s3
	v_mul_lo_u32 v11, s7, v1
	v_mul_lo_u32 v13, s6, v5
	v_mad_u64_u32 v[5:6], null, s6, v1, 0
	v_lshlrev_b64 v[3:4], 1, v[7:8]
	v_add_co_ci_u32_e32 v7, vcc_lo, 0, v10, vcc_lo
	v_mul_lo_u32 v1, s7, v12
	s_delay_alu instid0(VALU_DEP_2)
	v_mul_lo_u32 v14, s6, v7
	v_mad_u64_u32 v[7:8], null, s6, v12, 0
	v_add_co_u32 v90, vcc_lo, s8, v3
	v_add3_u32 v6, v6, v13, v11
	v_add_co_ci_u32_e32 v91, vcc_lo, s9, v4, vcc_lo
	v_add_co_u32 v92, vcc_lo, s10, v3
	v_add_co_ci_u32_e32 v93, vcc_lo, s11, v4, vcc_lo
	s_delay_alu instid0(VALU_DEP_4) | instskip(SKIP_3) | instid1(VALU_DEP_4)
	v_lshlrev_b64 v[3:4], 1, v[5:6]
	v_add3_u32 v8, v8, v14, v1
	v_add_co_u32 v1, vcc_lo, v9, 3
	v_add_co_ci_u32_e32 v11, vcc_lo, 0, v10, vcc_lo
	v_add_co_u32 v94, vcc_lo, s8, v3
	s_delay_alu instid0(VALU_DEP_4)
	v_lshlrev_b64 v[5:6], 1, v[7:8]
	v_add_co_ci_u32_e32 v95, vcc_lo, s9, v4, vcc_lo
	v_mul_lo_u32 v12, s7, v1
	v_mul_lo_u32 v11, s6, v11
	v_mad_u64_u32 v[7:8], null, s6, v1, 0
	v_add_co_u32 v96, vcc_lo, s10, v3
	v_add_co_ci_u32_e32 v97, vcc_lo, s11, v4, vcc_lo
	v_add_co_u32 v98, vcc_lo, s8, v5
	v_add_co_ci_u32_e32 v99, vcc_lo, s9, v6, vcc_lo
	v_add_co_u32 v1, vcc_lo, v9, 2
	v_add3_u32 v8, v8, v11, v12
	v_add_co_ci_u32_e32 v11, vcc_lo, 0, v10, vcc_lo
	v_add_co_u32 v100, vcc_lo, s10, v5
	v_add_co_ci_u32_e32 v101, vcc_lo, s11, v6, vcc_lo
	v_mul_lo_u32 v12, s7, v1
	s_delay_alu instid0(VALU_DEP_4)
	v_mul_lo_u32 v11, s6, v11
	v_mad_u64_u32 v[5:6], null, s6, v1, 0
	v_lshlrev_b64 v[3:4], 1, v[7:8]
	v_mul_lo_u32 v1, s7, v9
	v_mul_lo_u32 v10, s6, v10
	v_mad_u64_u32 v[7:8], null, s6, v9, 0
	s_delay_alu instid0(VALU_DEP_4)
	v_add_co_u32 v102, vcc_lo, s8, v3
	v_add3_u32 v6, v6, v11, v12
	v_add_co_ci_u32_e32 v103, vcc_lo, s9, v4, vcc_lo
	v_add_co_u32 v104, vcc_lo, s10, v3
	v_add3_u32 v8, v8, v10, v1
	v_add_co_ci_u32_e32 v105, vcc_lo, s11, v4, vcc_lo
	v_lshlrev_b64 v[3:4], 1, v[5:6]
	v_add_co_u32 v5, vcc_lo, v7, s6
	s_delay_alu instid0(VALU_DEP_4) | instskip(NEXT) | instid1(VALU_DEP_3)
	v_add_co_ci_u32_e32 v6, vcc_lo, s7, v8, vcc_lo
	v_add_co_u32 v106, vcc_lo, s8, v3
	s_delay_alu instid0(VALU_DEP_2) | instskip(SKIP_3) | instid1(VALU_DEP_4)
	v_lshlrev_b64 v[5:6], 1, v[5:6]
	v_add_co_ci_u32_e32 v107, vcc_lo, s9, v4, vcc_lo
	v_add_co_u32 v108, vcc_lo, s10, v3
	v_add_co_ci_u32_e32 v109, vcc_lo, s11, v4, vcc_lo
	v_add_co_u32 v110, vcc_lo, s8, v5
	v_lshlrev_b64 v[3:4], 1, v[7:8]
	v_add_co_ci_u32_e32 v111, vcc_lo, s9, v6, vcc_lo
	v_add_co_u32 v112, vcc_lo, s10, v5
	v_add_co_ci_u32_e32 v113, vcc_lo, s11, v6, vcc_lo
	s_delay_alu instid0(VALU_DEP_4)
	v_add_co_u32 v114, vcc_lo, s8, v3
	v_add_co_ci_u32_e32 v115, vcc_lo, s9, v4, vcc_lo
	v_add_co_u32 v116, vcc_lo, s10, v3
	v_add_co_ci_u32_e32 v117, vcc_lo, s11, v4, vcc_lo
.LBB197_3:                              ; =>This Inner Loop Header: Depth=1
	v_cmp_ge_i64_e64 s3, s[40:41], s[4:5]
	v_add_co_u32 v119, s17, v52, s40
	s_delay_alu instid0(VALU_DEP_1) | instskip(NEXT) | instid1(VALU_DEP_3)
	v_add_co_ci_u32_e64 v120, null, 0, s41, s17
	s_and_b32 vcc_lo, exec_lo, s3
	s_cbranch_vccz .LBB197_41
; %bb.4:                                ;   in Loop: Header=BB197_3 Depth=1
	s_load_b32 s3, s[36:37], 0xc
	v_mov_b32_e32 v121, 0
	s_waitcnt lgkmcnt(0)
	s_and_b32 s3, s3, 0xffff
	s_delay_alu instid0(SALU_CYCLE_1) | instskip(SKIP_1) | instid1(VALU_DEP_1)
	v_mad_u32_u24 v1, v51, s3, v53
	s_mov_b32 s3, exec_lo
	v_and_b32_e32 v1, 31, v1
	s_delay_alu instid0(VALU_DEP_1)
	v_cmpx_gt_u32_e32 16, v1
	s_cbranch_execz .LBB197_8
; %bb.5:                                ;   in Loop: Header=BB197_3 Depth=1
	v_add_co_u32 v1, vcc_lo, v119, v1
	v_add_co_ci_u32_e32 v4, vcc_lo, 0, v120, vcc_lo
	v_mov_b32_e32 v121, 0
	s_delay_alu instid0(VALU_DEP_3) | instskip(NEXT) | instid1(VALU_DEP_3)
	v_add_co_u32 v3, vcc_lo, 0xffffff01, v1
	v_add_co_ci_u32_e32 v4, vcc_lo, -1, v4, vcc_lo
	s_mov_b32 s17, exec_lo
	s_delay_alu instid0(VALU_DEP_1)
	v_cmpx_gt_i64_e64 s[4:5], v[3:4]
	s_cbranch_execz .LBB197_7
; %bb.6:                                ;   in Loop: Header=BB197_3 Depth=1
	v_lshlrev_b64 v[3:4], 2, v[3:4]
	s_delay_alu instid0(VALU_DEP_1) | instskip(NEXT) | instid1(VALU_DEP_2)
	v_add_co_u32 v3, vcc_lo, s12, v3
	v_add_co_ci_u32_e32 v4, vcc_lo, s13, v4, vcc_lo
	global_load_b32 v121, v[3:4], off
.LBB197_7:                              ;   in Loop: Header=BB197_3 Depth=1
	s_or_b32 exec_lo, exec_lo, s17
.LBB197_8:                              ;   in Loop: Header=BB197_3 Depth=1
	s_delay_alu instid0(SALU_CYCLE_1)
	s_or_b32 exec_lo, exec_lo, s3
	v_add_co_u32 v3, vcc_lo, 0xffffff01, v119
	s_mov_b32 s31, s16
	v_add_co_ci_u32_e32 v4, vcc_lo, -1, v120, vcc_lo
	s_mov_b32 s17, s16
	s_mov_b32 s18, s16
	;; [unrolled: 1-line block ×14, first 2 shown]
	s_delay_alu instid0(SALU_CYCLE_1)
	v_dual_mov_b32 v32, s31 :: v_dual_mov_b32 v31, s30
	v_dual_mov_b32 v30, s29 :: v_dual_mov_b32 v29, s28
	;; [unrolled: 1-line block ×8, first 2 shown]
	v_cmp_gt_i64_e32 vcc_lo, s[4:5], v[3:4]
	v_dual_mov_b32 v48, v32 :: v_dual_mov_b32 v47, v31
	v_dual_mov_b32 v46, v30 :: v_dual_mov_b32 v45, v29
	;; [unrolled: 1-line block ×8, first 2 shown]
	s_and_b32 s17, s2, vcc_lo
	s_delay_alu instid0(SALU_CYCLE_1)
	s_and_saveexec_b32 s3, s17
	s_cbranch_execz .LBB197_10
; %bb.9:                                ;   in Loop: Header=BB197_3 Depth=1
	v_add_co_u32 v3, vcc_lo, v114, v49
	v_add_co_ci_u32_e32 v4, vcc_lo, v115, v50, vcc_lo
	v_add_co_u32 v5, vcc_lo, v116, v49
	v_add_co_ci_u32_e32 v6, vcc_lo, v117, v50, vcc_lo
	v_mov_b32_e32 v16, v2
	global_load_u16 v1, v[3:4], off
	global_load_u16 v17, v[5:6], off
	v_mov_b32_e32 v3, v2
	v_mov_b32_e32 v4, v2
	v_mov_b32_e32 v5, v2
	v_mov_b32_e32 v6, v2
	v_mov_b32_e32 v7, v2
	v_mov_b32_e32 v8, v2
	v_mov_b32_e32 v9, v2
	v_mov_b32_e32 v10, v2
	v_mov_b32_e32 v11, v2
	v_mov_b32_e32 v12, v2
	v_mov_b32_e32 v13, v2
	v_mov_b32_e32 v14, v2
	v_mov_b32_e32 v15, v2
	v_mov_b32_e32 v27, v2
	v_mov_b32_e32 v29, v2
	v_mov_b32_e32 v31, v2
	s_waitcnt vmcnt(1)
	v_dual_mov_b32 v32, v2 :: v_dual_lshlrev_b32 v1, 16, v1
	s_waitcnt vmcnt(0)
	v_lshlrev_b32_e32 v17, 16, v17
	v_dual_mov_b32 v19, v2 :: v_dual_mov_b32 v48, v16
	v_dual_mov_b32 v18, v2 :: v_dual_mov_b32 v47, v15
	;; [unrolled: 1-line block ×12, first 2 shown]
	v_mov_b32_e32 v42, v10
	v_mov_b32_e32 v38, v6
	;; [unrolled: 1-line block ×3, first 2 shown]
.LBB197_10:                             ;   in Loop: Header=BB197_3 Depth=1
	s_or_b32 exec_lo, exec_lo, s3
	v_add_co_u32 v3, vcc_lo, 0xffffff02, v119
	v_add_co_ci_u32_e32 v4, vcc_lo, -1, v120, vcc_lo
	s_delay_alu instid0(VALU_DEP_1) | instskip(SKIP_1) | instid1(SALU_CYCLE_1)
	v_cmp_gt_i64_e32 vcc_lo, s[4:5], v[3:4]
	s_and_b32 s17, s2, vcc_lo
	s_and_saveexec_b32 s3, s17
	s_cbranch_execz .LBB197_12
; %bb.11:                               ;   in Loop: Header=BB197_3 Depth=1
	v_add_co_u32 v3, vcc_lo, v110, v49
	v_add_co_ci_u32_e32 v4, vcc_lo, v111, v50, vcc_lo
	v_add_co_u32 v5, vcc_lo, v112, v49
	v_add_co_ci_u32_e32 v6, vcc_lo, v113, v50, vcc_lo
	global_load_u16 v1, v[3:4], off
	global_load_u16 v3, v[5:6], off
	s_waitcnt vmcnt(1)
	v_lshlrev_b32_e32 v34, 16, v1
	s_waitcnt vmcnt(0)
	v_lshlrev_b32_e32 v18, 16, v3
.LBB197_12:                             ;   in Loop: Header=BB197_3 Depth=1
	s_or_b32 exec_lo, exec_lo, s3
	v_add_co_u32 v3, vcc_lo, 0xffffff03, v119
	v_add_co_ci_u32_e32 v4, vcc_lo, -1, v120, vcc_lo
	s_delay_alu instid0(VALU_DEP_1) | instskip(SKIP_1) | instid1(SALU_CYCLE_1)
	v_cmp_gt_i64_e32 vcc_lo, s[4:5], v[3:4]
	s_and_b32 s17, s2, vcc_lo
	s_and_saveexec_b32 s3, s17
	s_cbranch_execz .LBB197_14
; %bb.13:                               ;   in Loop: Header=BB197_3 Depth=1
	v_add_co_u32 v3, vcc_lo, v106, v49
	v_add_co_ci_u32_e32 v4, vcc_lo, v107, v50, vcc_lo
	v_add_co_u32 v5, vcc_lo, v108, v49
	v_add_co_ci_u32_e32 v6, vcc_lo, v109, v50, vcc_lo
	global_load_u16 v1, v[3:4], off
	global_load_u16 v3, v[5:6], off
	s_waitcnt vmcnt(1)
	v_lshlrev_b32_e32 v35, 16, v1
	s_waitcnt vmcnt(0)
	v_lshlrev_b32_e32 v19, 16, v3
.LBB197_14:                             ;   in Loop: Header=BB197_3 Depth=1
	;; [unrolled: 20-line block ×15, first 2 shown]
	s_or_b32 exec_lo, exec_lo, s3
	s_waitcnt vmcnt(0)
	ds_bpermute_b32 v1, v2, v121
	ds_bpermute_b32 v3, v2, v121 offset:4
	ds_bpermute_b32 v4, v2, v121 offset:8
	v_mul_f32_e32 v5, v17, v33
	ds_bpermute_b32 v6, v2, v121 offset:12
	v_mul_f32_e32 v7, v18, v34
	ds_bpermute_b32 v8, v2, v121 offset:16
	ds_bpermute_b32 v9, v2, v121 offset:20
	s_waitcnt lgkmcnt(5)
	v_fma_f32 v1, v5, v1, v118
	v_mul_f32_e32 v5, v19, v35
	s_waitcnt lgkmcnt(4)
	s_delay_alu instid0(VALU_DEP_2)
	v_fmac_f32_e32 v1, v7, v3
	v_mul_f32_e32 v3, v20, v36
	ds_bpermute_b32 v7, v2, v121 offset:24
	s_waitcnt lgkmcnt(4)
	v_fmac_f32_e32 v1, v5, v4
	v_mul_f32_e32 v4, v21, v37
	ds_bpermute_b32 v5, v2, v121 offset:28
	s_waitcnt lgkmcnt(4)
	;; [unrolled: 4-line block ×3, first 2 shown]
	v_dual_fmac_f32 v1, v4, v8 :: v_dual_mul_f32 v4, v23, v39
	ds_bpermute_b32 v8, v2, v121 offset:36
	s_waitcnt lgkmcnt(4)
	v_fmac_f32_e32 v1, v3, v9
	v_mul_f32_e32 v3, v24, v40
	ds_bpermute_b32 v9, v2, v121 offset:40
	s_waitcnt lgkmcnt(4)
	v_dual_fmac_f32 v1, v4, v7 :: v_dual_mul_f32 v4, v25, v41
	ds_bpermute_b32 v7, v2, v121 offset:44
	s_waitcnt lgkmcnt(4)
	v_fmac_f32_e32 v1, v3, v5
	v_mul_f32_e32 v3, v26, v42
	ds_bpermute_b32 v5, v2, v121 offset:48
	s_waitcnt lgkmcnt(4)
	v_dual_fmac_f32 v1, v4, v6 :: v_dual_mul_f32 v4, v27, v43
	ds_bpermute_b32 v6, v2, v121 offset:52
	s_waitcnt lgkmcnt(4)
	v_fmac_f32_e32 v1, v3, v8
	v_dual_mul_f32 v3, v28, v44 :: v_dual_mul_f32 v8, v29, v45
	s_waitcnt lgkmcnt(3)
	s_delay_alu instid0(VALU_DEP_2)
	v_fmac_f32_e32 v1, v4, v9
	ds_bpermute_b32 v4, v2, v121 offset:56
	s_waitcnt lgkmcnt(3)
	v_fmac_f32_e32 v1, v3, v7
	ds_bpermute_b32 v3, v2, v121 offset:60
	v_mul_f32_e32 v7, v30, v46
	s_waitcnt lgkmcnt(3)
	v_fmac_f32_e32 v1, v8, v5
	v_mul_f32_e32 v5, v31, v47
	s_waitcnt lgkmcnt(2)
	s_delay_alu instid0(VALU_DEP_2) | instskip(SKIP_1) | instid1(VALU_DEP_1)
	v_fmac_f32_e32 v1, v7, v6
	s_waitcnt lgkmcnt(1)
	v_fmac_f32_e32 v1, v5, v4
	s_branch .LBB197_64
.LBB197_41:                             ;   in Loop: Header=BB197_3 Depth=1
                                        ; implicit-def: $vgpr1
                                        ; implicit-def: $vgpr17_vgpr18_vgpr19_vgpr20_vgpr21_vgpr22_vgpr23_vgpr24_vgpr25_vgpr26_vgpr27_vgpr28_vgpr29_vgpr30_vgpr31_vgpr32
                                        ; implicit-def: $vgpr33_vgpr34_vgpr35_vgpr36_vgpr37_vgpr38_vgpr39_vgpr40_vgpr41_vgpr42_vgpr43_vgpr44_vgpr45_vgpr46_vgpr47_vgpr48
                                        ; implicit-def: $vgpr3
	s_cbranch_execz .LBB197_64
; %bb.42:                               ;   in Loop: Header=BB197_3 Depth=1
	s_load_b32 s3, s[36:37], 0x0
	v_mov_b32_e32 v121, 0
	s_waitcnt lgkmcnt(0)
	s_cmp_lt_u32 s14, s3
	s_cselect_b32 s3, 12, 18
	s_delay_alu instid0(SALU_CYCLE_1)
	s_add_u32 s18, s36, s3
	s_addc_u32 s19, s37, 0
	s_mov_b32 s3, exec_lo
	global_load_u16 v1, v2, s[18:19]
	s_waitcnt vmcnt(0)
	v_mad_u32_u24 v1, v51, v1, v53
	s_delay_alu instid0(VALU_DEP_1) | instskip(NEXT) | instid1(VALU_DEP_1)
	v_and_b32_e32 v1, 31, v1
	v_cmpx_gt_u32_e32 16, v1
	s_cbranch_execz .LBB197_46
; %bb.43:                               ;   in Loop: Header=BB197_3 Depth=1
	v_add_co_u32 v1, vcc_lo, v119, v1
	v_add_co_ci_u32_e32 v4, vcc_lo, 0, v120, vcc_lo
	v_mov_b32_e32 v121, 0
	s_delay_alu instid0(VALU_DEP_3) | instskip(NEXT) | instid1(VALU_DEP_3)
	v_add_co_u32 v3, vcc_lo, 0xffffff01, v1
	v_add_co_ci_u32_e32 v4, vcc_lo, -1, v4, vcc_lo
	s_mov_b32 s17, exec_lo
	s_delay_alu instid0(VALU_DEP_1)
	v_cmpx_gt_i64_e64 s[4:5], v[3:4]
	s_cbranch_execz .LBB197_45
; %bb.44:                               ;   in Loop: Header=BB197_3 Depth=1
	v_lshlrev_b64 v[3:4], 2, v[3:4]
	s_delay_alu instid0(VALU_DEP_1) | instskip(NEXT) | instid1(VALU_DEP_2)
	v_add_co_u32 v3, vcc_lo, s12, v3
	v_add_co_ci_u32_e32 v4, vcc_lo, s13, v4, vcc_lo
	global_load_b32 v121, v[3:4], off
.LBB197_45:                             ;   in Loop: Header=BB197_3 Depth=1
	s_or_b32 exec_lo, exec_lo, s17
.LBB197_46:                             ;   in Loop: Header=BB197_3 Depth=1
	s_delay_alu instid0(SALU_CYCLE_1)
	s_or_b32 exec_lo, exec_lo, s3
	s_mov_b32 s31, s16
	s_mov_b32 s17, s16
	s_mov_b32 s18, s16
	s_mov_b32 s19, s16
	s_mov_b32 s20, s16
	s_mov_b32 s21, s16
	s_mov_b32 s22, s16
	s_mov_b32 s23, s16
	s_mov_b32 s24, s16
	s_mov_b32 s25, s16
	s_mov_b32 s26, s16
	s_mov_b32 s27, s16
	s_mov_b32 s28, s16
	s_mov_b32 s29, s16
	s_mov_b32 s30, s16
	s_delay_alu instid0(SALU_CYCLE_1)
	v_dual_mov_b32 v32, s31 :: v_dual_mov_b32 v31, s30
	v_dual_mov_b32 v30, s29 :: v_dual_mov_b32 v29, s28
	;; [unrolled: 1-line block ×16, first 2 shown]
	s_and_saveexec_b32 s3, s2
	s_cbranch_execnz .LBB197_66
; %bb.47:                               ;   in Loop: Header=BB197_3 Depth=1
	s_or_b32 exec_lo, exec_lo, s3
	s_and_saveexec_b32 s3, s2
	s_cbranch_execnz .LBB197_67
.LBB197_48:                             ;   in Loop: Header=BB197_3 Depth=1
	s_or_b32 exec_lo, exec_lo, s3
	s_and_saveexec_b32 s3, s2
	s_cbranch_execnz .LBB197_68
.LBB197_49:                             ;   in Loop: Header=BB197_3 Depth=1
	s_or_b32 exec_lo, exec_lo, s3
	s_and_saveexec_b32 s3, s2
	s_cbranch_execnz .LBB197_69
.LBB197_50:                             ;   in Loop: Header=BB197_3 Depth=1
	s_or_b32 exec_lo, exec_lo, s3
	s_and_saveexec_b32 s3, s2
	s_cbranch_execnz .LBB197_70
.LBB197_51:                             ;   in Loop: Header=BB197_3 Depth=1
	s_or_b32 exec_lo, exec_lo, s3
	s_and_saveexec_b32 s3, s2
	s_cbranch_execnz .LBB197_71
.LBB197_52:                             ;   in Loop: Header=BB197_3 Depth=1
	s_or_b32 exec_lo, exec_lo, s3
	s_and_saveexec_b32 s3, s2
	s_cbranch_execnz .LBB197_72
.LBB197_53:                             ;   in Loop: Header=BB197_3 Depth=1
	s_or_b32 exec_lo, exec_lo, s3
	s_and_saveexec_b32 s3, s2
	s_cbranch_execnz .LBB197_73
.LBB197_54:                             ;   in Loop: Header=BB197_3 Depth=1
	s_or_b32 exec_lo, exec_lo, s3
	s_and_saveexec_b32 s3, s2
	s_cbranch_execnz .LBB197_74
.LBB197_55:                             ;   in Loop: Header=BB197_3 Depth=1
	s_or_b32 exec_lo, exec_lo, s3
	s_and_saveexec_b32 s3, s2
	s_cbranch_execnz .LBB197_75
.LBB197_56:                             ;   in Loop: Header=BB197_3 Depth=1
	s_or_b32 exec_lo, exec_lo, s3
	s_and_saveexec_b32 s3, s2
	s_cbranch_execnz .LBB197_76
.LBB197_57:                             ;   in Loop: Header=BB197_3 Depth=1
	s_or_b32 exec_lo, exec_lo, s3
	s_and_saveexec_b32 s3, s2
	s_cbranch_execnz .LBB197_77
.LBB197_58:                             ;   in Loop: Header=BB197_3 Depth=1
	s_or_b32 exec_lo, exec_lo, s3
	s_and_saveexec_b32 s3, s2
	s_cbranch_execnz .LBB197_78
.LBB197_59:                             ;   in Loop: Header=BB197_3 Depth=1
	s_or_b32 exec_lo, exec_lo, s3
	s_and_saveexec_b32 s3, s2
	s_cbranch_execnz .LBB197_79
.LBB197_60:                             ;   in Loop: Header=BB197_3 Depth=1
	s_or_b32 exec_lo, exec_lo, s3
	s_and_saveexec_b32 s3, s2
	s_cbranch_execnz .LBB197_80
.LBB197_61:                             ;   in Loop: Header=BB197_3 Depth=1
	s_or_b32 exec_lo, exec_lo, s3
	s_and_saveexec_b32 s3, s2
	s_cbranch_execz .LBB197_63
.LBB197_62:                             ;   in Loop: Header=BB197_3 Depth=1
	v_add_co_u32 v3, vcc_lo, v54, v49
	v_add_co_ci_u32_e32 v4, vcc_lo, v55, v50, vcc_lo
	v_add_co_u32 v5, vcc_lo, v56, v49
	v_add_co_ci_u32_e32 v6, vcc_lo, v57, v50, vcc_lo
	global_load_u16 v1, v[3:4], off
	global_load_u16 v3, v[5:6], off
	s_waitcnt vmcnt(1)
	v_lshlrev_b32_e32 v48, 16, v1
	s_waitcnt vmcnt(0)
	v_lshlrev_b32_e32 v32, 16, v3
.LBB197_63:                             ;   in Loop: Header=BB197_3 Depth=1
	s_or_b32 exec_lo, exec_lo, s3
	s_waitcnt vmcnt(0)
	ds_bpermute_b32 v1, v2, v121
	ds_bpermute_b32 v3, v2, v121 offset:4
	ds_bpermute_b32 v4, v2, v121 offset:8
	;; [unrolled: 1-line block ×3, first 2 shown]
	v_mul_f32_e32 v7, v18, v34
	v_mul_f32_e32 v5, v17, v33
	ds_bpermute_b32 v8, v2, v121 offset:16
	s_waitcnt lgkmcnt(4)
	v_dual_fmac_f32 v118, v5, v1 :: v_dual_mul_f32 v1, v19, v35
	ds_bpermute_b32 v5, v2, v121 offset:20
	s_waitcnt lgkmcnt(4)
	v_fmac_f32_e32 v118, v7, v3
	ds_bpermute_b32 v7, v2, v121 offset:24
	v_mul_f32_e32 v3, v20, v36
	s_waitcnt lgkmcnt(4)
	v_fmac_f32_e32 v118, v1, v4
	v_mul_f32_e32 v1, v21, v37
	ds_bpermute_b32 v4, v2, v121 offset:28
	s_waitcnt lgkmcnt(4)
	v_fmac_f32_e32 v118, v3, v6
	v_mul_f32_e32 v3, v22, v38
	ds_bpermute_b32 v6, v2, v121 offset:32
	s_waitcnt lgkmcnt(4)
	v_dual_fmac_f32 v118, v1, v8 :: v_dual_mul_f32 v1, v23, v39
	ds_bpermute_b32 v8, v2, v121 offset:36
	s_waitcnt lgkmcnt(4)
	v_dual_fmac_f32 v118, v3, v5 :: v_dual_mul_f32 v3, v24, v40
	ds_bpermute_b32 v5, v2, v121 offset:40
	s_waitcnt lgkmcnt(4)
	v_fmac_f32_e32 v118, v1, v7
	v_mul_f32_e32 v1, v25, v41
	ds_bpermute_b32 v7, v2, v121 offset:44
	s_waitcnt lgkmcnt(4)
	v_fmac_f32_e32 v118, v3, v4
	ds_bpermute_b32 v4, v2, v121 offset:48
	s_waitcnt lgkmcnt(4)
	v_dual_fmac_f32 v118, v1, v6 :: v_dual_mul_f32 v1, v27, v43
	v_mul_f32_e32 v3, v26, v42
	ds_bpermute_b32 v6, v2, v121 offset:52
	s_waitcnt lgkmcnt(4)
	v_fmac_f32_e32 v118, v3, v8
	s_waitcnt lgkmcnt(3)
	s_delay_alu instid0(VALU_DEP_1)
	v_dual_mul_f32 v3, v28, v44 :: v_dual_fmac_f32 v118, v1, v5
	ds_bpermute_b32 v1, v2, v121 offset:56
	s_waitcnt lgkmcnt(3)
	v_dual_mul_f32 v5, v29, v45 :: v_dual_fmac_f32 v118, v3, v7
	v_mul_f32_e32 v7, v30, v46
	ds_bpermute_b32 v3, v2, v121 offset:60
	s_waitcnt lgkmcnt(3)
	v_fmac_f32_e32 v118, v5, v4
	v_mul_f32_e32 v4, v31, v47
	s_waitcnt lgkmcnt(2)
	s_delay_alu instid0(VALU_DEP_2) | instskip(SKIP_1) | instid1(VALU_DEP_1)
	v_fmac_f32_e32 v118, v7, v6
	s_waitcnt lgkmcnt(1)
	v_fmac_f32_e32 v118, v4, v1
	s_delay_alu instid0(VALU_DEP_1)
	v_mov_b32_e32 v1, v118
.LBB197_64:                             ;   in Loop: Header=BB197_3 Depth=1
	v_add_co_u32 v54, vcc_lo, v54, s38
	v_add_co_ci_u32_e32 v55, vcc_lo, s39, v55, vcc_lo
	v_add_co_u32 v56, vcc_lo, v56, s38
	v_add_co_ci_u32_e32 v57, vcc_lo, s39, v57, vcc_lo
	;; [unrolled: 2-line block ×29, first 2 shown]
	v_add_co_u32 v112, vcc_lo, v112, s38
	s_add_u32 s42, s42, s44
	v_add_co_ci_u32_e32 v113, vcc_lo, s39, v113, vcc_lo
	v_mul_f32_e32 v4, v48, v32
	s_addc_u32 s43, s43, 0
	v_add_co_u32 v114, vcc_lo, v114, s38
	v_cmp_lt_i64_e64 s3, s[42:43], s[4:5]
	v_add_co_ci_u32_e32 v115, vcc_lo, s39, v115, vcc_lo
	v_add_co_u32 v116, vcc_lo, v116, s38
	s_waitcnt lgkmcnt(0)
	v_fmac_f32_e32 v1, v4, v3
	v_add_co_ci_u32_e32 v117, vcc_lo, s39, v117, vcc_lo
	s_add_u32 s40, s40, s44
	s_addc_u32 s41, s41, 0
	s_and_b32 vcc_lo, exec_lo, s3
	s_cbranch_vccz .LBB197_82
; %bb.65:                               ;   in Loop: Header=BB197_3 Depth=1
	v_mov_b32_e32 v118, v1
	s_branch .LBB197_3
.LBB197_66:                             ;   in Loop: Header=BB197_3 Depth=1
	v_add_co_u32 v3, vcc_lo, v114, v49
	v_add_co_ci_u32_e32 v4, vcc_lo, v115, v50, vcc_lo
	v_add_co_u32 v5, vcc_lo, v116, v49
	v_add_co_ci_u32_e32 v6, vcc_lo, v117, v50, vcc_lo
	v_mov_b32_e32 v16, v2
	global_load_u16 v1, v[3:4], off
	global_load_u16 v17, v[5:6], off
	v_mov_b32_e32 v3, v2
	v_mov_b32_e32 v4, v2
	;; [unrolled: 1-line block ×16, first 2 shown]
	s_waitcnt vmcnt(1)
	v_dual_mov_b32 v32, v2 :: v_dual_lshlrev_b32 v1, 16, v1
	s_waitcnt vmcnt(0)
	v_lshlrev_b32_e32 v17, 16, v17
	v_dual_mov_b32 v19, v2 :: v_dual_mov_b32 v48, v16
	v_dual_mov_b32 v18, v2 :: v_dual_mov_b32 v47, v15
	;; [unrolled: 1-line block ×12, first 2 shown]
	v_mov_b32_e32 v42, v10
	v_mov_b32_e32 v38, v6
	;; [unrolled: 1-line block ×3, first 2 shown]
	s_or_b32 exec_lo, exec_lo, s3
	s_and_saveexec_b32 s3, s2
	s_cbranch_execz .LBB197_48
.LBB197_67:                             ;   in Loop: Header=BB197_3 Depth=1
	v_add_co_u32 v3, vcc_lo, v110, v49
	v_add_co_ci_u32_e32 v4, vcc_lo, v111, v50, vcc_lo
	v_add_co_u32 v5, vcc_lo, v112, v49
	v_add_co_ci_u32_e32 v6, vcc_lo, v113, v50, vcc_lo
	global_load_u16 v1, v[3:4], off
	global_load_u16 v3, v[5:6], off
	s_waitcnt vmcnt(1)
	v_lshlrev_b32_e32 v34, 16, v1
	s_waitcnt vmcnt(0)
	v_lshlrev_b32_e32 v18, 16, v3
	s_or_b32 exec_lo, exec_lo, s3
	s_and_saveexec_b32 s3, s2
	s_cbranch_execz .LBB197_49
.LBB197_68:                             ;   in Loop: Header=BB197_3 Depth=1
	v_add_co_u32 v3, vcc_lo, v106, v49
	v_add_co_ci_u32_e32 v4, vcc_lo, v107, v50, vcc_lo
	v_add_co_u32 v5, vcc_lo, v108, v49
	v_add_co_ci_u32_e32 v6, vcc_lo, v109, v50, vcc_lo
	global_load_u16 v1, v[3:4], off
	global_load_u16 v3, v[5:6], off
	s_waitcnt vmcnt(1)
	v_lshlrev_b32_e32 v35, 16, v1
	s_waitcnt vmcnt(0)
	v_lshlrev_b32_e32 v19, 16, v3
	s_or_b32 exec_lo, exec_lo, s3
	s_and_saveexec_b32 s3, s2
	s_cbranch_execz .LBB197_50
.LBB197_69:                             ;   in Loop: Header=BB197_3 Depth=1
	v_add_co_u32 v3, vcc_lo, v102, v49
	v_add_co_ci_u32_e32 v4, vcc_lo, v103, v50, vcc_lo
	v_add_co_u32 v5, vcc_lo, v104, v49
	v_add_co_ci_u32_e32 v6, vcc_lo, v105, v50, vcc_lo
	global_load_u16 v1, v[3:4], off
	global_load_u16 v3, v[5:6], off
	s_waitcnt vmcnt(1)
	v_lshlrev_b32_e32 v36, 16, v1
	s_waitcnt vmcnt(0)
	v_lshlrev_b32_e32 v20, 16, v3
	s_or_b32 exec_lo, exec_lo, s3
	s_and_saveexec_b32 s3, s2
	s_cbranch_execz .LBB197_51
.LBB197_70:                             ;   in Loop: Header=BB197_3 Depth=1
	v_add_co_u32 v3, vcc_lo, v98, v49
	v_add_co_ci_u32_e32 v4, vcc_lo, v99, v50, vcc_lo
	v_add_co_u32 v5, vcc_lo, v100, v49
	v_add_co_ci_u32_e32 v6, vcc_lo, v101, v50, vcc_lo
	global_load_u16 v1, v[3:4], off
	global_load_u16 v3, v[5:6], off
	s_waitcnt vmcnt(1)
	v_lshlrev_b32_e32 v37, 16, v1
	s_waitcnt vmcnt(0)
	v_lshlrev_b32_e32 v21, 16, v3
	s_or_b32 exec_lo, exec_lo, s3
	s_and_saveexec_b32 s3, s2
	s_cbranch_execz .LBB197_52
.LBB197_71:                             ;   in Loop: Header=BB197_3 Depth=1
	v_add_co_u32 v3, vcc_lo, v94, v49
	v_add_co_ci_u32_e32 v4, vcc_lo, v95, v50, vcc_lo
	v_add_co_u32 v5, vcc_lo, v96, v49
	v_add_co_ci_u32_e32 v6, vcc_lo, v97, v50, vcc_lo
	global_load_u16 v1, v[3:4], off
	global_load_u16 v3, v[5:6], off
	s_waitcnt vmcnt(1)
	v_lshlrev_b32_e32 v38, 16, v1
	s_waitcnt vmcnt(0)
	v_lshlrev_b32_e32 v22, 16, v3
	s_or_b32 exec_lo, exec_lo, s3
	s_and_saveexec_b32 s3, s2
	s_cbranch_execz .LBB197_53
.LBB197_72:                             ;   in Loop: Header=BB197_3 Depth=1
	v_add_co_u32 v3, vcc_lo, v90, v49
	v_add_co_ci_u32_e32 v4, vcc_lo, v91, v50, vcc_lo
	v_add_co_u32 v5, vcc_lo, v92, v49
	v_add_co_ci_u32_e32 v6, vcc_lo, v93, v50, vcc_lo
	global_load_u16 v1, v[3:4], off
	global_load_u16 v3, v[5:6], off
	s_waitcnt vmcnt(1)
	v_lshlrev_b32_e32 v39, 16, v1
	s_waitcnt vmcnt(0)
	v_lshlrev_b32_e32 v23, 16, v3
	s_or_b32 exec_lo, exec_lo, s3
	s_and_saveexec_b32 s3, s2
	s_cbranch_execz .LBB197_54
.LBB197_73:                             ;   in Loop: Header=BB197_3 Depth=1
	v_add_co_u32 v3, vcc_lo, v86, v49
	v_add_co_ci_u32_e32 v4, vcc_lo, v87, v50, vcc_lo
	v_add_co_u32 v5, vcc_lo, v88, v49
	v_add_co_ci_u32_e32 v6, vcc_lo, v89, v50, vcc_lo
	global_load_u16 v1, v[3:4], off
	global_load_u16 v3, v[5:6], off
	s_waitcnt vmcnt(1)
	v_lshlrev_b32_e32 v40, 16, v1
	s_waitcnt vmcnt(0)
	v_lshlrev_b32_e32 v24, 16, v3
	s_or_b32 exec_lo, exec_lo, s3
	s_and_saveexec_b32 s3, s2
	s_cbranch_execz .LBB197_55
.LBB197_74:                             ;   in Loop: Header=BB197_3 Depth=1
	v_add_co_u32 v3, vcc_lo, v82, v49
	v_add_co_ci_u32_e32 v4, vcc_lo, v83, v50, vcc_lo
	v_add_co_u32 v5, vcc_lo, v84, v49
	v_add_co_ci_u32_e32 v6, vcc_lo, v85, v50, vcc_lo
	global_load_u16 v1, v[3:4], off
	global_load_u16 v3, v[5:6], off
	s_waitcnt vmcnt(1)
	v_lshlrev_b32_e32 v41, 16, v1
	s_waitcnt vmcnt(0)
	v_lshlrev_b32_e32 v25, 16, v3
	s_or_b32 exec_lo, exec_lo, s3
	s_and_saveexec_b32 s3, s2
	s_cbranch_execz .LBB197_56
.LBB197_75:                             ;   in Loop: Header=BB197_3 Depth=1
	v_add_co_u32 v3, vcc_lo, v78, v49
	v_add_co_ci_u32_e32 v4, vcc_lo, v79, v50, vcc_lo
	v_add_co_u32 v5, vcc_lo, v80, v49
	v_add_co_ci_u32_e32 v6, vcc_lo, v81, v50, vcc_lo
	global_load_u16 v1, v[3:4], off
	global_load_u16 v3, v[5:6], off
	s_waitcnt vmcnt(1)
	v_lshlrev_b32_e32 v42, 16, v1
	s_waitcnt vmcnt(0)
	v_lshlrev_b32_e32 v26, 16, v3
	s_or_b32 exec_lo, exec_lo, s3
	s_and_saveexec_b32 s3, s2
	s_cbranch_execz .LBB197_57
.LBB197_76:                             ;   in Loop: Header=BB197_3 Depth=1
	v_add_co_u32 v3, vcc_lo, v74, v49
	v_add_co_ci_u32_e32 v4, vcc_lo, v75, v50, vcc_lo
	v_add_co_u32 v5, vcc_lo, v76, v49
	v_add_co_ci_u32_e32 v6, vcc_lo, v77, v50, vcc_lo
	global_load_u16 v1, v[3:4], off
	global_load_u16 v3, v[5:6], off
	s_waitcnt vmcnt(1)
	v_lshlrev_b32_e32 v43, 16, v1
	s_waitcnt vmcnt(0)
	v_lshlrev_b32_e32 v27, 16, v3
	s_or_b32 exec_lo, exec_lo, s3
	s_and_saveexec_b32 s3, s2
	s_cbranch_execz .LBB197_58
.LBB197_77:                             ;   in Loop: Header=BB197_3 Depth=1
	v_add_co_u32 v3, vcc_lo, v70, v49
	v_add_co_ci_u32_e32 v4, vcc_lo, v71, v50, vcc_lo
	v_add_co_u32 v5, vcc_lo, v72, v49
	v_add_co_ci_u32_e32 v6, vcc_lo, v73, v50, vcc_lo
	global_load_u16 v1, v[3:4], off
	global_load_u16 v3, v[5:6], off
	s_waitcnt vmcnt(1)
	v_lshlrev_b32_e32 v44, 16, v1
	s_waitcnt vmcnt(0)
	v_lshlrev_b32_e32 v28, 16, v3
	s_or_b32 exec_lo, exec_lo, s3
	s_and_saveexec_b32 s3, s2
	s_cbranch_execz .LBB197_59
.LBB197_78:                             ;   in Loop: Header=BB197_3 Depth=1
	v_add_co_u32 v3, vcc_lo, v66, v49
	v_add_co_ci_u32_e32 v4, vcc_lo, v67, v50, vcc_lo
	v_add_co_u32 v5, vcc_lo, v68, v49
	v_add_co_ci_u32_e32 v6, vcc_lo, v69, v50, vcc_lo
	global_load_u16 v1, v[3:4], off
	global_load_u16 v3, v[5:6], off
	s_waitcnt vmcnt(1)
	v_lshlrev_b32_e32 v45, 16, v1
	s_waitcnt vmcnt(0)
	v_lshlrev_b32_e32 v29, 16, v3
	s_or_b32 exec_lo, exec_lo, s3
	s_and_saveexec_b32 s3, s2
	s_cbranch_execz .LBB197_60
.LBB197_79:                             ;   in Loop: Header=BB197_3 Depth=1
	v_add_co_u32 v3, vcc_lo, v62, v49
	v_add_co_ci_u32_e32 v4, vcc_lo, v63, v50, vcc_lo
	v_add_co_u32 v5, vcc_lo, v64, v49
	v_add_co_ci_u32_e32 v6, vcc_lo, v65, v50, vcc_lo
	global_load_u16 v1, v[3:4], off
	global_load_u16 v3, v[5:6], off
	s_waitcnt vmcnt(1)
	v_lshlrev_b32_e32 v46, 16, v1
	s_waitcnt vmcnt(0)
	v_lshlrev_b32_e32 v30, 16, v3
	s_or_b32 exec_lo, exec_lo, s3
	s_and_saveexec_b32 s3, s2
	s_cbranch_execz .LBB197_61
.LBB197_80:                             ;   in Loop: Header=BB197_3 Depth=1
	v_add_co_u32 v3, vcc_lo, v58, v49
	v_add_co_ci_u32_e32 v4, vcc_lo, v59, v50, vcc_lo
	v_add_co_u32 v5, vcc_lo, v60, v49
	v_add_co_ci_u32_e32 v6, vcc_lo, v61, v50, vcc_lo
	global_load_u16 v1, v[3:4], off
	global_load_u16 v3, v[5:6], off
	s_waitcnt vmcnt(1)
	v_lshlrev_b32_e32 v47, 16, v1
	s_waitcnt vmcnt(0)
	v_lshlrev_b32_e32 v31, 16, v3
	s_or_b32 exec_lo, exec_lo, s3
	s_and_saveexec_b32 s3, s2
	s_cbranch_execnz .LBB197_62
	s_branch .LBB197_63
.LBB197_81:
                                        ; implicit-def: $vgpr1
	s_branch .LBB197_83
.LBB197_82:
	s_cbranch_execnz .LBB197_131
.LBB197_83:
	v_mov_b32_e32 v1, 0
	s_and_not1_b32 vcc_lo, exec_lo, s15
	s_cbranch_vccnz .LBB197_131
; %bb.84:
	s_load_b32 s15, s[0:1], 0x44
	v_bfe_u32 v111, v0, 10, 10
	s_add_u32 s2, s0, 64
	s_addc_u32 s3, s1, 0
	v_dual_mov_b32 v178, 0 :: v_dual_and_b32 v173, 0x3ff, v0
	s_delay_alu instid0(VALU_DEP_2)
	v_lshlrev_b32_e32 v1, 5, v111
	v_lshlrev_b32_e32 v112, 4, v111
	s_waitcnt lgkmcnt(0)
	s_lshl_b32 s15, s15, 8
	s_add_u32 s36, s34, 0xff
	s_addc_u32 s37, 0, 0
	s_lshl_b64 s[16:17], s[34:35], 1
	s_delay_alu instid0(SALU_CYCLE_1) | instskip(NEXT) | instid1(VALU_DEP_1)
	v_add_co_u32 v1, s16, v1, s16
	v_add_co_ci_u32_e64 v2, null, 0, s17, s16
	v_add_co_u32 v46, s16, v112, s34
	s_delay_alu instid0(VALU_DEP_3) | instskip(NEXT) | instid1(VALU_DEP_3)
	v_add_co_u32 v3, vcc_lo, v1, 2
	v_add_co_ci_u32_e32 v4, vcc_lo, 0, v2, vcc_lo
	v_add_co_u32 v5, vcc_lo, v1, 4
	v_add_co_ci_u32_e32 v6, vcc_lo, 0, v2, vcc_lo
	;; [unrolled: 2-line block ×13, first 2 shown]
	v_add_co_u32 v42, vcc_lo, v1, 28
	v_mad_u64_u32 v[53:54], null, s6, v7, s[8:9]
	v_mul_lo_u32 v8, s6, v8
	v_mul_lo_u32 v11, s7, v7
	v_mad_u64_u32 v[83:84], null, s6, v7, s[10:11]
	v_add_co_ci_u32_e32 v43, vcc_lo, 0, v2, vcc_lo
	v_mad_u64_u32 v[51:52], null, s6, v5, s[8:9]
	v_mul_lo_u32 v6, s6, v6
	v_mul_lo_u32 v10, s7, v5
	v_add_co_u32 v45, vcc_lo, v1, 30
	v_add_co_ci_u32_e64 v47, null, 0, 0, s16
	v_mad_u64_u32 v[81:82], null, s6, v5, s[10:11]
	v_add_co_ci_u32_e32 v1, vcc_lo, 0, v2, vcc_lo
	v_add_co_u32 v5, vcc_lo, v46, 15
	v_mad_u64_u32 v[49:50], null, s6, v3, s[8:9]
	v_mul_lo_u32 v4, s6, v4
	v_mul_lo_u32 v9, s7, v3
	v_mad_u64_u32 v[79:80], null, s6, v3, s[10:11]
	v_add_co_ci_u32_e32 v3, vcc_lo, 0, v47, vcc_lo
	v_add3_u32 v54, v11, v54, v8
	v_add3_u32 v84, v11, v84, v8
	v_add_co_u32 v8, vcc_lo, v46, 14
	v_add3_u32 v52, v10, v52, v6
	v_add3_u32 v82, v10, v82, v6
	v_add_co_ci_u32_e32 v6, vcc_lo, 0, v47, vcc_lo
	v_add3_u32 v50, v9, v50, v4
	v_add3_u32 v80, v9, v80, v4
	v_mul_lo_u32 v7, s7, v5
	v_mul_lo_u32 v9, s6, v3
	v_mad_u64_u32 v[3:4], null, s6, v5, 0
	v_mul_lo_u32 v10, s7, v8
	v_mul_lo_u32 v11, s6, v6
	v_mad_u64_u32 v[5:6], null, s6, v8, 0
	v_mul_lo_u32 v48, s6, v1
	v_mul_lo_u32 v89, s7, v46
	;; [unrolled: 1-line block ×3, first 2 shown]
	v_mad_u64_u32 v[1:2], null, s6, v46, 0
	v_mad_u64_u32 v[55:56], null, s6, v12, s[8:9]
	v_mul_lo_u32 v13, s6, v13
	v_mul_lo_u32 v16, s7, v12
	v_mad_u64_u32 v[85:86], null, s6, v12, s[10:11]
	v_mad_u64_u32 v[57:58], null, s6, v14, s[8:9]
	v_mul_lo_u32 v15, s6, v15
	v_mul_lo_u32 v18, s7, v14
	v_mad_u64_u32 v[87:88], null, s6, v14, s[10:11]
	v_add_co_u32 v12, vcc_lo, v46, 13
	v_add_co_ci_u32_e32 v8, vcc_lo, 0, v47, vcc_lo
	v_add3_u32 v6, v6, v11, v10
	v_add_co_u32 v11, vcc_lo, v46, 12
	v_mad_u64_u32 v[59:60], null, s6, v17, s[8:9]
	v_mul_lo_u32 v19, s6, v19
	v_mul_lo_u32 v22, s7, v17
	v_add3_u32 v2, v2, v90, v89
	v_mad_u64_u32 v[89:90], null, s6, v17, s[10:11]
	v_mad_u64_u32 v[61:62], null, s6, v20, s[8:9]
	v_mul_lo_u32 v21, s6, v21
	v_mul_lo_u32 v24, s7, v20
	v_mad_u64_u32 v[91:92], null, s6, v20, s[10:11]
	v_add3_u32 v4, v4, v9, v7
	v_add_co_ci_u32_e32 v9, vcc_lo, 0, v47, vcc_lo
	v_add3_u32 v56, v16, v56, v13
	v_add3_u32 v86, v16, v86, v13
	v_add_co_u32 v13, vcc_lo, v46, 11
	v_add3_u32 v58, v18, v58, v15
	v_add3_u32 v88, v18, v88, v15
	v_mul_lo_u32 v17, s7, v12
	v_mul_lo_u32 v18, s6, v8
	v_mad_u64_u32 v[7:8], null, s6, v12, 0
	v_add_co_ci_u32_e32 v12, vcc_lo, 0, v47, vcc_lo
	v_mad_u64_u32 v[63:64], null, s6, v23, s[8:9]
	v_mul_lo_u32 v25, s6, v25
	v_mul_lo_u32 v28, s7, v23
	v_mad_u64_u32 v[93:94], null, s6, v23, s[10:11]
	v_add_co_u32 v15, vcc_lo, v46, 10
	v_add3_u32 v60, v22, v60, v19
	v_add3_u32 v90, v22, v90, v19
	v_mul_lo_u32 v19, s7, v11
	v_mul_lo_u32 v20, s6, v9
	v_mad_u64_u32 v[9:10], null, s6, v11, 0
	v_add3_u32 v62, v24, v62, v21
	v_add3_u32 v92, v24, v92, v21
	v_mul_lo_u32 v21, s7, v13
	v_mul_lo_u32 v22, s6, v12
	v_mad_u64_u32 v[11:12], null, s6, v13, 0
	v_add_co_ci_u32_e32 v13, vcc_lo, 0, v47, vcc_lo
	v_add_co_u32 v24, vcc_lo, v46, 9
	v_add3_u32 v64, v28, v64, v25
	v_add3_u32 v94, v28, v94, v25
	v_mul_lo_u32 v23, s7, v15
	v_mul_lo_u32 v25, s6, v13
	v_mad_u64_u32 v[13:14], null, s6, v15, 0
	v_add_co_ci_u32_e32 v16, vcc_lo, 0, v47, vcc_lo
	v_add3_u32 v10, v10, v20, v19
	v_add_co_u32 v19, vcc_lo, v46, 8
	v_add3_u32 v8, v8, v18, v17
	v_add_co_ci_u32_e32 v17, vcc_lo, 0, v47, vcc_lo
	v_add3_u32 v12, v12, v22, v21
	v_add_co_u32 v21, vcc_lo, v46, 7
	v_mad_u64_u32 v[67:68], null, s6, v30, s[8:9]
	v_mul_lo_u32 v31, s6, v31
	v_mul_lo_u32 v34, s7, v30
	v_mad_u64_u32 v[69:70], null, s6, v32, s[8:9]
	v_mul_lo_u32 v33, s6, v33
	v_mul_lo_u32 v36, s7, v32
	;; [unrolled: 3-line block ×3, first 2 shown]
	v_mad_u64_u32 v[97:98], null, s6, v30, s[10:11]
	v_mad_u64_u32 v[99:100], null, s6, v32, s[10:11]
	;; [unrolled: 1-line block ×3, first 2 shown]
	v_add_co_ci_u32_e32 v20, vcc_lo, 0, v47, vcc_lo
	v_mad_u64_u32 v[65:66], null, s6, v26, s[8:9]
	v_mul_lo_u32 v27, s6, v27
	v_mul_lo_u32 v29, s7, v26
	v_mad_u64_u32 v[95:96], null, s6, v26, s[10:11]
	v_add3_u32 v14, v14, v25, v23
	v_add_co_u32 v23, vcc_lo, v46, 6
	v_add_co_ci_u32_e32 v22, vcc_lo, 0, v47, vcc_lo
	v_add_co_u32 v25, vcc_lo, v46, 5
	v_mad_u64_u32 v[73:74], null, s6, v38, s[8:9]
	v_mul_lo_u32 v39, s6, v39
	v_mul_lo_u32 v41, s7, v38
	v_add3_u32 v68, v34, v68, v31
	v_add3_u32 v70, v36, v70, v33
	v_add3_u32 v72, v40, v72, v37
	v_mad_u64_u32 v[103:104], null, s6, v38, s[10:11]
	v_add3_u32 v98, v34, v98, v31
	v_add3_u32 v100, v36, v100, v33
	;; [unrolled: 1-line block ×3, first 2 shown]
	v_mul_lo_u32 v33, s7, v19
	v_mul_lo_u32 v34, s6, v17
	v_mad_u64_u32 v[17:18], null, s6, v19, 0
	v_mul_lo_u32 v35, s7, v21
	v_mul_lo_u32 v36, s6, v20
	v_mad_u64_u32 v[19:20], null, s6, v21, 0
	;; [unrolled: 3-line block ×3, first 2 shown]
	v_add_co_ci_u32_e32 v23, vcc_lo, 0, v47, vcc_lo
	v_add3_u32 v66, v29, v66, v27
	v_mad_u64_u32 v[75:76], null, s6, v42, s[8:9]
	v_mul_lo_u32 v43, s6, v43
	v_mul_lo_u32 v44, s7, v42
	v_add3_u32 v96, v29, v96, v27
	v_mad_u64_u32 v[105:106], null, s6, v42, s[10:11]
	v_mul_lo_u32 v31, s7, v24
	v_mul_lo_u32 v32, s6, v16
	v_mad_u64_u32 v[15:16], null, s6, v24, 0
	v_add_co_u32 v27, vcc_lo, v46, 4
	v_add_co_ci_u32_e32 v26, vcc_lo, 0, v47, vcc_lo
	v_add_co_u32 v29, vcc_lo, v46, 3
	v_add3_u32 v74, v41, v74, v39
	v_add3_u32 v104, v41, v104, v39
	v_mul_lo_u32 v39, s7, v25
	v_mul_lo_u32 v40, s6, v23
	v_mad_u64_u32 v[23:24], null, s6, v25, 0
	v_mul_lo_u32 v41, s7, v27
	v_mul_lo_u32 v42, s6, v26
	v_mad_u64_u32 v[25:26], null, s6, v27, 0
	v_add_co_ci_u32_e32 v27, vcc_lo, 0, v47, vcc_lo
	v_add3_u32 v76, v44, v76, v43
	v_add3_u32 v106, v44, v106, v43
	v_add_co_u32 v43, vcc_lo, v46, 2
	v_add3_u32 v16, v16, v32, v31
	v_lshlrev_b64 v[31:32], 1, v[1:2]
	v_add_co_ci_u32_e32 v30, vcc_lo, 0, v47, vcc_lo
	v_add_co_u32 v1, vcc_lo, v1, s6
	v_add_co_ci_u32_e32 v2, vcc_lo, s7, v2, vcc_lo
	s_delay_alu instid0(VALU_DEP_4) | instskip(SKIP_4) | instid1(VALU_DEP_4)
	v_add_co_u32 v113, vcc_lo, s8, v31
	v_lshlrev_b64 v[3:4], 1, v[3:4]
	v_add_co_ci_u32_e32 v114, vcc_lo, s9, v32, vcc_lo
	v_add_co_u32 v115, vcc_lo, s10, v31
	v_add_co_ci_u32_e32 v116, vcc_lo, s11, v32, vcc_lo
	v_add_co_u32 v117, vcc_lo, s8, v3
	v_lshlrev_b64 v[5:6], 1, v[5:6]
	v_add_co_ci_u32_e32 v118, vcc_lo, s9, v4, vcc_lo
	v_add_co_u32 v119, vcc_lo, s10, v3
	v_add_co_ci_u32_e32 v120, vcc_lo, s11, v4, vcc_lo
	s_delay_alu instid0(VALU_DEP_4) | instskip(SKIP_4) | instid1(VALU_DEP_4)
	v_add_co_u32 v121, vcc_lo, s8, v5
	v_lshlrev_b64 v[3:4], 1, v[7:8]
	v_add_co_ci_u32_e32 v122, vcc_lo, s9, v6, vcc_lo
	v_add_co_u32 v123, vcc_lo, s10, v5
	v_add_co_ci_u32_e32 v124, vcc_lo, s11, v6, vcc_lo
	v_add_co_u32 v125, vcc_lo, s8, v3
	;; [unrolled: 11-line block ×3, first 2 shown]
	v_lshlrev_b64 v[5:6], 1, v[13:14]
	v_add_co_ci_u32_e32 v134, vcc_lo, s9, v4, vcc_lo
	v_add_co_u32 v135, vcc_lo, s10, v3
	v_add_co_ci_u32_e32 v136, vcc_lo, s11, v4, vcc_lo
	s_delay_alu instid0(VALU_DEP_4)
	v_add_co_u32 v137, vcc_lo, s8, v5
	v_lshlrev_b64 v[3:4], 1, v[15:16]
	v_add3_u32 v18, v18, v34, v33
	v_add_co_ci_u32_e32 v138, vcc_lo, s9, v6, vcc_lo
	v_add_co_u32 v139, vcc_lo, s10, v5
	v_add_co_ci_u32_e32 v140, vcc_lo, s11, v6, vcc_lo
	v_add_co_u32 v141, vcc_lo, s8, v3
	v_lshlrev_b64 v[5:6], 1, v[17:18]
	v_add3_u32 v20, v20, v36, v35
	v_add_co_ci_u32_e32 v142, vcc_lo, s9, v4, vcc_lo
	v_add_co_u32 v143, vcc_lo, s10, v3
	v_add_co_ci_u32_e32 v144, vcc_lo, s11, v4, vcc_lo
	;; [unrolled: 6-line block ×3, first 2 shown]
	v_add_co_u32 v149, vcc_lo, s8, v3
	v_lshlrev_b64 v[5:6], 1, v[21:22]
	v_add3_u32 v24, v24, v40, v39
	v_add_co_ci_u32_e32 v150, vcc_lo, s9, v4, vcc_lo
	v_add_co_u32 v151, vcc_lo, s10, v3
	v_mad_u64_u32 v[77:78], null, s6, v45, s[8:9]
	v_mul_lo_u32 v109, s7, v45
	v_mad_u64_u32 v[107:108], null, s6, v45, s[10:11]
	v_mul_lo_u32 v44, s6, v27
	v_mul_lo_u32 v45, s7, v29
	v_mad_u64_u32 v[27:28], null, s6, v29, 0
	v_add_co_ci_u32_e32 v152, vcc_lo, s11, v4, vcc_lo
	v_add_co_u32 v153, vcc_lo, s8, v5
	v_lshlrev_b64 v[3:4], 1, v[23:24]
	v_add3_u32 v26, v26, v42, v41
	v_add_co_ci_u32_e32 v154, vcc_lo, s9, v6, vcc_lo
	v_add_co_u32 v155, vcc_lo, s10, v5
	v_mul_lo_u32 v46, s6, v30
	v_mul_lo_u32 v47, s7, v43
	v_mad_u64_u32 v[29:30], null, s6, v43, 0
	v_add_co_ci_u32_e32 v156, vcc_lo, s11, v6, vcc_lo
	v_add_co_u32 v157, vcc_lo, s8, v3
	v_lshlrev_b64 v[5:6], 1, v[25:26]
	v_add3_u32 v28, v28, v44, v45
	v_add_co_ci_u32_e32 v158, vcc_lo, s9, v4, vcc_lo
	v_add_co_u32 v159, vcc_lo, s10, v3
	v_add_co_ci_u32_e32 v160, vcc_lo, s11, v4, vcc_lo
	v_add_co_u32 v161, vcc_lo, s8, v5
	v_lshlrev_b64 v[3:4], 1, v[27:28]
	v_add3_u32 v30, v30, v46, v47
	v_add_co_ci_u32_e32 v162, vcc_lo, s9, v6, vcc_lo
	v_add_co_u32 v163, vcc_lo, s10, v5
	v_add_co_ci_u32_e32 v164, vcc_lo, s11, v6, vcc_lo
	v_add_co_u32 v165, vcc_lo, s8, v3
	v_lshlrev_b64 v[5:6], 1, v[29:30]
	v_add_co_ci_u32_e32 v166, vcc_lo, s9, v4, vcc_lo
	v_add_co_u32 v167, vcc_lo, s10, v3
	v_add_co_ci_u32_e32 v168, vcc_lo, s11, v4, vcc_lo
	s_delay_alu instid0(VALU_DEP_4)
	v_add_co_u32 v169, vcc_lo, s8, v5
	v_lshlrev_b64 v[3:4], 1, v[1:2]
	v_mov_b32_e32 v2, 0
	v_add_co_ci_u32_e32 v170, vcc_lo, s9, v6, vcc_lo
	v_add_co_u32 v171, vcc_lo, s10, v5
	v_add_co_ci_u32_e32 v172, vcc_lo, s11, v6, vcc_lo
	v_add_nc_u32_e32 v1, s33, v173
	v_add_co_u32 v174, vcc_lo, s8, v3
	v_add_co_ci_u32_e32 v175, vcc_lo, s9, v4, vcc_lo
	v_add_co_u32 v176, vcc_lo, s10, v3
	v_add3_u32 v78, v109, v78, v48
	v_add3_u32 v108, v109, v108, v48
	s_mul_i32 s8, s7, s15
	s_mul_hi_u32 s9, s6, s15
	v_lshlrev_b64 v[109:110], 1, v[1:2]
	v_add_co_ci_u32_e32 v177, vcc_lo, s11, v4, vcc_lo
	s_add_i32 s9, s9, s8
	s_mul_i32 s8, s6, s15
	s_mov_b32 s16, 0
	s_lshl_b64 s[8:9], s[8:9], 1
.LBB197_85:                             ; =>This Inner Loop Header: Depth=1
	v_cmp_ge_i64_e64 s10, s[36:37], s[4:5]
	v_add_co_u32 v179, s11, v112, s36
	s_delay_alu instid0(VALU_DEP_1) | instskip(NEXT) | instid1(VALU_DEP_3)
	v_add_co_ci_u32_e64 v180, null, 0, s37, s11
	s_and_b32 vcc_lo, exec_lo, s10
	s_cbranch_vccz .LBB197_123
; %bb.86:                               ;   in Loop: Header=BB197_85 Depth=1
	s_load_b32 s10, s[2:3], 0xc
	v_mov_b32_e32 v181, 0
	s_waitcnt lgkmcnt(0)
	s_and_b32 s10, s10, 0xffff
	s_delay_alu instid0(SALU_CYCLE_1) | instskip(SKIP_1) | instid1(VALU_DEP_1)
	v_mad_u32_u24 v1, v111, s10, v173
	s_mov_b32 s10, exec_lo
	v_and_b32_e32 v1, 31, v1
	s_delay_alu instid0(VALU_DEP_1)
	v_cmpx_gt_u32_e32 16, v1
	s_cbranch_execz .LBB197_90
; %bb.87:                               ;   in Loop: Header=BB197_85 Depth=1
	v_add_co_u32 v1, vcc_lo, v179, v1
	v_add_co_ci_u32_e32 v4, vcc_lo, 0, v180, vcc_lo
	v_mov_b32_e32 v181, 0
	s_delay_alu instid0(VALU_DEP_3) | instskip(NEXT) | instid1(VALU_DEP_3)
	v_add_co_u32 v3, vcc_lo, 0xffffff01, v1
	v_add_co_ci_u32_e32 v4, vcc_lo, -1, v4, vcc_lo
	s_mov_b32 s11, exec_lo
	s_delay_alu instid0(VALU_DEP_1)
	v_cmpx_gt_i64_e64 s[4:5], v[3:4]
	s_cbranch_execz .LBB197_89
; %bb.88:                               ;   in Loop: Header=BB197_85 Depth=1
	v_lshlrev_b64 v[3:4], 2, v[3:4]
	s_delay_alu instid0(VALU_DEP_1) | instskip(NEXT) | instid1(VALU_DEP_2)
	v_add_co_u32 v3, vcc_lo, s12, v3
	v_add_co_ci_u32_e32 v4, vcc_lo, s13, v4, vcc_lo
	global_load_b32 v181, v[3:4], off
.LBB197_89:                             ;   in Loop: Header=BB197_85 Depth=1
	s_or_b32 exec_lo, exec_lo, s11
.LBB197_90:                             ;   in Loop: Header=BB197_85 Depth=1
	s_delay_alu instid0(SALU_CYCLE_1)
	s_or_b32 exec_lo, exec_lo, s10
	s_mov_b32 s31, s16
	s_mov_b32 s17, s16
	;; [unrolled: 1-line block ×15, first 2 shown]
	s_delay_alu instid0(SALU_CYCLE_1)
	v_dual_mov_b32 v32, s31 :: v_dual_mov_b32 v31, s30
	v_dual_mov_b32 v30, s29 :: v_dual_mov_b32 v29, s28
	;; [unrolled: 1-line block ×8, first 2 shown]
	v_add_co_u32 v3, vcc_lo, 0xffffff01, v179
	v_dual_mov_b32 v48, v32 :: v_dual_mov_b32 v47, v31
	v_add_co_ci_u32_e32 v4, vcc_lo, -1, v180, vcc_lo
	v_dual_mov_b32 v46, v30 :: v_dual_mov_b32 v45, v29
	v_dual_mov_b32 v44, v28 :: v_dual_mov_b32 v43, v27
	;; [unrolled: 1-line block ×7, first 2 shown]
	s_mov_b32 s10, exec_lo
	v_cmpx_gt_i64_e64 s[4:5], v[3:4]
	s_cbranch_execz .LBB197_92
; %bb.91:                               ;   in Loop: Header=BB197_85 Depth=1
	v_add_co_u32 v3, vcc_lo, v113, v109
	v_add_co_ci_u32_e32 v4, vcc_lo, v114, v110, vcc_lo
	v_add_co_u32 v5, vcc_lo, v115, v109
	v_add_co_ci_u32_e32 v6, vcc_lo, v116, v110, vcc_lo
	v_mov_b32_e32 v16, v2
	global_load_u16 v1, v[3:4], off
	global_load_u16 v17, v[5:6], off
	v_mov_b32_e32 v3, v2
	v_mov_b32_e32 v4, v2
	;; [unrolled: 1-line block ×16, first 2 shown]
	s_waitcnt vmcnt(1)
	v_dual_mov_b32 v32, v2 :: v_dual_lshlrev_b32 v1, 16, v1
	s_waitcnt vmcnt(0)
	v_lshlrev_b32_e32 v17, 16, v17
	v_dual_mov_b32 v19, v2 :: v_dual_mov_b32 v48, v16
	v_dual_mov_b32 v18, v2 :: v_dual_mov_b32 v47, v15
	;; [unrolled: 1-line block ×12, first 2 shown]
	v_mov_b32_e32 v42, v10
	v_mov_b32_e32 v38, v6
	;; [unrolled: 1-line block ×3, first 2 shown]
.LBB197_92:                             ;   in Loop: Header=BB197_85 Depth=1
	s_or_b32 exec_lo, exec_lo, s10
	v_add_co_u32 v3, vcc_lo, 0xffffff02, v179
	v_add_co_ci_u32_e32 v4, vcc_lo, -1, v180, vcc_lo
	s_mov_b32 s10, exec_lo
	s_delay_alu instid0(VALU_DEP_1)
	v_cmpx_gt_i64_e64 s[4:5], v[3:4]
	s_cbranch_execz .LBB197_94
; %bb.93:                               ;   in Loop: Header=BB197_85 Depth=1
	v_add_co_u32 v3, vcc_lo, v174, v109
	v_add_co_ci_u32_e32 v4, vcc_lo, v175, v110, vcc_lo
	v_add_co_u32 v5, vcc_lo, v176, v109
	v_add_co_ci_u32_e32 v6, vcc_lo, v177, v110, vcc_lo
	global_load_u16 v1, v[3:4], off
	global_load_u16 v3, v[5:6], off
	s_waitcnt vmcnt(1)
	v_lshlrev_b32_e32 v34, 16, v1
	s_waitcnt vmcnt(0)
	v_lshlrev_b32_e32 v18, 16, v3
.LBB197_94:                             ;   in Loop: Header=BB197_85 Depth=1
	s_or_b32 exec_lo, exec_lo, s10
	v_add_co_u32 v3, vcc_lo, 0xffffff03, v179
	v_add_co_ci_u32_e32 v4, vcc_lo, -1, v180, vcc_lo
	s_mov_b32 s10, exec_lo
	s_delay_alu instid0(VALU_DEP_1)
	v_cmpx_gt_i64_e64 s[4:5], v[3:4]
	s_cbranch_execz .LBB197_96
; %bb.95:                               ;   in Loop: Header=BB197_85 Depth=1
	v_add_co_u32 v3, vcc_lo, v169, v109
	v_add_co_ci_u32_e32 v4, vcc_lo, v170, v110, vcc_lo
	v_add_co_u32 v5, vcc_lo, v171, v109
	v_add_co_ci_u32_e32 v6, vcc_lo, v172, v110, vcc_lo
	global_load_u16 v1, v[3:4], off
	global_load_u16 v3, v[5:6], off
	s_waitcnt vmcnt(1)
	v_lshlrev_b32_e32 v35, 16, v1
	s_waitcnt vmcnt(0)
	v_lshlrev_b32_e32 v19, 16, v3
.LBB197_96:                             ;   in Loop: Header=BB197_85 Depth=1
	;; [unrolled: 19-line block ×3, first 2 shown]
	s_or_b32 exec_lo, exec_lo, s10
	v_add_co_u32 v3, vcc_lo, 0xffffff05, v179
	v_add_co_ci_u32_e32 v4, vcc_lo, -1, v180, vcc_lo
	s_mov_b32 s10, exec_lo
	s_delay_alu instid0(VALU_DEP_1)
	v_cmpx_gt_i64_e64 s[4:5], v[3:4]
	s_cbranch_execz .LBB197_100
; %bb.99:                               ;   in Loop: Header=BB197_85 Depth=1
	v_add_co_u32 v3, vcc_lo, v161, v109
	v_add_co_ci_u32_e32 v4, vcc_lo, v162, v110, vcc_lo
	v_add_co_u32 v5, vcc_lo, v163, v109
	v_add_co_ci_u32_e32 v6, vcc_lo, v164, v110, vcc_lo
	global_load_u16 v1, v[3:4], off
	global_load_u16 v3, v[5:6], off
	s_waitcnt vmcnt(1)
	v_lshlrev_b32_e32 v37, 16, v1
	s_waitcnt vmcnt(0)
	v_lshlrev_b32_e32 v21, 16, v3
.LBB197_100:                            ;   in Loop: Header=BB197_85 Depth=1
	s_or_b32 exec_lo, exec_lo, s10
	v_add_co_u32 v3, vcc_lo, 0xffffff06, v179
	v_add_co_ci_u32_e32 v4, vcc_lo, -1, v180, vcc_lo
	s_mov_b32 s10, exec_lo
	s_delay_alu instid0(VALU_DEP_1)
	v_cmpx_gt_i64_e64 s[4:5], v[3:4]
	s_cbranch_execz .LBB197_102
; %bb.101:                              ;   in Loop: Header=BB197_85 Depth=1
	v_add_co_u32 v3, vcc_lo, v157, v109
	v_add_co_ci_u32_e32 v4, vcc_lo, v158, v110, vcc_lo
	v_add_co_u32 v5, vcc_lo, v159, v109
	v_add_co_ci_u32_e32 v6, vcc_lo, v160, v110, vcc_lo
	global_load_u16 v1, v[3:4], off
	global_load_u16 v3, v[5:6], off
	s_waitcnt vmcnt(1)
	v_lshlrev_b32_e32 v38, 16, v1
	s_waitcnt vmcnt(0)
	v_lshlrev_b32_e32 v22, 16, v3
.LBB197_102:                            ;   in Loop: Header=BB197_85 Depth=1
	s_or_b32 exec_lo, exec_lo, s10
	v_add_co_u32 v3, vcc_lo, 0xffffff07, v179
	v_add_co_ci_u32_e32 v4, vcc_lo, -1, v180, vcc_lo
	s_mov_b32 s10, exec_lo
	s_delay_alu instid0(VALU_DEP_1)
	v_cmpx_gt_i64_e64 s[4:5], v[3:4]
	s_cbranch_execz .LBB197_104
; %bb.103:                              ;   in Loop: Header=BB197_85 Depth=1
	v_add_co_u32 v3, vcc_lo, v153, v109
	v_add_co_ci_u32_e32 v4, vcc_lo, v154, v110, vcc_lo
	v_add_co_u32 v5, vcc_lo, v155, v109
	v_add_co_ci_u32_e32 v6, vcc_lo, v156, v110, vcc_lo
	global_load_u16 v1, v[3:4], off
	global_load_u16 v3, v[5:6], off
	s_waitcnt vmcnt(1)
	v_lshlrev_b32_e32 v39, 16, v1
	s_waitcnt vmcnt(0)
	v_lshlrev_b32_e32 v23, 16, v3
.LBB197_104:                            ;   in Loop: Header=BB197_85 Depth=1
	;; [unrolled: 19-line block ×11, first 2 shown]
	s_or_b32 exec_lo, exec_lo, s10
	s_waitcnt vmcnt(0)
	ds_bpermute_b32 v1, v2, v181
	ds_bpermute_b32 v3, v2, v181 offset:4
	ds_bpermute_b32 v4, v2, v181 offset:8
	v_mul_f32_e32 v5, v17, v33
	ds_bpermute_b32 v6, v2, v181 offset:12
	v_mul_f32_e32 v7, v18, v34
	ds_bpermute_b32 v8, v2, v181 offset:16
	ds_bpermute_b32 v9, v2, v181 offset:20
	s_waitcnt lgkmcnt(5)
	v_fma_f32 v1, v5, v1, v178
	v_mul_f32_e32 v5, v19, v35
	s_waitcnt lgkmcnt(4)
	s_delay_alu instid0(VALU_DEP_2)
	v_fmac_f32_e32 v1, v7, v3
	v_mul_f32_e32 v3, v20, v36
	ds_bpermute_b32 v7, v2, v181 offset:24
	s_waitcnt lgkmcnt(4)
	v_fmac_f32_e32 v1, v5, v4
	v_mul_f32_e32 v4, v21, v37
	ds_bpermute_b32 v5, v2, v181 offset:28
	s_waitcnt lgkmcnt(4)
	;; [unrolled: 4-line block ×3, first 2 shown]
	v_dual_fmac_f32 v1, v4, v8 :: v_dual_mul_f32 v4, v23, v39
	ds_bpermute_b32 v8, v2, v181 offset:36
	s_waitcnt lgkmcnt(4)
	v_fmac_f32_e32 v1, v3, v9
	v_mul_f32_e32 v3, v24, v40
	ds_bpermute_b32 v9, v2, v181 offset:40
	s_waitcnt lgkmcnt(4)
	v_dual_fmac_f32 v1, v4, v7 :: v_dual_mul_f32 v4, v25, v41
	ds_bpermute_b32 v7, v2, v181 offset:44
	s_waitcnt lgkmcnt(4)
	v_fmac_f32_e32 v1, v3, v5
	v_mul_f32_e32 v3, v26, v42
	ds_bpermute_b32 v5, v2, v181 offset:48
	s_waitcnt lgkmcnt(4)
	;; [unrolled: 7-line block ×3, first 2 shown]
	v_fmac_f32_e32 v1, v4, v9
	s_waitcnt lgkmcnt(3)
	s_delay_alu instid0(VALU_DEP_1)
	v_dual_mul_f32 v4, v29, v45 :: v_dual_fmac_f32 v1, v3, v7
	ds_bpermute_b32 v3, v2, v181 offset:60
	v_mul_f32_e32 v7, v30, v46
	s_waitcnt lgkmcnt(3)
	v_dual_fmac_f32 v1, v4, v5 :: v_dual_mul_f32 v4, v31, v47
	s_waitcnt lgkmcnt(2)
	s_delay_alu instid0(VALU_DEP_1) | instskip(SKIP_1) | instid1(VALU_DEP_1)
	v_fmac_f32_e32 v1, v7, v6
	s_waitcnt lgkmcnt(1)
	v_fmac_f32_e32 v1, v4, v8
	v_mul_f32_e32 v4, v32, v48
	s_waitcnt lgkmcnt(0)
	s_delay_alu instid0(VALU_DEP_1)
	v_fmac_f32_e32 v1, v4, v3
	s_branch .LBB197_129
.LBB197_123:                            ;   in Loop: Header=BB197_85 Depth=1
                                        ; implicit-def: $vgpr1
	s_cbranch_execz .LBB197_129
; %bb.124:                              ;   in Loop: Header=BB197_85 Depth=1
	s_load_b32 s10, s[2:3], 0x0
	s_waitcnt lgkmcnt(0)
	s_cmp_lt_u32 s14, s10
	s_cselect_b32 s10, 12, 18
	s_delay_alu instid0(SALU_CYCLE_1)
	s_add_u32 s10, s2, s10
	s_addc_u32 s11, s3, 0
	global_load_u16 v1, v2, s[10:11]
	s_mov_b32 s10, exec_lo
	s_waitcnt vmcnt(0)
	v_mad_u32_u24 v1, v111, v1, v173
	s_delay_alu instid0(VALU_DEP_1) | instskip(SKIP_1) | instid1(VALU_DEP_2)
	v_and_b32_e32 v3, 31, v1
	v_mov_b32_e32 v1, 0
	v_cmpx_gt_u32_e32 16, v3
	s_cbranch_execz .LBB197_128
; %bb.125:                              ;   in Loop: Header=BB197_85 Depth=1
	v_add_co_u32 v1, vcc_lo, v179, v3
	v_add_co_ci_u32_e32 v4, vcc_lo, 0, v180, vcc_lo
	s_mov_b32 s11, exec_lo
	s_delay_alu instid0(VALU_DEP_2) | instskip(NEXT) | instid1(VALU_DEP_2)
	v_add_co_u32 v3, vcc_lo, 0xffffff01, v1
	v_add_co_ci_u32_e32 v4, vcc_lo, -1, v4, vcc_lo
	v_mov_b32_e32 v1, 0
	s_delay_alu instid0(VALU_DEP_2)
	v_cmpx_gt_i64_e64 s[4:5], v[3:4]
	s_cbranch_execz .LBB197_127
; %bb.126:                              ;   in Loop: Header=BB197_85 Depth=1
	v_lshlrev_b64 v[3:4], 2, v[3:4]
	s_delay_alu instid0(VALU_DEP_1) | instskip(NEXT) | instid1(VALU_DEP_2)
	v_add_co_u32 v3, vcc_lo, s12, v3
	v_add_co_ci_u32_e32 v4, vcc_lo, s13, v4, vcc_lo
	global_load_b32 v1, v[3:4], off
.LBB197_127:                            ;   in Loop: Header=BB197_85 Depth=1
	s_or_b32 exec_lo, exec_lo, s11
.LBB197_128:                            ;   in Loop: Header=BB197_85 Depth=1
	s_delay_alu instid0(SALU_CYCLE_1)
	s_or_b32 exec_lo, exec_lo, s10
	v_add_co_u32 v3, vcc_lo, v113, v109
	v_add_co_ci_u32_e32 v4, vcc_lo, v114, v110, vcc_lo
	global_load_u16 v3, v[3:4], off
	s_waitcnt vmcnt(0)
	v_lshlrev_b32_e32 v7, 16, v3
	v_add_co_u32 v3, vcc_lo, v115, v109
	v_add_co_ci_u32_e32 v4, vcc_lo, v116, v110, vcc_lo
	global_load_u16 v3, v[3:4], off
	s_waitcnt vmcnt(0)
	v_lshlrev_b32_e32 v8, 16, v3
	;; [unrolled: 5-line block ×12, first 2 shown]
	v_add_co_u32 v3, vcc_lo, v59, v109
	v_add_co_ci_u32_e32 v4, vcc_lo, v60, v110, vcc_lo
	v_add_co_u32 v5, vcc_lo, v89, v109
	v_add_co_ci_u32_e32 v6, vcc_lo, v90, v110, vcc_lo
	global_load_u16 v3, v[3:4], off
	global_load_u16 v4, v[5:6], off
	s_waitcnt vmcnt(1)
	v_lshlrev_b32_e32 v20, 16, v3
	v_add_co_u32 v3, vcc_lo, v61, v109
	s_waitcnt vmcnt(0)
	v_lshlrev_b32_e32 v19, 16, v4
	v_add_co_ci_u32_e32 v4, vcc_lo, v62, v110, vcc_lo
	v_add_co_u32 v5, vcc_lo, v91, v109
	v_add_co_ci_u32_e32 v6, vcc_lo, v92, v110, vcc_lo
	global_load_u16 v3, v[3:4], off
	global_load_u16 v4, v[5:6], off
	s_waitcnt vmcnt(1)
	v_lshlrev_b32_e32 v22, 16, v3
	v_add_co_u32 v3, vcc_lo, v63, v109
	s_waitcnt vmcnt(0)
	v_lshlrev_b32_e32 v21, 16, v4
	;; [unrolled: 10-line block ×9, first 2 shown]
	v_add_co_ci_u32_e32 v4, vcc_lo, v78, v110, vcc_lo
	v_add_co_u32 v5, vcc_lo, v107, v109
	v_add_co_ci_u32_e32 v6, vcc_lo, v108, v110, vcc_lo
	global_load_u16 v3, v[3:4], off
	global_load_u16 v4, v[5:6], off
	ds_bpermute_b32 v5, v2, v1
	s_waitcnt vmcnt(1)
	v_lshlrev_b32_e32 v3, 16, v3
	s_waitcnt vmcnt(0)
	v_lshlrev_b32_e32 v4, 16, v4
	s_delay_alu instid0(VALU_DEP_1) | instskip(SKIP_2) | instid1(VALU_DEP_1)
	v_mul_f32_e32 v3, v3, v4
	v_mul_f32_e32 v6, v7, v8
	s_waitcnt lgkmcnt(0)
	v_fmac_f32_e32 v178, v6, v5
	ds_bpermute_b32 v5, v2, v1 offset:4
	v_mul_f32_e32 v6, v9, v10
	s_waitcnt lgkmcnt(0)
	s_delay_alu instid0(VALU_DEP_1) | instskip(SKIP_3) | instid1(VALU_DEP_1)
	v_fmac_f32_e32 v178, v6, v5
	ds_bpermute_b32 v5, v2, v1 offset:8
	v_mul_f32_e32 v6, v11, v12
	s_waitcnt lgkmcnt(0)
	v_fmac_f32_e32 v178, v6, v5
	ds_bpermute_b32 v5, v2, v1 offset:12
	v_mul_f32_e32 v6, v13, v14
	s_waitcnt lgkmcnt(0)
	s_delay_alu instid0(VALU_DEP_1)
	v_fmac_f32_e32 v178, v6, v5
	v_mul_f32_e32 v6, v15, v16
	ds_bpermute_b32 v5, v2, v1 offset:16
	s_waitcnt lgkmcnt(0)
	v_fmac_f32_e32 v178, v6, v5
	ds_bpermute_b32 v5, v2, v1 offset:20
	v_mul_f32_e32 v6, v17, v18
	s_waitcnt lgkmcnt(0)
	s_delay_alu instid0(VALU_DEP_1) | instskip(SKIP_3) | instid1(VALU_DEP_1)
	v_fmac_f32_e32 v178, v6, v5
	ds_bpermute_b32 v5, v2, v1 offset:24
	v_mul_f32_e32 v6, v20, v19
	s_waitcnt lgkmcnt(0)
	v_fmac_f32_e32 v178, v6, v5
	ds_bpermute_b32 v5, v2, v1 offset:28
	v_mul_f32_e32 v6, v22, v21
	s_waitcnt lgkmcnt(0)
	s_delay_alu instid0(VALU_DEP_1) | instskip(SKIP_3) | instid1(VALU_DEP_1)
	v_fmac_f32_e32 v178, v6, v5
	ds_bpermute_b32 v5, v2, v1 offset:32
	v_mul_f32_e32 v6, v24, v23
	;; [unrolled: 9-line block ×4, first 2 shown]
	s_waitcnt lgkmcnt(0)
	v_fmac_f32_e32 v178, v6, v5
	ds_bpermute_b32 v5, v2, v1 offset:52
	v_mul_f32_e32 v6, v34, v33
	s_waitcnt lgkmcnt(0)
	s_delay_alu instid0(VALU_DEP_1) | instskip(SKIP_4) | instid1(VALU_DEP_1)
	v_fmac_f32_e32 v178, v6, v5
	ds_bpermute_b32 v5, v2, v1 offset:56
	ds_bpermute_b32 v1, v2, v1 offset:60
	v_mul_f32_e32 v6, v36, v35
	s_waitcnt lgkmcnt(1)
	v_fmac_f32_e32 v178, v6, v5
	s_waitcnt lgkmcnt(0)
	s_delay_alu instid0(VALU_DEP_1) | instskip(NEXT) | instid1(VALU_DEP_1)
	v_fmac_f32_e32 v178, v3, v1
	v_mov_b32_e32 v1, v178
.LBB197_129:                            ;   in Loop: Header=BB197_85 Depth=1
	v_add_co_u32 v49, vcc_lo, v49, s8
	v_add_co_ci_u32_e32 v50, vcc_lo, s9, v50, vcc_lo
	v_add_co_u32 v51, vcc_lo, v51, s8
	v_add_co_ci_u32_e32 v52, vcc_lo, s9, v52, vcc_lo
	;; [unrolled: 2-line block ×59, first 2 shown]
	v_add_co_u32 v171, vcc_lo, v171, s8
	s_add_u32 s34, s34, s15
	v_add_co_ci_u32_e32 v172, vcc_lo, s9, v172, vcc_lo
	s_addc_u32 s35, s35, 0
	v_add_co_u32 v174, vcc_lo, v174, s8
	v_cmp_ge_i64_e64 s10, s[34:35], s[4:5]
	v_add_co_ci_u32_e32 v175, vcc_lo, s9, v175, vcc_lo
	v_add_co_u32 v176, vcc_lo, v176, s8
	v_add_co_ci_u32_e32 v177, vcc_lo, s9, v177, vcc_lo
	s_add_u32 s36, s36, s15
	s_addc_u32 s37, s37, 0
	s_and_b32 vcc_lo, exec_lo, s10
	s_cbranch_vccnz .LBB197_131
; %bb.130:                              ;   in Loop: Header=BB197_85 Depth=1
	v_mov_b32_e32 v178, v1
	s_branch .LBB197_85
.LBB197_131:
	v_and_b32_e32 v4, 0x3ff, v0
	v_bfe_u32 v0, v0, 10, 10
	s_mov_b32 s15, 0
	s_mov_b32 s2, exec_lo
	s_delay_alu instid0(VALU_DEP_1) | instskip(NEXT) | instid1(VALU_DEP_1)
	v_mad_u32_u24 v2, 0x41, v0, v4
	v_sub_nc_u32_e32 v0, v2, v0
	v_lshl_add_u32 v3, v2, 2, 0
	v_mov_b32_e32 v2, 0
	ds_store_b32 v3, v1
	ds_store_b32 v3, v2 offset:4160
	s_waitcnt lgkmcnt(0)
	s_barrier
	buffer_gl0_inv
	v_cmpx_gt_u32_e32 0x800, v0
	s_cbranch_execz .LBB197_138
; %bb.132:
	v_mbcnt_lo_u32_b32 v5, -1, 0
	v_lshrrev_b32_e32 v3, 5, v0
	s_load_b64 s[8:9], s[0:1], 0x30
	v_and_b32_e32 v1, 31, v4
	v_cmp_ne_u32_e32 vcc_lo, 0, v4
	v_xor_b32_e32 v0, 8, v5
	v_xor_b32_e32 v4, 4, v5
	;; [unrolled: 1-line block ×4, first 2 shown]
	s_lshl_b64 s[4:5], s[14:15], 6
	v_cmp_gt_i32_e64 s1, 32, v0
	v_cmp_gt_u32_e64 s0, 16, v1
	v_mul_u32_u24_e32 v1, 0x104, v1
	v_lshlrev_b32_e32 v9, 1, v3
	s_delay_alu instid0(VALU_DEP_4) | instskip(SKIP_1) | instid1(VALU_DEP_1)
	v_cndmask_b32_e64 v0, v5, v0, s1
	v_cmp_gt_i32_e64 s1, 32, v4
	v_cndmask_b32_e64 v8, v5, v4, s1
	v_cmp_gt_i32_e64 s1, 32, v6
	s_waitcnt lgkmcnt(0)
	s_cmp_eq_u64 s[8:9], 0
	v_lshlrev_b32_e32 v4, 2, v0
	v_lshlrev_b32_e32 v0, 2, v3
	s_cselect_b32 s3, -1, 0
	v_cndmask_b32_e64 v6, v5, v6, s1
	v_cmp_gt_i32_e64 s1, 32, v7
	s_lshl_b64 s[10:11], s[14:15], 7
	s_delay_alu instid0(VALU_DEP_2) | instskip(NEXT) | instid1(VALU_DEP_2)
	v_lshlrev_b32_e32 v6, 2, v6
	v_cndmask_b32_e64 v7, v5, v7, s1
	s_add_u32 s1, s8, s10
	v_lshlrev_b32_e32 v5, 2, v8
	v_add3_u32 v8, v1, v0, 0
	s_addc_u32 s2, s9, s11
	v_add_co_u32 v0, s1, s1, v9
	v_lshlrev_b32_e32 v7, 2, v7
	v_add_co_ci_u32_e64 v1, null, s2, 0, s1
                                        ; implicit-def: $vgpr9
	s_branch .LBB197_134
.LBB197_133:                            ;   in Loop: Header=BB197_134 Depth=1
	s_or_b32 exec_lo, exec_lo, s2
	v_add_co_u32 v3, s1, v3, 32
	s_delay_alu instid0(VALU_DEP_1) | instskip(SKIP_1) | instid1(VALU_DEP_3)
	v_add_co_ci_u32_e64 v2, s1, 0, v2, s1
	v_add_co_u32 v0, s2, v0, 64
	v_subrev_nc_u32_e32 v10, 32, v3
	v_add_nc_u32_e32 v8, 0x80, v8
	v_add_co_ci_u32_e64 v1, s2, 0, v1, s2
	s_delay_alu instid0(VALU_DEP_3) | instskip(NEXT) | instid1(VALU_DEP_1)
	v_cmp_lt_u32_e64 s1, 31, v10
	s_or_b32 s15, s1, s15
	s_delay_alu instid0(SALU_CYCLE_1)
	s_and_not1_b32 exec_lo, exec_lo, s15
	s_cbranch_execz .LBB197_138
.LBB197_134:                            ; =>This Inner Loop Header: Depth=1
	s_and_saveexec_b32 s1, s0
	s_cbranch_execz .LBB197_136
; %bb.135:                              ;   in Loop: Header=BB197_134 Depth=1
	ds_load_b32 v9, v8
.LBB197_136:                            ;   in Loop: Header=BB197_134 Depth=1
	s_or_b32 exec_lo, exec_lo, s1
	s_waitcnt lgkmcnt(0)
	ds_bpermute_b32 v10, v4, v9
	s_waitcnt lgkmcnt(0)
	v_add_f32_e32 v9, v9, v10
	ds_bpermute_b32 v10, v5, v9
	s_waitcnt lgkmcnt(0)
	v_add_f32_e32 v9, v9, v10
	;; [unrolled: 3-line block ×3, first 2 shown]
	v_add_co_u32 v9, s1, s4, v3
	s_delay_alu instid0(VALU_DEP_1) | instskip(SKIP_2) | instid1(VALU_DEP_1)
	v_add_co_ci_u32_e64 v10, s1, s5, v2, s1
	ds_bpermute_b32 v12, v7, v11
	v_cmp_le_i64_e64 s1, s[6:7], v[9:10]
	s_or_b32 s1, vcc_lo, s1
	s_delay_alu instid0(SALU_CYCLE_1) | instskip(NEXT) | instid1(SALU_CYCLE_1)
	s_or_b32 s1, s3, s1
	s_xor_b32 s1, s1, -1
	s_waitcnt lgkmcnt(0)
	v_add_f32_e32 v9, v11, v12
	s_and_saveexec_b32 s2, s1
	s_cbranch_execz .LBB197_133
; %bb.137:                              ;   in Loop: Header=BB197_134 Depth=1
	s_delay_alu instid0(VALU_DEP_1) | instskip(SKIP_1) | instid1(VALU_DEP_2)
	v_bfe_u32 v10, v9, 16, 1
	v_cmp_o_f32_e64 s1, v9, v9
	v_add3_u32 v10, v9, v10, 0x7fff
	s_delay_alu instid0(VALU_DEP_1) | instskip(NEXT) | instid1(VALU_DEP_1)
	v_lshrrev_b32_e32 v10, 16, v10
	v_cndmask_b32_e64 v10, 0x7fc0, v10, s1
	global_store_b16 v[0:1], v10, off
	s_branch .LBB197_133
.LBB197_138:
	s_nop 0
	s_sendmsg sendmsg(MSG_DEALLOC_VGPRS)
	s_endpgm
	.section	.rodata,"a",@progbits
	.p2align	6, 0x0
	.amdhsa_kernel _ZN2at6native12_GLOBAL__N_135GammaBetaBackwardCUDAKernelTemplateIN3c108BFloat16EfLj64ELj16ELj256ELb0ELb0ELb1EEEvllPKT_S7_PKT0_SA_PS5_SB_
		.amdhsa_group_segment_fixed_size 0
		.amdhsa_private_segment_fixed_size 0
		.amdhsa_kernarg_size 320
		.amdhsa_user_sgpr_count 14
		.amdhsa_user_sgpr_dispatch_ptr 0
		.amdhsa_user_sgpr_queue_ptr 0
		.amdhsa_user_sgpr_kernarg_segment_ptr 1
		.amdhsa_user_sgpr_dispatch_id 0
		.amdhsa_user_sgpr_private_segment_size 0
		.amdhsa_wavefront_size32 1
		.amdhsa_uses_dynamic_stack 0
		.amdhsa_enable_private_segment 0
		.amdhsa_system_sgpr_workgroup_id_x 1
		.amdhsa_system_sgpr_workgroup_id_y 1
		.amdhsa_system_sgpr_workgroup_id_z 0
		.amdhsa_system_sgpr_workgroup_info 0
		.amdhsa_system_vgpr_workitem_id 1
		.amdhsa_next_free_vgpr 182
		.amdhsa_next_free_sgpr 45
		.amdhsa_reserve_vcc 1
		.amdhsa_float_round_mode_32 0
		.amdhsa_float_round_mode_16_64 0
		.amdhsa_float_denorm_mode_32 3
		.amdhsa_float_denorm_mode_16_64 3
		.amdhsa_dx10_clamp 1
		.amdhsa_ieee_mode 1
		.amdhsa_fp16_overflow 0
		.amdhsa_workgroup_processor_mode 1
		.amdhsa_memory_ordered 1
		.amdhsa_forward_progress 0
		.amdhsa_shared_vgpr_count 0
		.amdhsa_exception_fp_ieee_invalid_op 0
		.amdhsa_exception_fp_denorm_src 0
		.amdhsa_exception_fp_ieee_div_zero 0
		.amdhsa_exception_fp_ieee_overflow 0
		.amdhsa_exception_fp_ieee_underflow 0
		.amdhsa_exception_fp_ieee_inexact 0
		.amdhsa_exception_int_div_zero 0
	.end_amdhsa_kernel
	.section	.text._ZN2at6native12_GLOBAL__N_135GammaBetaBackwardCUDAKernelTemplateIN3c108BFloat16EfLj64ELj16ELj256ELb0ELb0ELb1EEEvllPKT_S7_PKT0_SA_PS5_SB_,"axG",@progbits,_ZN2at6native12_GLOBAL__N_135GammaBetaBackwardCUDAKernelTemplateIN3c108BFloat16EfLj64ELj16ELj256ELb0ELb0ELb1EEEvllPKT_S7_PKT0_SA_PS5_SB_,comdat
.Lfunc_end197:
	.size	_ZN2at6native12_GLOBAL__N_135GammaBetaBackwardCUDAKernelTemplateIN3c108BFloat16EfLj64ELj16ELj256ELb0ELb0ELb1EEEvllPKT_S7_PKT0_SA_PS5_SB_, .Lfunc_end197-_ZN2at6native12_GLOBAL__N_135GammaBetaBackwardCUDAKernelTemplateIN3c108BFloat16EfLj64ELj16ELj256ELb0ELb0ELb1EEEvllPKT_S7_PKT0_SA_PS5_SB_
                                        ; -- End function
	.section	.AMDGPU.csdata,"",@progbits
; Kernel info:
; codeLenInByte = 14060
; NumSgprs: 47
; NumVgprs: 182
; ScratchSize: 0
; MemoryBound: 0
; FloatMode: 240
; IeeeMode: 1
; LDSByteSize: 0 bytes/workgroup (compile time only)
; SGPRBlocks: 5
; VGPRBlocks: 22
; NumSGPRsForWavesPerEU: 47
; NumVGPRsForWavesPerEU: 182
; Occupancy: 8
; WaveLimiterHint : 0
; COMPUTE_PGM_RSRC2:SCRATCH_EN: 0
; COMPUTE_PGM_RSRC2:USER_SGPR: 14
; COMPUTE_PGM_RSRC2:TRAP_HANDLER: 0
; COMPUTE_PGM_RSRC2:TGID_X_EN: 1
; COMPUTE_PGM_RSRC2:TGID_Y_EN: 1
; COMPUTE_PGM_RSRC2:TGID_Z_EN: 0
; COMPUTE_PGM_RSRC2:TIDIG_COMP_CNT: 1
	.section	.text._ZN2at6native12_GLOBAL__N_135GammaBetaBackwardCUDAKernelTemplateIN3c108BFloat16EfLj32ELj1ELj32ELb1ELb1ELb1EEEvllPKT_S7_PKT0_SA_PS5_SB_,"axG",@progbits,_ZN2at6native12_GLOBAL__N_135GammaBetaBackwardCUDAKernelTemplateIN3c108BFloat16EfLj32ELj1ELj32ELb1ELb1ELb1EEEvllPKT_S7_PKT0_SA_PS5_SB_,comdat
	.globl	_ZN2at6native12_GLOBAL__N_135GammaBetaBackwardCUDAKernelTemplateIN3c108BFloat16EfLj32ELj1ELj32ELb1ELb1ELb1EEEvllPKT_S7_PKT0_SA_PS5_SB_ ; -- Begin function _ZN2at6native12_GLOBAL__N_135GammaBetaBackwardCUDAKernelTemplateIN3c108BFloat16EfLj32ELj1ELj32ELb1ELb1ELb1EEEvllPKT_S7_PKT0_SA_PS5_SB_
	.p2align	8
	.type	_ZN2at6native12_GLOBAL__N_135GammaBetaBackwardCUDAKernelTemplateIN3c108BFloat16EfLj32ELj1ELj32ELb1ELb1ELb1EEEvllPKT_S7_PKT0_SA_PS5_SB_,@function
_ZN2at6native12_GLOBAL__N_135GammaBetaBackwardCUDAKernelTemplateIN3c108BFloat16EfLj32ELj1ELj32ELb1ELb1ELb1EEEvllPKT_S7_PKT0_SA_PS5_SB_: ; @_ZN2at6native12_GLOBAL__N_135GammaBetaBackwardCUDAKernelTemplateIN3c108BFloat16EfLj32ELj1ELj32ELb1ELb1ELb1EEEvllPKT_S7_PKT0_SA_PS5_SB_
; %bb.0:
	s_clause 0x1
	s_load_b128 s[4:7], s[0:1], 0x0
	s_load_b64 s[2:3], s[0:1], 0x30
	s_mov_b32 s13, 0
	s_lshl_b32 s12, s15, 5
	v_mov_b32_e32 v26, 0
	v_bfe_u32 v1, v0, 10, 10
	v_and_b32_e32 v0, 0x3ff, v0
	s_waitcnt lgkmcnt(0)
	v_cmp_ge_i64_e64 s8, s[12:13], s[4:5]
	s_delay_alu instid0(VALU_DEP_1)
	s_and_b32 vcc_lo, exec_lo, s8
	s_cbranch_vccnz .LBB198_5
; %bb.1:
	s_clause 0x3
	s_load_b32 s16, s[0:1], 0x4c
	s_load_b32 s17, s[0:1], 0x44
	s_load_b128 s[8:11], s[0:1], 0x10
	s_load_b64 s[18:19], s[0:1], 0x28
	v_dual_mov_b32 v3, 0 :: v_dual_lshlrev_b32 v4, 5, v1
	v_lshl_or_b32 v2, s14, 5, v0
	v_dual_mov_b32 v8, 4 :: v_dual_mov_b32 v9, 8
	v_dual_mov_b32 v10, 12 :: v_dual_mov_b32 v11, 16
	;; [unrolled: 1-line block ×7, first 2 shown]
	s_waitcnt lgkmcnt(0)
	s_and_b32 s16, s16, 0xffff
	v_dual_mov_b32 v22, 60 :: v_dual_mov_b32 v23, 64
	v_mad_u32_u24 v5, v1, s16, v0
	v_add_co_u32 v40, s16, v4, s12
	s_delay_alu instid0(VALU_DEP_1) | instskip(NEXT) | instid1(VALU_DEP_3)
	v_add_co_ci_u32_e64 v41, null, 0, 0, s16
	v_dual_mov_b32 v25, 0x48 :: v_dual_and_b32 v26, 31, v5
	s_delay_alu instid0(VALU_DEP_3) | instskip(NEXT) | instid1(VALU_DEP_3)
	v_mul_lo_u32 v6, s7, v40
	v_mul_lo_u32 v7, s6, v41
	v_mad_u64_u32 v[4:5], null, s6, v40, 0
	s_lshl_b32 s16, s17, 5
	v_mov_b32_e32 v24, 0x44
	s_mul_i32 s20, s7, s16
	s_mul_hi_u32 s21, s6, s16
	v_mov_b32_e32 v27, 0x4c
	v_mov_b32_e32 v28, 0x50
	s_delay_alu instid0(VALU_DEP_4)
	v_add3_u32 v5, v5, v7, v6
	v_mov_b32_e32 v29, 0x54
	v_mov_b32_e32 v30, 0x58
	;; [unrolled: 1-line block ×4, first 2 shown]
	v_lshlrev_b64 v[6:7], 1, v[4:5]
	v_add_co_u32 v4, vcc_lo, v40, v26
	v_mov_b32_e32 v26, 0
	v_add_co_ci_u32_e32 v5, vcc_lo, 0, v41, vcc_lo
	v_lshlrev_b64 v[40:41], 1, v[2:3]
	v_mov_b32_e32 v33, 0x64
	v_mov_b32_e32 v34, 0x68
	s_delay_alu instid0(VALU_DEP_4)
	v_lshlrev_b64 v[42:43], 2, v[4:5]
	v_mov_b32_e32 v35, 0x6c
	v_mov_b32_e32 v36, 0x70
	v_add_co_u32 v2, vcc_lo, v6, v40
	v_add_co_ci_u32_e32 v40, vcc_lo, v7, v41, vcc_lo
	v_add_co_u32 v6, vcc_lo, s18, v42
	v_mov_b32_e32 v37, 0x74
	v_mov_b32_e32 v38, 0x78
	;; [unrolled: 1-line block ×3, first 2 shown]
	v_add_co_ci_u32_e32 v7, vcc_lo, s19, v43, vcc_lo
	s_mov_b32 s17, s13
	s_add_i32 s21, s21, s20
	s_mul_i32 s20, s6, s16
	s_lshl_b64 s[22:23], s[6:7], 1
	s_lshl_b64 s[18:19], s[20:21], 1
	;; [unrolled: 1-line block ×3, first 2 shown]
	s_branch .LBB198_3
.LBB198_2:                              ;   in Loop: Header=BB198_3 Depth=1
	s_or_b32 exec_lo, exec_lo, s17
	v_add_co_u32 v42, vcc_lo, s8, v2
	v_add_co_ci_u32_e32 v43, vcc_lo, s9, v40, vcc_lo
	v_add_co_u32 v44, vcc_lo, s10, v2
	v_add_co_ci_u32_e32 v45, vcc_lo, s11, v40, vcc_lo
	s_add_u32 s12, s12, s16
	global_load_u16 v52, v[42:43], off
	global_load_u16 v53, v[44:45], off
	v_add_co_u32 v42, vcc_lo, v42, s22
	v_add_co_ci_u32_e32 v43, vcc_lo, s23, v43, vcc_lo
	v_add_co_u32 v44, vcc_lo, v44, s22
	v_add_co_ci_u32_e32 v45, vcc_lo, s23, v45, vcc_lo
	global_load_u16 v54, v[42:43], off
	global_load_u16 v55, v[44:45], off
	v_add_co_u32 v42, vcc_lo, v42, s22
	v_add_co_ci_u32_e32 v43, vcc_lo, s23, v43, vcc_lo
	v_add_co_u32 v44, vcc_lo, v44, s22
	v_add_co_ci_u32_e32 v45, vcc_lo, s23, v45, vcc_lo
	;; [unrolled: 6-line block ×4, first 2 shown]
	global_load_u16 v60, v[42:43], off
	v_add_co_u32 v42, vcc_lo, v42, s22
	v_add_co_ci_u32_e32 v43, vcc_lo, s23, v43, vcc_lo
	v_add_co_u32 v46, vcc_lo, v44, s22
	v_add_co_ci_u32_e32 v47, vcc_lo, s23, v45, vcc_lo
	s_delay_alu instid0(VALU_DEP_4) | instskip(NEXT) | instid1(VALU_DEP_4)
	v_add_co_u32 v48, vcc_lo, v42, s22
	v_add_co_ci_u32_e32 v49, vcc_lo, s23, v43, vcc_lo
	s_delay_alu instid0(VALU_DEP_4) | instskip(NEXT) | instid1(VALU_DEP_4)
	v_add_co_u32 v50, vcc_lo, v46, s22
	v_add_co_ci_u32_e32 v51, vcc_lo, s23, v47, vcc_lo
	global_load_u16 v61, v[44:45], off
	global_load_u16 v62, v[42:43], off
	global_load_u16 v63, v[46:47], off
	global_load_u16 v64, v[48:49], off
	global_load_u16 v65, v[50:51], off
	v_add_co_u32 v42, vcc_lo, v48, s22
	v_add_co_ci_u32_e32 v43, vcc_lo, s23, v49, vcc_lo
	v_add_co_u32 v44, vcc_lo, v50, s22
	v_add_co_ci_u32_e32 v45, vcc_lo, s23, v51, vcc_lo
	global_load_u16 v66, v[42:43], off
	v_add_co_u32 v42, vcc_lo, v42, s22
	v_add_co_ci_u32_e32 v43, vcc_lo, s23, v43, vcc_lo
	v_add_co_u32 v46, vcc_lo, v44, s22
	v_add_co_ci_u32_e32 v47, vcc_lo, s23, v45, vcc_lo
	s_delay_alu instid0(VALU_DEP_4) | instskip(NEXT) | instid1(VALU_DEP_4)
	v_add_co_u32 v48, vcc_lo, v42, s22
	v_add_co_ci_u32_e32 v49, vcc_lo, s23, v43, vcc_lo
	s_delay_alu instid0(VALU_DEP_4) | instskip(NEXT) | instid1(VALU_DEP_4)
	v_add_co_u32 v50, vcc_lo, v46, s22
	v_add_co_ci_u32_e32 v51, vcc_lo, s23, v47, vcc_lo
	global_load_u16 v67, v[44:45], off
	global_load_u16 v68, v[42:43], off
	global_load_u16 v69, v[46:47], off
	global_load_u16 v70, v[48:49], off
	global_load_u16 v71, v[50:51], off
	v_add_co_u32 v42, vcc_lo, v48, s22
	v_add_co_ci_u32_e32 v43, vcc_lo, s23, v49, vcc_lo
	v_add_co_u32 v44, vcc_lo, v50, s22
	v_add_co_ci_u32_e32 v45, vcc_lo, s23, v51, vcc_lo
	;; [unrolled: 20-line block ×6, first 2 shown]
	global_load_u16 v48, v[42:43], off
	v_add_co_u32 v42, vcc_lo, v42, s22
	global_load_u16 v49, v[44:45], off
	v_add_co_ci_u32_e32 v43, vcc_lo, s23, v43, vcc_lo
	v_add_co_u32 v46, vcc_lo, v44, s22
	v_add_co_ci_u32_e32 v47, vcc_lo, s23, v45, vcc_lo
	v_add_co_u32 v44, vcc_lo, v42, s22
	s_delay_alu instid0(VALU_DEP_4) | instskip(SKIP_3) | instid1(SALU_CYCLE_1)
	v_add_co_ci_u32_e32 v45, vcc_lo, s23, v43, vcc_lo
	global_load_u16 v51, v[46:47], off
	global_load_u16 v50, v[42:43], off
	s_addc_u32 s13, s13, 0
	v_cmp_lt_i64_e64 s17, s[12:13], s[4:5]
	s_waitcnt vmcnt(47)
	v_lshlrev_b32_e32 v42, 16, v52
	s_waitcnt vmcnt(46)
	v_lshlrev_b32_e32 v43, 16, v53
	global_load_u16 v52, v[44:45], off
	v_mul_f32_e32 v42, v42, v43
	ds_bpermute_b32 v43, v3, v41
	s_waitcnt lgkmcnt(0)
	v_fmac_f32_e32 v26, v42, v43
	v_add_co_u32 v42, vcc_lo, v46, s22
	v_add_co_ci_u32_e32 v43, vcc_lo, s23, v47, vcc_lo
	v_add_co_u32 v46, vcc_lo, v44, s22
	v_add_co_ci_u32_e32 v47, vcc_lo, s23, v45, vcc_lo
	s_waitcnt vmcnt(45)
	v_lshlrev_b32_e32 v45, 16, v55
	global_load_u16 v53, v[42:43], off
	s_waitcnt vmcnt(4)
	v_lshlrev_b32_e32 v49, 16, v49
	v_lshlrev_b32_e32 v44, 16, v54
	global_load_u16 v54, v[46:47], off
	v_mul_f32_e32 v44, v44, v45
	ds_bpermute_b32 v45, v8, v41
	s_waitcnt vmcnt(4) lgkmcnt(0)
	v_dual_fmac_f32 v26, v44, v45 :: v_dual_lshlrev_b32 v51, 16, v51
	v_add_co_u32 v44, vcc_lo, v42, s22
	v_add_co_ci_u32_e32 v45, vcc_lo, s23, v43, vcc_lo
	v_add_co_u32 v42, vcc_lo, v46, s22
	v_add_co_ci_u32_e32 v43, vcc_lo, s23, v47, vcc_lo
	v_lshlrev_b32_e32 v46, 16, v56
	v_lshlrev_b32_e32 v47, 16, v57
	global_load_u16 v55, v[44:45], off
	global_load_u16 v56, v[42:43], off
	v_mul_f32_e32 v46, v46, v47
	ds_bpermute_b32 v47, v9, v41
	s_waitcnt lgkmcnt(0)
	v_fmac_f32_e32 v26, v46, v47
	v_add_co_u32 v46, vcc_lo, v44, s22
	v_add_co_ci_u32_e32 v47, vcc_lo, s23, v45, vcc_lo
	v_add_co_u32 v44, vcc_lo, v42, s22
	v_add_co_ci_u32_e32 v45, vcc_lo, s23, v43, vcc_lo
	v_lshlrev_b32_e32 v42, 16, v58
	v_lshlrev_b32_e32 v43, 16, v59
	global_load_u16 v57, v[46:47], off
	global_load_u16 v58, v[44:45], off
	v_mul_f32_e32 v42, v42, v43
	ds_bpermute_b32 v43, v10, v41
	s_waitcnt lgkmcnt(0)
	v_fmac_f32_e32 v26, v42, v43
	;; [unrolled: 12-line block ×4, first 2 shown]
	v_add_co_u32 v46, vcc_lo, v44, s22
	v_add_co_ci_u32_e32 v47, vcc_lo, s23, v45, vcc_lo
	v_add_co_u32 v44, vcc_lo, v42, s22
	v_add_co_ci_u32_e32 v45, vcc_lo, s23, v43, vcc_lo
	v_lshlrev_b32_e32 v42, 16, v64
	v_lshlrev_b32_e32 v43, 16, v65
	global_load_u16 v63, v[46:47], off
	v_lshlrev_b32_e32 v65, 16, v69
	v_dual_mul_f32 v42, v42, v43 :: v_dual_lshlrev_b32 v69, 16, v72
	ds_bpermute_b32 v43, v13, v41
	s_waitcnt lgkmcnt(0)
	v_fmac_f32_e32 v26, v42, v43
	v_add_co_u32 v42, vcc_lo, v46, s22
	v_add_co_ci_u32_e32 v43, vcc_lo, s23, v47, vcc_lo
	s_delay_alu instid0(VALU_DEP_2) | instskip(NEXT) | instid1(VALU_DEP_2)
	v_add_co_u32 v46, vcc_lo, v42, s22
	v_add_co_ci_u32_e32 v47, vcc_lo, s23, v43, vcc_lo
	global_load_u16 v64, v[42:43], off
	v_add_co_u32 v42, vcc_lo, v44, s22
	v_add_co_ci_u32_e32 v43, vcc_lo, s23, v45, vcc_lo
	global_load_u16 v44, v[44:45], off
	global_load_u16 v45, v[46:47], off
	;; [unrolled: 1-line block ×3, first 2 shown]
	ds_bpermute_b32 v43, v14, v41
	v_lshlrev_b32_e32 v46, 16, v66
	v_lshlrev_b32_e32 v47, 16, v67
	ds_bpermute_b32 v66, v17, v41
	v_lshlrev_b32_e32 v67, 16, v70
	v_add_co_u32 v2, vcc_lo, v2, s18
	v_mul_f32_e32 v46, v46, v47
	ds_bpermute_b32 v47, v15, v41
	v_add_co_ci_u32_e32 v40, vcc_lo, s19, v40, vcc_lo
	v_add_co_u32 v6, vcc_lo, v6, s20
	v_add_co_ci_u32_e32 v7, vcc_lo, s21, v7, vcc_lo
	v_add_co_u32 v4, vcc_lo, v4, s16
	v_add_co_ci_u32_e32 v5, vcc_lo, 0, v5, vcc_lo
	s_and_b32 vcc_lo, exec_lo, s17
	s_waitcnt lgkmcnt(2)
	v_fmac_f32_e32 v26, v46, v43
	ds_bpermute_b32 v43, v16, v41
	v_lshlrev_b32_e32 v46, 16, v68
	ds_bpermute_b32 v68, v18, v41
	v_dual_mul_f32 v46, v46, v65 :: v_dual_lshlrev_b32 v65, 16, v71
	s_waitcnt lgkmcnt(2)
	s_delay_alu instid0(VALU_DEP_1) | instskip(NEXT) | instid1(VALU_DEP_2)
	v_fmac_f32_e32 v26, v46, v47
	v_mul_f32_e32 v46, v67, v65
	v_lshlrev_b32_e32 v47, 16, v73
	ds_bpermute_b32 v65, v19, v41
	s_waitcnt lgkmcnt(2)
	v_dual_fmac_f32 v26, v46, v43 :: v_dual_lshlrev_b32 v67, 16, v74
	v_mul_f32_e32 v43, v69, v47
	v_lshlrev_b32_e32 v46, 16, v75
	ds_bpermute_b32 v47, v20, v41
	v_dual_fmac_f32 v26, v43, v66 :: v_dual_lshlrev_b32 v69, 16, v76
	v_dual_mul_f32 v43, v67, v46 :: v_dual_lshlrev_b32 v46, 16, v77
	ds_bpermute_b32 v66, v21, v41
	s_waitcnt lgkmcnt(3)
	v_dual_fmac_f32 v26, v43, v68 :: v_dual_lshlrev_b32 v67, 16, v78
	v_dual_mul_f32 v43, v69, v46 :: v_dual_lshlrev_b32 v46, 16, v79
	ds_bpermute_b32 v68, v22, v41
	s_waitcnt lgkmcnt(3)
	;; [unrolled: 4-line block ×10, first 2 shown]
	v_fmac_f32_e32 v26, v43, v65
	v_dual_mul_f32 v43, v67, v46 :: v_dual_lshlrev_b32 v46, 16, v48
	ds_bpermute_b32 v48, v32, v41
	s_waitcnt lgkmcnt(3)
	v_dual_fmac_f32 v26, v43, v47 :: v_dual_mul_f32 v43, v46, v49
	s_waitcnt vmcnt(16)
	v_lshlrev_b32_e32 v46, 16, v50
	ds_bpermute_b32 v47, v33, v41
	s_waitcnt vmcnt(14)
	v_lshlrev_b32_e32 v49, 16, v53
	ds_bpermute_b32 v50, v34, v41
	s_waitcnt lgkmcnt(4)
	v_dual_fmac_f32 v26, v43, v66 :: v_dual_mul_f32 v43, v46, v51
	v_lshlrev_b32_e32 v46, 16, v52
	s_waitcnt lgkmcnt(3)
	s_delay_alu instid0(VALU_DEP_1)
	v_dual_fmac_f32 v26, v43, v68 :: v_dual_mul_f32 v43, v46, v49
	s_waitcnt vmcnt(13)
	v_lshlrev_b32_e32 v46, 16, v54
	ds_bpermute_b32 v49, v35, v41
	s_waitcnt lgkmcnt(3)
	v_fmac_f32_e32 v26, v43, v48
	ds_bpermute_b32 v48, v36, v41
	s_waitcnt vmcnt(12)
	v_lshlrev_b32_e32 v51, 16, v55
	s_waitcnt vmcnt(11)
	s_delay_alu instid0(VALU_DEP_1)
	v_dual_mul_f32 v43, v46, v51 :: v_dual_lshlrev_b32 v46, 16, v56
	s_waitcnt vmcnt(10)
	v_lshlrev_b32_e32 v52, 16, v57
	s_waitcnt vmcnt(8)
	v_lshlrev_b32_e32 v51, 16, v59
	s_waitcnt lgkmcnt(3)
	s_delay_alu instid0(VALU_DEP_2)
	v_dual_fmac_f32 v26, v43, v47 :: v_dual_mul_f32 v43, v46, v52
	v_lshlrev_b32_e32 v46, 16, v58
	ds_bpermute_b32 v47, v37, v41
	s_waitcnt lgkmcnt(3)
	v_dual_fmac_f32 v26, v43, v50 :: v_dual_mul_f32 v43, v46, v51
	s_waitcnt vmcnt(7)
	v_lshlrev_b32_e32 v46, 16, v60
	ds_bpermute_b32 v50, v38, v41
	ds_bpermute_b32 v41, v39, v41
	s_waitcnt vmcnt(6)
	v_lshlrev_b32_e32 v52, 16, v61
	s_waitcnt vmcnt(4) lgkmcnt(4)
	v_dual_fmac_f32 v26, v43, v49 :: v_dual_lshlrev_b32 v51, 16, v63
	s_delay_alu instid0(VALU_DEP_2) | instskip(SKIP_1) | instid1(VALU_DEP_1)
	v_dual_mul_f32 v43, v46, v52 :: v_dual_lshlrev_b32 v46, 16, v62
	s_waitcnt lgkmcnt(3)
	v_dual_fmac_f32 v26, v43, v48 :: v_dual_mul_f32 v43, v46, v51
	s_waitcnt vmcnt(3) lgkmcnt(2)
	s_delay_alu instid0(VALU_DEP_1) | instskip(SKIP_3) | instid1(VALU_DEP_1)
	v_dual_fmac_f32 v26, v43, v47 :: v_dual_lshlrev_b32 v49, 16, v64
	s_waitcnt vmcnt(2)
	v_lshlrev_b32_e32 v44, 16, v44
	s_waitcnt vmcnt(0)
	v_dual_mul_f32 v43, v44, v49 :: v_dual_lshlrev_b32 v42, 16, v42
	s_waitcnt lgkmcnt(1)
	s_delay_alu instid0(VALU_DEP_1) | instskip(NEXT) | instid1(VALU_DEP_1)
	v_dual_fmac_f32 v26, v43, v50 :: v_dual_lshlrev_b32 v45, 16, v45
	v_mul_f32_e32 v42, v42, v45
	s_waitcnt lgkmcnt(0)
	s_delay_alu instid0(VALU_DEP_1)
	v_fmac_f32_e32 v26, v42, v41
	s_cbranch_vccz .LBB198_5
.LBB198_3:                              ; =>This Inner Loop Header: Depth=1
	v_mov_b32_e32 v41, 0
	s_mov_b32 s17, exec_lo
	v_cmpx_gt_i64_e64 s[4:5], v[4:5]
	s_cbranch_execz .LBB198_2
; %bb.4:                                ;   in Loop: Header=BB198_3 Depth=1
	global_load_b32 v41, v[6:7], off
	s_branch .LBB198_2
.LBB198_5:
	s_cmp_eq_u64 s[2:3], 0
	s_cbranch_scc1 .LBB198_7
; %bb.6:
	s_load_b32 s0, s[0:1], 0x4c
	v_mov_b32_e32 v2, 0
	s_waitcnt lgkmcnt(0)
	s_lshr_b32 s0, s0, 16
	s_delay_alu instid0(VALU_DEP_1) | instid1(SALU_CYCLE_1)
	v_mad_u64_u32 v[3:4], null, s0, s15, v[1:2]
	s_mov_b32 s15, 0
	s_delay_alu instid0(SALU_CYCLE_1) | instskip(NEXT) | instid1(SALU_CYCLE_1)
	s_lshl_b64 s[0:1], s[14:15], 6
	s_add_u32 s0, s0, s2
	s_addc_u32 s1, s1, s3
	s_delay_alu instid0(VALU_DEP_1) | instskip(NEXT) | instid1(VALU_DEP_2)
	v_mul_lo_u32 v4, v4, s6
	v_mul_lo_u32 v5, v3, s7
	v_mad_u64_u32 v[1:2], null, v3, s6, 0
	v_bfe_u32 v3, v26, 16, 1
	s_delay_alu instid0(VALU_DEP_1) | instskip(NEXT) | instid1(VALU_DEP_3)
	v_add3_u32 v3, v26, v3, 0x7fff
	v_add3_u32 v2, v2, v5, v4
	v_lshlrev_b32_e32 v4, 1, v0
	s_delay_alu instid0(VALU_DEP_2) | instskip(NEXT) | instid1(VALU_DEP_4)
	v_lshlrev_b64 v[0:1], 1, v[1:2]
	v_lshrrev_b32_e32 v2, 16, v3
	s_delay_alu instid0(VALU_DEP_2) | instskip(NEXT) | instid1(VALU_DEP_3)
	v_add_co_u32 v0, vcc_lo, s0, v0
	v_add_co_ci_u32_e32 v1, vcc_lo, s1, v1, vcc_lo
	v_cmp_o_f32_e32 vcc_lo, v26, v26
	s_delay_alu instid0(VALU_DEP_4) | instskip(NEXT) | instid1(VALU_DEP_4)
	v_cndmask_b32_e32 v2, 0x7fc0, v2, vcc_lo
	v_add_co_u32 v0, vcc_lo, v0, v4
	s_delay_alu instid0(VALU_DEP_4)
	v_add_co_ci_u32_e32 v1, vcc_lo, 0, v1, vcc_lo
	global_store_b16 v[0:1], v2, off
.LBB198_7:
	s_nop 0
	s_sendmsg sendmsg(MSG_DEALLOC_VGPRS)
	s_endpgm
	.section	.rodata,"a",@progbits
	.p2align	6, 0x0
	.amdhsa_kernel _ZN2at6native12_GLOBAL__N_135GammaBetaBackwardCUDAKernelTemplateIN3c108BFloat16EfLj32ELj1ELj32ELb1ELb1ELb1EEEvllPKT_S7_PKT0_SA_PS5_SB_
		.amdhsa_group_segment_fixed_size 0
		.amdhsa_private_segment_fixed_size 0
		.amdhsa_kernarg_size 320
		.amdhsa_user_sgpr_count 14
		.amdhsa_user_sgpr_dispatch_ptr 0
		.amdhsa_user_sgpr_queue_ptr 0
		.amdhsa_user_sgpr_kernarg_segment_ptr 1
		.amdhsa_user_sgpr_dispatch_id 0
		.amdhsa_user_sgpr_private_segment_size 0
		.amdhsa_wavefront_size32 1
		.amdhsa_uses_dynamic_stack 0
		.amdhsa_enable_private_segment 0
		.amdhsa_system_sgpr_workgroup_id_x 1
		.amdhsa_system_sgpr_workgroup_id_y 1
		.amdhsa_system_sgpr_workgroup_id_z 0
		.amdhsa_system_sgpr_workgroup_info 0
		.amdhsa_system_vgpr_workitem_id 1
		.amdhsa_next_free_vgpr 96
		.amdhsa_next_free_sgpr 24
		.amdhsa_reserve_vcc 1
		.amdhsa_float_round_mode_32 0
		.amdhsa_float_round_mode_16_64 0
		.amdhsa_float_denorm_mode_32 3
		.amdhsa_float_denorm_mode_16_64 3
		.amdhsa_dx10_clamp 1
		.amdhsa_ieee_mode 1
		.amdhsa_fp16_overflow 0
		.amdhsa_workgroup_processor_mode 1
		.amdhsa_memory_ordered 1
		.amdhsa_forward_progress 0
		.amdhsa_shared_vgpr_count 0
		.amdhsa_exception_fp_ieee_invalid_op 0
		.amdhsa_exception_fp_denorm_src 0
		.amdhsa_exception_fp_ieee_div_zero 0
		.amdhsa_exception_fp_ieee_overflow 0
		.amdhsa_exception_fp_ieee_underflow 0
		.amdhsa_exception_fp_ieee_inexact 0
		.amdhsa_exception_int_div_zero 0
	.end_amdhsa_kernel
	.section	.text._ZN2at6native12_GLOBAL__N_135GammaBetaBackwardCUDAKernelTemplateIN3c108BFloat16EfLj32ELj1ELj32ELb1ELb1ELb1EEEvllPKT_S7_PKT0_SA_PS5_SB_,"axG",@progbits,_ZN2at6native12_GLOBAL__N_135GammaBetaBackwardCUDAKernelTemplateIN3c108BFloat16EfLj32ELj1ELj32ELb1ELb1ELb1EEEvllPKT_S7_PKT0_SA_PS5_SB_,comdat
.Lfunc_end198:
	.size	_ZN2at6native12_GLOBAL__N_135GammaBetaBackwardCUDAKernelTemplateIN3c108BFloat16EfLj32ELj1ELj32ELb1ELb1ELb1EEEvllPKT_S7_PKT0_SA_PS5_SB_, .Lfunc_end198-_ZN2at6native12_GLOBAL__N_135GammaBetaBackwardCUDAKernelTemplateIN3c108BFloat16EfLj32ELj1ELj32ELb1ELb1ELb1EEEvllPKT_S7_PKT0_SA_PS5_SB_
                                        ; -- End function
	.section	.AMDGPU.csdata,"",@progbits
; Kernel info:
; codeLenInByte = 3124
; NumSgprs: 26
; NumVgprs: 96
; ScratchSize: 0
; MemoryBound: 0
; FloatMode: 240
; IeeeMode: 1
; LDSByteSize: 0 bytes/workgroup (compile time only)
; SGPRBlocks: 3
; VGPRBlocks: 11
; NumSGPRsForWavesPerEU: 26
; NumVGPRsForWavesPerEU: 96
; Occupancy: 16
; WaveLimiterHint : 0
; COMPUTE_PGM_RSRC2:SCRATCH_EN: 0
; COMPUTE_PGM_RSRC2:USER_SGPR: 14
; COMPUTE_PGM_RSRC2:TRAP_HANDLER: 0
; COMPUTE_PGM_RSRC2:TGID_X_EN: 1
; COMPUTE_PGM_RSRC2:TGID_Y_EN: 1
; COMPUTE_PGM_RSRC2:TGID_Z_EN: 0
; COMPUTE_PGM_RSRC2:TIDIG_COMP_CNT: 1
	.section	.text._ZN2at6native12_GLOBAL__N_135GammaBetaBackwardCUDAKernelTemplateIN3c108BFloat16EfLj32ELj1ELj32ELb1ELb0ELb1EEEvllPKT_S7_PKT0_SA_PS5_SB_,"axG",@progbits,_ZN2at6native12_GLOBAL__N_135GammaBetaBackwardCUDAKernelTemplateIN3c108BFloat16EfLj32ELj1ELj32ELb1ELb0ELb1EEEvllPKT_S7_PKT0_SA_PS5_SB_,comdat
	.globl	_ZN2at6native12_GLOBAL__N_135GammaBetaBackwardCUDAKernelTemplateIN3c108BFloat16EfLj32ELj1ELj32ELb1ELb0ELb1EEEvllPKT_S7_PKT0_SA_PS5_SB_ ; -- Begin function _ZN2at6native12_GLOBAL__N_135GammaBetaBackwardCUDAKernelTemplateIN3c108BFloat16EfLj32ELj1ELj32ELb1ELb0ELb1EEEvllPKT_S7_PKT0_SA_PS5_SB_
	.p2align	8
	.type	_ZN2at6native12_GLOBAL__N_135GammaBetaBackwardCUDAKernelTemplateIN3c108BFloat16EfLj32ELj1ELj32ELb1ELb0ELb1EEEvllPKT_S7_PKT0_SA_PS5_SB_,@function
_ZN2at6native12_GLOBAL__N_135GammaBetaBackwardCUDAKernelTemplateIN3c108BFloat16EfLj32ELj1ELj32ELb1ELb0ELb1EEEvllPKT_S7_PKT0_SA_PS5_SB_: ; @_ZN2at6native12_GLOBAL__N_135GammaBetaBackwardCUDAKernelTemplateIN3c108BFloat16EfLj32ELj1ELj32ELb1ELb0ELb1EEEvllPKT_S7_PKT0_SA_PS5_SB_
; %bb.0:
	s_clause 0x1
	s_load_b256 s[16:23], s[0:1], 0x0
	s_load_b64 s[6:7], s[0:1], 0x28
	s_mov_b32 s2, s15
	s_lshl_b32 s15, s14, 5
	s_mov_b32 s9, 0
	s_or_b32 s8, s15, 31
	v_mov_b32_e32 v207, v0
	s_waitcnt lgkmcnt(0)
	v_cmp_ge_i64_e64 s3, s[8:9], s[18:19]
	s_lshl_b32 s8, s2, 5
	s_delay_alu instid0(SALU_CYCLE_1) | instskip(NEXT) | instid1(VALU_DEP_2)
	v_cmp_lt_i64_e64 s26, s[8:9], s[16:17]
	s_and_b32 vcc_lo, exec_lo, s3
	s_delay_alu instid0(VALU_DEP_1) | instskip(NEXT) | instid1(VALU_DEP_1)
	v_cndmask_b32_e64 v0, 0, 1, s26
	v_cmp_ne_u32_e64 s3, 1, v0
	s_cbranch_vccz .LBB199_141
; %bb.1:
	v_mov_b32_e32 v144, 0
	s_delay_alu instid0(VALU_DEP_2)
	s_and_b32 vcc_lo, exec_lo, s3
	s_cbranch_vccnz .LBB199_142
; %bb.2:
	v_bfe_u32 v9, v207, 10, 10
	s_load_b32 s4, s[0:1], 0x44
	v_dual_mov_b32 v2, 0 :: v_dual_and_b32 v11, 0x3ff, v207
	s_add_u32 s10, s0, 64
	s_delay_alu instid0(VALU_DEP_2) | instskip(NEXT) | instid1(VALU_DEP_2)
	v_dual_mov_b32 v139, 0 :: v_dual_lshlrev_b32 v10, 5, v9
	v_dual_mov_b32 v12, v2 :: v_dual_add_nc_u32 v1, s15, v11
	s_addc_u32 s11, s1, 0
	s_delay_alu instid0(VALU_DEP_2) | instskip(NEXT) | instid1(VALU_DEP_1)
	v_add_co_u32 v5, s3, v10, s8
	v_add_co_ci_u32_e64 v6, null, 0, 0, s3
	s_delay_alu instid0(VALU_DEP_3) | instskip(NEXT) | instid1(VALU_DEP_3)
	v_cmp_gt_i64_e64 s3, s[18:19], v[1:2]
	v_add_co_u32 v0, vcc_lo, v5, 31
	s_delay_alu instid0(VALU_DEP_3) | instskip(SKIP_1) | instid1(VALU_DEP_3)
	v_add_co_ci_u32_e32 v3, vcc_lo, 0, v6, vcc_lo
	v_mul_lo_u32 v130, s19, v5
	v_mul_lo_u32 v4, s19, v0
	v_mad_u64_u32 v[7:8], null, s18, v0, 0
	s_delay_alu instid0(VALU_DEP_4) | instskip(SKIP_4) | instid1(VALU_DEP_2)
	v_mul_lo_u32 v3, s18, v3
	v_add_co_u32 v0, vcc_lo, v5, 30
	v_add_co_ci_u32_e32 v13, vcc_lo, 0, v6, vcc_lo
	s_waitcnt lgkmcnt(0)
	s_lshl_b32 s27, s4, 5
	v_mul_lo_u32 v14, s19, v0
	v_mad_u64_u32 v[16:17], null, s18, v0, 0
	v_add3_u32 v8, v8, v3, v4
	v_mul_lo_u32 v15, s18, v13
	v_lshlrev_b64 v[3:4], 1, v[1:2]
	s_mul_i32 s4, s19, s27
	s_mul_hi_u32 s5, s18, s27
	v_lshlrev_b64 v[7:8], 1, v[7:8]
	s_add_i32 s13, s5, s4
	v_mad_u64_u32 v[133:134], null, s18, v5, 0
	s_delay_alu instid0(VALU_DEP_4) | instskip(SKIP_1) | instid1(VALU_DEP_3)
	v_add3_u32 v17, v17, v15, v14
	s_mul_i32 s12, s18, s27
	v_add_co_u32 v1, vcc_lo, s20, v7
	v_add_co_ci_u32_e32 v13, vcc_lo, s21, v8, vcc_lo
	v_add_co_u32 v0, vcc_lo, v5, 29
	v_add_co_u32 v14, s4, s22, v7
	s_delay_alu instid0(VALU_DEP_1)
	v_add_co_ci_u32_e64 v15, s4, s23, v8, s4
	v_lshlrev_b64 v[7:8], 1, v[16:17]
	v_add_co_ci_u32_e32 v16, vcc_lo, 0, v6, vcc_lo
	v_add_co_u32 v17, vcc_lo, v5, 28
	v_add_co_ci_u32_e32 v19, vcc_lo, 0, v6, vcc_lo
	v_mul_lo_u32 v18, s19, v0
	s_delay_alu instid0(VALU_DEP_4)
	v_mul_lo_u32 v24, s18, v16
	v_mad_u64_u32 v[20:21], null, s18, v0, 0
	v_mul_lo_u32 v0, s19, v17
	v_mul_lo_u32 v25, s18, v19
	v_mad_u64_u32 v[22:23], null, s18, v17, 0
	v_add_co_u32 v16, vcc_lo, s20, v7
	v_add_co_ci_u32_e32 v17, vcc_lo, s21, v8, vcc_lo
	v_add3_u32 v21, v21, v24, v18
	v_add_co_u32 v18, vcc_lo, s22, v7
	v_add_co_ci_u32_e32 v19, vcc_lo, s23, v8, vcc_lo
	v_add3_u32 v23, v23, v25, v0
	v_add_co_u32 v0, vcc_lo, v5, 27
	v_add_co_ci_u32_e32 v24, vcc_lo, 0, v6, vcc_lo
	v_lshlrev_b64 v[7:8], 1, v[20:21]
	s_delay_alu instid0(VALU_DEP_3) | instskip(SKIP_1) | instid1(VALU_DEP_4)
	v_mul_lo_u32 v30, s19, v0
	v_mad_u64_u32 v[28:29], null, s18, v0, 0
	v_mul_lo_u32 v31, s18, v24
	v_lshlrev_b64 v[26:27], 1, v[22:23]
	v_add_co_u32 v20, vcc_lo, s20, v7
	v_add_co_ci_u32_e32 v21, vcc_lo, s21, v8, vcc_lo
	v_add_co_u32 v22, vcc_lo, s22, v7
	v_add_co_ci_u32_e32 v23, vcc_lo, s23, v8, vcc_lo
	v_add_co_u32 v24, vcc_lo, s20, v26
	v_add3_u32 v29, v29, v31, v30
	v_add_co_ci_u32_e32 v25, vcc_lo, s21, v27, vcc_lo
	v_add_co_u32 v0, vcc_lo, v5, 26
	s_delay_alu instid0(VALU_DEP_3) | instskip(SKIP_4) | instid1(VALU_DEP_4)
	v_lshlrev_b64 v[7:8], 1, v[28:29]
	v_add_co_ci_u32_e32 v28, vcc_lo, 0, v6, vcc_lo
	v_add_co_u32 v29, vcc_lo, v5, 25
	v_add_co_ci_u32_e32 v31, vcc_lo, 0, v6, vcc_lo
	v_mul_lo_u32 v30, s19, v0
	v_mul_lo_u32 v36, s18, v28
	v_mad_u64_u32 v[32:33], null, s18, v0, 0
	v_mul_lo_u32 v0, s19, v29
	v_mul_lo_u32 v37, s18, v31
	v_mad_u64_u32 v[34:35], null, s18, v29, 0
	v_add_co_u32 v28, vcc_lo, s20, v7
	v_add_co_ci_u32_e32 v29, vcc_lo, s21, v8, vcc_lo
	v_add3_u32 v33, v33, v36, v30
	v_add_co_u32 v30, vcc_lo, s22, v7
	v_add_co_ci_u32_e32 v31, vcc_lo, s23, v8, vcc_lo
	v_add3_u32 v35, v35, v37, v0
	v_add_co_u32 v0, vcc_lo, v5, 24
	v_add_co_ci_u32_e32 v36, vcc_lo, 0, v6, vcc_lo
	v_lshlrev_b64 v[7:8], 1, v[32:33]
	s_delay_alu instid0(VALU_DEP_3) | instskip(SKIP_1) | instid1(VALU_DEP_4)
	v_mul_lo_u32 v42, s19, v0
	v_mad_u64_u32 v[40:41], null, s18, v0, 0
	v_mul_lo_u32 v43, s18, v36
	v_lshlrev_b64 v[38:39], 1, v[34:35]
	v_add_co_u32 v32, vcc_lo, s20, v7
	v_add_co_ci_u32_e32 v33, vcc_lo, s21, v8, vcc_lo
	v_add_co_u32 v34, vcc_lo, s22, v7
	v_add_co_ci_u32_e32 v35, vcc_lo, s23, v8, vcc_lo
	v_add_co_u32 v36, vcc_lo, s20, v38
	v_add3_u32 v41, v41, v43, v42
	v_add_co_ci_u32_e32 v37, vcc_lo, s21, v39, vcc_lo
	v_add_co_u32 v0, vcc_lo, v5, 23
	s_delay_alu instid0(VALU_DEP_3) | instskip(SKIP_4) | instid1(VALU_DEP_4)
	v_lshlrev_b64 v[7:8], 1, v[40:41]
	v_add_co_ci_u32_e32 v40, vcc_lo, 0, v6, vcc_lo
	v_add_co_u32 v41, vcc_lo, v5, 22
	v_add_co_ci_u32_e32 v43, vcc_lo, 0, v6, vcc_lo
	v_mul_lo_u32 v42, s19, v0
	;; [unrolled: 33-line block ×3, first 2 shown]
	v_mul_lo_u32 v60, s18, v52
	v_mad_u64_u32 v[56:57], null, s18, v0, 0
	v_mul_lo_u32 v0, s19, v53
	v_mul_lo_u32 v61, s18, v55
	v_mad_u64_u32 v[58:59], null, s18, v53, 0
	v_add_co_u32 v52, vcc_lo, s20, v7
	v_add_co_ci_u32_e32 v53, vcc_lo, s21, v8, vcc_lo
	v_add3_u32 v57, v57, v60, v54
	v_add_co_u32 v54, vcc_lo, s22, v7
	v_add_co_ci_u32_e32 v55, vcc_lo, s23, v8, vcc_lo
	v_add3_u32 v59, v59, v61, v0
	v_add_co_u32 v0, vcc_lo, v5, 18
	v_add_co_ci_u32_e32 v60, vcc_lo, 0, v6, vcc_lo
	v_lshlrev_b64 v[7:8], 1, v[56:57]
	s_delay_alu instid0(VALU_DEP_3) | instskip(SKIP_1) | instid1(VALU_DEP_4)
	v_mul_lo_u32 v66, s19, v0
	v_mad_u64_u32 v[64:65], null, s18, v0, 0
	v_mul_lo_u32 v67, s18, v60
	v_lshlrev_b64 v[62:63], 1, v[58:59]
	v_add_co_u32 v56, vcc_lo, s20, v7
	v_add_co_ci_u32_e32 v57, vcc_lo, s21, v8, vcc_lo
	v_add_co_u32 v58, vcc_lo, s22, v7
	v_add_co_ci_u32_e32 v59, vcc_lo, s23, v8, vcc_lo
	v_add_co_u32 v60, vcc_lo, s20, v62
	v_add3_u32 v65, v65, v67, v66
	v_add_co_ci_u32_e32 v61, vcc_lo, s21, v63, vcc_lo
	v_add_co_u32 v0, vcc_lo, v5, 17
	s_delay_alu instid0(VALU_DEP_3) | instskip(SKIP_1) | instid1(VALU_DEP_3)
	v_lshlrev_b64 v[7:8], 1, v[64:65]
	v_add_co_ci_u32_e32 v64, vcc_lo, 0, v6, vcc_lo
	v_mul_lo_u32 v66, s19, v0
	v_mad_u64_u32 v[68:69], null, s18, v0, 0
	s_delay_alu instid0(VALU_DEP_3) | instskip(SKIP_3) | instid1(VALU_DEP_3)
	v_mul_lo_u32 v72, s18, v64
	v_add_co_u32 v65, vcc_lo, v5, 16
	v_add_co_ci_u32_e32 v67, vcc_lo, 0, v6, vcc_lo
	v_add_co_u32 v64, vcc_lo, s20, v7
	v_mul_lo_u32 v0, s19, v65
	v_add3_u32 v69, v69, v72, v66
	s_delay_alu instid0(VALU_DEP_4)
	v_mul_lo_u32 v73, s18, v67
	v_mad_u64_u32 v[70:71], null, s18, v65, 0
	v_add_co_ci_u32_e32 v65, vcc_lo, s21, v8, vcc_lo
	v_add_co_u32 v66, vcc_lo, s22, v7
	v_add_co_ci_u32_e32 v67, vcc_lo, s23, v8, vcc_lo
	v_lshlrev_b64 v[7:8], 1, v[68:69]
	v_add_co_u32 v69, vcc_lo, v5, 15
	v_add_co_ci_u32_e32 v72, vcc_lo, 0, v6, vcc_lo
	v_add3_u32 v71, v71, v73, v0
	s_delay_alu instid0(VALU_DEP_3) | instskip(SKIP_1) | instid1(VALU_DEP_4)
	v_mul_lo_u32 v77, s19, v69
	v_mad_u64_u32 v[75:76], null, s18, v69, 0
	v_mul_lo_u32 v78, s18, v72
	v_add_co_u32 v0, vcc_lo, s20, v7
	v_lshlrev_b64 v[73:74], 1, v[70:71]
	v_add_co_ci_u32_e32 v68, vcc_lo, s21, v8, vcc_lo
	v_add_co_u32 v69, vcc_lo, s22, v7
	v_add_co_ci_u32_e32 v70, vcc_lo, s23, v8, vcc_lo
	s_delay_alu instid0(VALU_DEP_4) | instskip(SKIP_3) | instid1(VALU_DEP_3)
	v_add_co_u32 v71, vcc_lo, s20, v73
	v_add3_u32 v76, v76, v78, v77
	v_add_co_ci_u32_e32 v72, vcc_lo, s21, v74, vcc_lo
	v_add_co_u32 v77, vcc_lo, v5, 14
	v_lshlrev_b64 v[7:8], 1, v[75:76]
	v_add_co_ci_u32_e32 v75, vcc_lo, 0, v6, vcc_lo
	v_add_co_u32 v76, vcc_lo, v5, 13
	v_add_co_ci_u32_e32 v81, vcc_lo, 0, v6, vcc_lo
	v_mul_lo_u32 v78, s19, v77
	s_delay_alu instid0(VALU_DEP_4)
	v_mul_lo_u32 v83, s18, v75
	v_mad_u64_u32 v[79:80], null, s18, v77, 0
	v_mul_lo_u32 v84, s19, v76
	v_mul_lo_u32 v85, s18, v81
	v_mad_u64_u32 v[81:82], null, s18, v76, 0
	v_add_co_u32 v75, vcc_lo, s20, v7
	v_add_co_ci_u32_e32 v76, vcc_lo, s21, v8, vcc_lo
	v_add_co_u32 v77, vcc_lo, s22, v7
	v_add3_u32 v80, v80, v83, v78
	v_add_co_ci_u32_e32 v78, vcc_lo, s23, v8, vcc_lo
	v_add_co_u32 v83, vcc_lo, v5, 12
	v_add3_u32 v82, v82, v85, v84
	v_add_co_ci_u32_e32 v84, vcc_lo, 0, v6, vcc_lo
	v_lshlrev_b64 v[7:8], 1, v[79:80]
	s_delay_alu instid0(VALU_DEP_4) | instskip(SKIP_1) | instid1(VALU_DEP_4)
	v_mul_lo_u32 v89, s19, v83
	v_mad_u64_u32 v[87:88], null, s18, v83, 0
	v_mul_lo_u32 v90, s18, v84
	v_lshlrev_b64 v[85:86], 1, v[81:82]
	v_add_co_u32 v79, vcc_lo, s20, v7
	v_add_co_ci_u32_e32 v80, vcc_lo, s21, v8, vcc_lo
	v_add_co_u32 v81, vcc_lo, s22, v7
	v_add_co_ci_u32_e32 v82, vcc_lo, s23, v8, vcc_lo
	v_add_co_u32 v83, vcc_lo, s20, v85
	v_add3_u32 v88, v88, v90, v89
	v_add_co_ci_u32_e32 v84, vcc_lo, s21, v86, vcc_lo
	v_add_co_u32 v89, vcc_lo, v5, 11
	s_delay_alu instid0(VALU_DEP_3) | instskip(SKIP_4) | instid1(VALU_DEP_4)
	v_lshlrev_b64 v[7:8], 1, v[87:88]
	v_add_co_ci_u32_e32 v87, vcc_lo, 0, v6, vcc_lo
	v_add_co_u32 v88, vcc_lo, v5, 10
	v_add_co_ci_u32_e32 v93, vcc_lo, 0, v6, vcc_lo
	v_mul_lo_u32 v90, s19, v89
	v_mul_lo_u32 v95, s18, v87
	v_mad_u64_u32 v[91:92], null, s18, v89, 0
	v_mul_lo_u32 v96, s19, v88
	v_mul_lo_u32 v97, s18, v93
	v_mad_u64_u32 v[93:94], null, s18, v88, 0
	v_add_co_u32 v87, vcc_lo, s20, v7
	v_add_co_ci_u32_e32 v88, vcc_lo, s21, v8, vcc_lo
	v_add_co_u32 v89, vcc_lo, s22, v7
	v_add3_u32 v92, v92, v95, v90
	v_add_co_ci_u32_e32 v90, vcc_lo, s23, v8, vcc_lo
	v_add_co_u32 v95, vcc_lo, v5, 9
	v_add3_u32 v94, v94, v97, v96
	v_add_co_ci_u32_e32 v96, vcc_lo, 0, v6, vcc_lo
	v_lshlrev_b64 v[7:8], 1, v[91:92]
	s_delay_alu instid0(VALU_DEP_4) | instskip(SKIP_1) | instid1(VALU_DEP_4)
	v_mul_lo_u32 v101, s19, v95
	v_mad_u64_u32 v[99:100], null, s18, v95, 0
	v_mul_lo_u32 v102, s18, v96
	v_lshlrev_b64 v[97:98], 1, v[93:94]
	v_add_co_u32 v91, vcc_lo, s20, v7
	v_add_co_ci_u32_e32 v92, vcc_lo, s21, v8, vcc_lo
	v_add_co_u32 v93, vcc_lo, s22, v7
	v_add_co_ci_u32_e32 v94, vcc_lo, s23, v8, vcc_lo
	v_add_co_u32 v95, vcc_lo, s20, v97
	v_add3_u32 v100, v100, v102, v101
	v_add_co_ci_u32_e32 v96, vcc_lo, s21, v98, vcc_lo
	v_add_co_u32 v101, vcc_lo, v5, 8
	s_delay_alu instid0(VALU_DEP_3) | instskip(SKIP_4) | instid1(VALU_DEP_4)
	v_lshlrev_b64 v[7:8], 1, v[99:100]
	v_add_co_ci_u32_e32 v99, vcc_lo, 0, v6, vcc_lo
	v_add_co_u32 v100, vcc_lo, v5, 7
	v_add_co_ci_u32_e32 v105, vcc_lo, 0, v6, vcc_lo
	v_mul_lo_u32 v102, s19, v101
	v_mul_lo_u32 v107, s18, v99
	v_mad_u64_u32 v[103:104], null, s18, v101, 0
	v_mul_lo_u32 v108, s19, v100
	v_mul_lo_u32 v109, s18, v105
	v_mad_u64_u32 v[105:106], null, s18, v100, 0
	v_add_co_u32 v99, vcc_lo, s20, v7
	v_add_co_ci_u32_e32 v100, vcc_lo, s21, v8, vcc_lo
	v_add_co_u32 v101, vcc_lo, s22, v7
	v_add3_u32 v104, v104, v107, v102
	v_add_co_ci_u32_e32 v102, vcc_lo, s23, v8, vcc_lo
	v_add_co_u32 v107, vcc_lo, v5, 6
	v_add3_u32 v106, v106, v109, v108
	v_add_co_ci_u32_e32 v108, vcc_lo, 0, v6, vcc_lo
	v_lshlrev_b64 v[7:8], 1, v[103:104]
	s_delay_alu instid0(VALU_DEP_4) | instskip(SKIP_1) | instid1(VALU_DEP_4)
	v_mul_lo_u32 v113, s19, v107
	v_mad_u64_u32 v[111:112], null, s18, v107, 0
	v_mul_lo_u32 v114, s18, v108
	v_lshlrev_b64 v[109:110], 1, v[105:106]
	v_add_co_u32 v103, vcc_lo, s20, v7
	v_add_co_ci_u32_e32 v104, vcc_lo, s21, v8, vcc_lo
	v_add_co_u32 v105, vcc_lo, s22, v7
	v_add_co_ci_u32_e32 v106, vcc_lo, s23, v8, vcc_lo
	v_add_co_u32 v107, vcc_lo, s20, v109
	v_add3_u32 v112, v112, v114, v113
	v_add_co_ci_u32_e32 v108, vcc_lo, s21, v110, vcc_lo
	v_add_co_u32 v113, vcc_lo, v5, 5
	s_delay_alu instid0(VALU_DEP_3) | instskip(SKIP_2) | instid1(VALU_DEP_4)
	v_lshlrev_b64 v[7:8], 1, v[111:112]
	v_add_co_ci_u32_e32 v111, vcc_lo, 0, v6, vcc_lo
	v_add_co_u32 v112, vcc_lo, v5, 4
	v_mul_lo_u32 v114, s19, v113
	s_delay_alu instid0(VALU_DEP_3) | instskip(SKIP_4) | instid1(VALU_DEP_3)
	v_mul_lo_u32 v119, s18, v111
	v_mad_u64_u32 v[115:116], null, s18, v113, 0
	v_add_co_ci_u32_e32 v117, vcc_lo, 0, v6, vcc_lo
	v_mul_lo_u32 v120, s19, v112
	v_add_co_u32 v111, vcc_lo, s20, v7
	v_mul_lo_u32 v121, s18, v117
	v_mad_u64_u32 v[117:118], null, s18, v112, 0
	v_add3_u32 v116, v116, v119, v114
	v_add_co_ci_u32_e32 v112, vcc_lo, s21, v8, vcc_lo
	v_add_co_u32 v113, vcc_lo, s22, v7
	v_add_co_ci_u32_e32 v114, vcc_lo, s23, v8, vcc_lo
	s_delay_alu instid0(VALU_DEP_4) | instskip(SKIP_3) | instid1(VALU_DEP_4)
	v_lshlrev_b64 v[7:8], 1, v[115:116]
	v_add_co_u32 v119, vcc_lo, v5, 3
	v_add3_u32 v118, v118, v121, v120
	v_add_co_ci_u32_e32 v120, vcc_lo, 0, v6, vcc_lo
	v_add_co_u32 v115, vcc_lo, s20, v7
	s_delay_alu instid0(VALU_DEP_3) | instskip(SKIP_1) | instid1(VALU_DEP_4)
	v_lshlrev_b64 v[121:122], 1, v[117:118]
	v_mul_lo_u32 v125, s19, v119
	v_mul_lo_u32 v126, s18, v120
	v_mad_u64_u32 v[123:124], null, s18, v119, 0
	v_add_co_ci_u32_e32 v116, vcc_lo, s21, v8, vcc_lo
	v_add_co_u32 v117, vcc_lo, s22, v7
	v_add_co_ci_u32_e32 v118, vcc_lo, s23, v8, vcc_lo
	v_add_co_u32 v119, vcc_lo, s20, v121
	v_add_co_ci_u32_e32 v120, vcc_lo, s21, v122, vcc_lo
	v_add3_u32 v124, v124, v126, v125
	v_add_co_u32 v125, vcc_lo, v5, 2
	v_add_co_ci_u32_e32 v126, vcc_lo, 0, v6, vcc_lo
	s_delay_alu instid0(VALU_DEP_3) | instskip(NEXT) | instid1(VALU_DEP_3)
	v_lshlrev_b64 v[7:8], 1, v[123:124]
	v_mul_lo_u32 v129, s19, v125
	v_mad_u64_u32 v[127:128], null, s18, v125, 0
	s_delay_alu instid0(VALU_DEP_4)
	v_mul_lo_u32 v126, s18, v126
	v_mul_lo_u32 v6, s18, v6
	v_add_co_u32 v121, vcc_lo, s22, v121
	v_add_co_ci_u32_e32 v122, vcc_lo, s23, v122, vcc_lo
	v_add_co_u32 v123, vcc_lo, s20, v7
	v_add_co_ci_u32_e32 v124, vcc_lo, s21, v8, vcc_lo
	v_add3_u32 v128, v128, v126, v129
	v_add_co_u32 v125, vcc_lo, s22, v7
	v_add3_u32 v134, v134, v6, v130
	v_add_co_ci_u32_e32 v126, vcc_lo, s23, v8, vcc_lo
	v_add_co_u32 v7, vcc_lo, v133, s18
	v_add_co_u32 v26, s4, s22, v26
	v_lshlrev_b64 v[5:6], 1, v[127:128]
	v_add_co_ci_u32_e32 v8, vcc_lo, s19, v134, vcc_lo
	v_add_co_ci_u32_e64 v27, s4, s23, v27, s4
	v_add_co_u32 v38, s4, s22, v38
	s_delay_alu instid0(VALU_DEP_1)
	v_add_co_ci_u32_e64 v39, s4, s23, v39, s4
	v_add_co_u32 v50, s4, s22, v50
	v_add_co_u32 v127, vcc_lo, s20, v5
	v_lshlrev_b64 v[7:8], 1, v[7:8]
	v_add_co_ci_u32_e64 v51, s4, s23, v51, s4
	v_add_co_ci_u32_e32 v128, vcc_lo, s21, v6, vcc_lo
	v_add_co_u32 v62, s4, s22, v62
	v_add_co_u32 v129, vcc_lo, s22, v5
	v_add_co_ci_u32_e64 v63, s4, s23, v63, s4
	v_add_co_ci_u32_e32 v130, vcc_lo, s23, v6, vcc_lo
	v_add_co_u32 v73, s4, s22, v73
	v_add_co_u32 v131, vcc_lo, s20, v7
	v_lshlrev_b64 v[5:6], 1, v[133:134]
	v_add_co_ci_u32_e64 v74, s4, s23, v74, s4
	v_add_co_ci_u32_e32 v132, vcc_lo, s21, v8, vcc_lo
	v_add_co_u32 v85, s4, s22, v85
	v_add_co_u32 v133, vcc_lo, s22, v7
	v_add_co_ci_u32_e64 v86, s4, s23, v86, s4
	v_add_co_ci_u32_e32 v134, vcc_lo, s23, v8, vcc_lo
	v_add_co_u32 v97, s4, s22, v97
	v_add_co_u32 v135, vcc_lo, s20, v5
	v_add_co_ci_u32_e64 v98, s4, s23, v98, s4
	v_add_co_ci_u32_e32 v136, vcc_lo, s21, v6, vcc_lo
	v_add_co_u32 v109, s4, s22, v109
	v_add_co_u32 v137, vcc_lo, s22, v5
	v_add_co_ci_u32_e64 v110, s4, s23, v110, s4
	v_add_co_ci_u32_e32 v138, vcc_lo, s23, v6, vcc_lo
	s_mov_b64 s[4:5], 31
	s_lshl_b64 s[12:13], s[12:13], 1
	s_mov_b64 s[24:25], s[8:9]
.LBB199_3:                              ; =>This Inner Loop Header: Depth=1
	s_add_u32 s28, s8, s4
	s_addc_u32 s29, 0, s5
	v_add_co_u32 v5, vcc_lo, s8, v10
	v_cmp_ge_i64_e64 s28, s[28:29], s[16:17]
	v_add_co_ci_u32_e32 v6, vcc_lo, 0, v12, vcc_lo
	s_delay_alu instid0(VALU_DEP_2)
	s_and_b32 vcc_lo, exec_lo, s28
	s_cbranch_vccz .LBB199_71
; %bb.4:                                ;   in Loop: Header=BB199_3 Depth=1
	s_load_b32 s28, s[10:11], 0xc
	v_dual_mov_b32 v141, 0 :: v_dual_mov_b32 v140, 0
	s_waitcnt lgkmcnt(0)
	s_and_b32 s28, s28, 0xffff
	s_delay_alu instid0(SALU_CYCLE_1) | instskip(SKIP_1) | instid1(VALU_DEP_1)
	v_mad_u32_u24 v7, v9, s28, v11
	s_mov_b32 s28, exec_lo
	v_and_b32_e32 v7, 31, v7
	s_delay_alu instid0(VALU_DEP_1) | instskip(SKIP_1) | instid1(VALU_DEP_1)
	v_add_co_u32 v7, vcc_lo, v5, v7
	v_add_co_ci_u32_e32 v8, vcc_lo, 0, v6, vcc_lo
	v_cmpx_gt_i64_e64 s[16:17], v[7:8]
	s_cbranch_execz .LBB199_6
; %bb.5:                                ;   in Loop: Header=BB199_3 Depth=1
	v_lshlrev_b64 v[7:8], 2, v[7:8]
	s_delay_alu instid0(VALU_DEP_1) | instskip(NEXT) | instid1(VALU_DEP_2)
	v_add_co_u32 v7, vcc_lo, s6, v7
	v_add_co_ci_u32_e32 v8, vcc_lo, s7, v8, vcc_lo
	global_load_b32 v140, v[7:8], off
.LBB199_6:                              ;   in Loop: Header=BB199_3 Depth=1
	s_or_b32 exec_lo, exec_lo, s28
	v_cmp_gt_i64_e32 vcc_lo, s[16:17], v[5:6]
	v_mov_b32_e32 v7, 0
	s_and_b32 s29, s3, vcc_lo
	s_delay_alu instid0(SALU_CYCLE_1)
	s_and_saveexec_b32 s28, s29
	s_cbranch_execz .LBB199_8
; %bb.7:                                ;   in Loop: Header=BB199_3 Depth=1
	v_add_co_u32 v7, vcc_lo, v135, v3
	v_add_co_ci_u32_e32 v8, vcc_lo, v136, v4, vcc_lo
	v_add_co_u32 v141, vcc_lo, v137, v3
	v_add_co_ci_u32_e32 v142, vcc_lo, v138, v4, vcc_lo
	global_load_u16 v7, v[7:8], off
	global_load_u16 v8, v[141:142], off
	s_waitcnt vmcnt(1)
	v_lshlrev_b32_e32 v141, 16, v7
	s_waitcnt vmcnt(0)
	v_lshlrev_b32_e32 v7, 16, v8
.LBB199_8:                              ;   in Loop: Header=BB199_3 Depth=1
	s_or_b32 exec_lo, exec_lo, s28
	v_add_co_u32 v142, vcc_lo, v5, 1
	v_add_co_ci_u32_e32 v143, vcc_lo, 0, v6, vcc_lo
	v_mov_b32_e32 v8, 0
	s_delay_alu instid0(VALU_DEP_2) | instskip(SKIP_2) | instid1(SALU_CYCLE_1)
	v_cmp_gt_i64_e32 vcc_lo, s[16:17], v[142:143]
	v_dual_mov_b32 v143, 0 :: v_dual_mov_b32 v142, 0
	s_and_b32 s29, s3, vcc_lo
	s_and_saveexec_b32 s28, s29
	s_cbranch_execz .LBB199_10
; %bb.9:                                ;   in Loop: Header=BB199_3 Depth=1
	v_add_co_u32 v142, vcc_lo, v131, v3
	v_add_co_ci_u32_e32 v143, vcc_lo, v132, v4, vcc_lo
	v_add_co_u32 v144, vcc_lo, v133, v3
	v_add_co_ci_u32_e32 v145, vcc_lo, v134, v4, vcc_lo
	global_load_u16 v142, v[142:143], off
	global_load_u16 v143, v[144:145], off
	s_waitcnt vmcnt(1)
	v_lshlrev_b32_e32 v142, 16, v142
	s_waitcnt vmcnt(0)
	v_lshlrev_b32_e32 v143, 16, v143
.LBB199_10:                             ;   in Loop: Header=BB199_3 Depth=1
	s_or_b32 exec_lo, exec_lo, s28
	v_add_co_u32 v144, vcc_lo, v5, 2
	v_add_co_ci_u32_e32 v145, vcc_lo, 0, v6, vcc_lo
	s_delay_alu instid0(VALU_DEP_1) | instskip(SKIP_2) | instid1(SALU_CYCLE_1)
	v_cmp_gt_i64_e32 vcc_lo, s[16:17], v[144:145]
	v_mov_b32_e32 v145, 0
	s_and_b32 s29, s3, vcc_lo
	s_and_saveexec_b32 s28, s29
	s_cbranch_execz .LBB199_12
; %bb.11:                               ;   in Loop: Header=BB199_3 Depth=1
	v_add_co_u32 v144, vcc_lo, v127, v3
	v_add_co_ci_u32_e32 v145, vcc_lo, v128, v4, vcc_lo
	v_add_co_u32 v146, vcc_lo, v129, v3
	v_add_co_ci_u32_e32 v147, vcc_lo, v130, v4, vcc_lo
	global_load_u16 v8, v[144:145], off
	global_load_u16 v144, v[146:147], off
	s_waitcnt vmcnt(1)
	v_lshlrev_b32_e32 v8, 16, v8
	s_waitcnt vmcnt(0)
	v_lshlrev_b32_e32 v145, 16, v144
.LBB199_12:                             ;   in Loop: Header=BB199_3 Depth=1
	s_or_b32 exec_lo, exec_lo, s28
	v_add_co_u32 v146, vcc_lo, v5, 3
	v_add_co_ci_u32_e32 v147, vcc_lo, 0, v6, vcc_lo
	v_mov_b32_e32 v148, 0
	s_delay_alu instid0(VALU_DEP_2) | instskip(SKIP_2) | instid1(SALU_CYCLE_1)
	v_cmp_gt_i64_e32 vcc_lo, s[16:17], v[146:147]
	v_dual_mov_b32 v146, 0 :: v_dual_mov_b32 v147, 0
	s_and_b32 s29, s3, vcc_lo
	s_and_saveexec_b32 s28, s29
	s_cbranch_execz .LBB199_14
; %bb.13:                               ;   in Loop: Header=BB199_3 Depth=1
	v_add_co_u32 v147, vcc_lo, v123, v3
	v_add_co_ci_u32_e32 v148, vcc_lo, v124, v4, vcc_lo
	v_add_co_u32 v149, vcc_lo, v125, v3
	v_add_co_ci_u32_e32 v150, vcc_lo, v126, v4, vcc_lo
	global_load_u16 v144, v[147:148], off
	global_load_u16 v148, v[149:150], off
	s_waitcnt vmcnt(1)
	v_lshlrev_b32_e32 v147, 16, v144
	s_waitcnt vmcnt(0)
	v_lshlrev_b32_e32 v148, 16, v148
.LBB199_14:                             ;   in Loop: Header=BB199_3 Depth=1
	s_or_b32 exec_lo, exec_lo, s28
	v_add_co_u32 v149, vcc_lo, v5, 4
	v_add_co_ci_u32_e32 v150, vcc_lo, 0, v6, vcc_lo
	s_delay_alu instid0(VALU_DEP_1) | instskip(SKIP_2) | instid1(SALU_CYCLE_1)
	v_cmp_gt_i64_e32 vcc_lo, s[16:17], v[149:150]
	v_mov_b32_e32 v149, 0
	s_and_b32 s29, s3, vcc_lo
	s_and_saveexec_b32 s28, s29
	s_cbranch_execz .LBB199_16
; %bb.15:                               ;   in Loop: Header=BB199_3 Depth=1
	v_add_co_u32 v149, vcc_lo, v119, v3
	v_add_co_ci_u32_e32 v150, vcc_lo, v120, v4, vcc_lo
	v_add_co_u32 v151, vcc_lo, v121, v3
	v_add_co_ci_u32_e32 v152, vcc_lo, v122, v4, vcc_lo
	global_load_u16 v144, v[149:150], off
	global_load_u16 v149, v[151:152], off
	s_waitcnt vmcnt(1)
	v_lshlrev_b32_e32 v146, 16, v144
	s_waitcnt vmcnt(0)
	v_lshlrev_b32_e32 v149, 16, v149
.LBB199_16:                             ;   in Loop: Header=BB199_3 Depth=1
	s_or_b32 exec_lo, exec_lo, s28
	v_add_co_u32 v150, vcc_lo, v5, 5
	v_add_co_ci_u32_e32 v151, vcc_lo, 0, v6, vcc_lo
	v_mov_b32_e32 v152, 0
	s_delay_alu instid0(VALU_DEP_2) | instskip(SKIP_2) | instid1(SALU_CYCLE_1)
	v_cmp_gt_i64_e32 vcc_lo, s[16:17], v[150:151]
	v_dual_mov_b32 v150, 0 :: v_dual_mov_b32 v151, 0
	s_and_b32 s29, s3, vcc_lo
	s_and_saveexec_b32 s28, s29
	s_cbranch_execz .LBB199_18
; %bb.17:                               ;   in Loop: Header=BB199_3 Depth=1
	v_add_co_u32 v151, vcc_lo, v115, v3
	v_add_co_ci_u32_e32 v152, vcc_lo, v116, v4, vcc_lo
	v_add_co_u32 v153, vcc_lo, v117, v3
	v_add_co_ci_u32_e32 v154, vcc_lo, v118, v4, vcc_lo
	global_load_u16 v144, v[151:152], off
	global_load_u16 v152, v[153:154], off
	s_waitcnt vmcnt(1)
	v_lshlrev_b32_e32 v151, 16, v144
	s_waitcnt vmcnt(0)
	v_lshlrev_b32_e32 v152, 16, v152
.LBB199_18:                             ;   in Loop: Header=BB199_3 Depth=1
	;; [unrolled: 43-line block ×14, first 2 shown]
	s_or_b32 exec_lo, exec_lo, s28
	v_add_co_u32 v202, vcc_lo, v5, 30
	v_add_co_ci_u32_e32 v203, vcc_lo, 0, v6, vcc_lo
	s_delay_alu instid0(VALU_DEP_1) | instskip(SKIP_2) | instid1(SALU_CYCLE_1)
	v_cmp_gt_i64_e32 vcc_lo, s[16:17], v[202:203]
	v_mov_b32_e32 v202, 0
	s_and_b32 s29, s3, vcc_lo
	s_and_saveexec_b32 s28, s29
	s_cbranch_execz .LBB199_68
; %bb.67:                               ;   in Loop: Header=BB199_3 Depth=1
	v_add_co_u32 v202, vcc_lo, v16, v3
	v_add_co_ci_u32_e32 v203, vcc_lo, v17, v4, vcc_lo
	v_add_co_u32 v204, vcc_lo, v18, v3
	v_add_co_ci_u32_e32 v205, vcc_lo, v19, v4, vcc_lo
	global_load_u16 v144, v[202:203], off
	global_load_u16 v189, v[204:205], off
	s_waitcnt vmcnt(1)
	v_lshlrev_b32_e32 v199, 16, v144
	s_waitcnt vmcnt(0)
	v_lshlrev_b32_e32 v202, 16, v189
.LBB199_68:                             ;   in Loop: Header=BB199_3 Depth=1
	s_or_b32 exec_lo, exec_lo, s28
	v_add_co_u32 v203, vcc_lo, v5, 31
	v_add_co_ci_u32_e32 v204, vcc_lo, 0, v6, vcc_lo
	v_mov_b32_e32 v189, 0
	s_delay_alu instid0(VALU_DEP_2) | instskip(SKIP_1) | instid1(SALU_CYCLE_1)
	v_cmp_gt_i64_e32 vcc_lo, s[16:17], v[203:204]
	s_and_b32 s29, s3, vcc_lo
	s_and_saveexec_b32 s28, s29
	s_cbranch_execz .LBB199_70
; %bb.69:                               ;   in Loop: Header=BB199_3 Depth=1
	v_add_co_u32 v203, vcc_lo, v14, v3
	v_add_co_ci_u32_e32 v204, vcc_lo, v15, v4, vcc_lo
	v_add_co_u32 v205, vcc_lo, v1, v3
	v_add_co_ci_u32_e32 v206, vcc_lo, v13, v4, vcc_lo
	global_load_u16 v144, v[203:204], off
	global_load_u16 v189, v[205:206], off
	s_waitcnt vmcnt(1)
	v_lshlrev_b32_e32 v144, 16, v144
	s_waitcnt vmcnt(0)
	v_lshlrev_b32_e32 v189, 16, v189
	s_delay_alu instid0(VALU_DEP_1)
	v_mul_f32_e32 v189, v189, v144
.LBB199_70:                             ;   in Loop: Header=BB199_3 Depth=1
	s_or_b32 exec_lo, exec_lo, s28
	s_waitcnt vmcnt(0)
	ds_bpermute_b32 v144, v2, v140
	ds_bpermute_b32 v203, v2, v140 offset:4
	ds_bpermute_b32 v204, v2, v140 offset:8
	v_mul_f32_e32 v7, v141, v7
	ds_bpermute_b32 v141, v2, v140 offset:12
	v_mul_f32_e32 v142, v142, v143
	ds_bpermute_b32 v143, v2, v140 offset:16
	s_waitcnt lgkmcnt(4)
	v_fma_f32 v144, v7, v144, v139
	v_mul_f32_e32 v7, v8, v145
	ds_bpermute_b32 v8, v2, v140 offset:20
	ds_bpermute_b32 v145, v2, v140 offset:24
	s_waitcnt lgkmcnt(5)
	v_fmac_f32_e32 v144, v142, v203
	v_mul_f32_e32 v142, v147, v148
	s_waitcnt lgkmcnt(4)
	s_delay_alu instid0(VALU_DEP_2)
	v_dual_fmac_f32 v144, v7, v204 :: v_dual_mul_f32 v7, v146, v149
	ds_bpermute_b32 v146, v2, v140 offset:28
	s_waitcnt lgkmcnt(4)
	v_dual_fmac_f32 v144, v142, v141 :: v_dual_mul_f32 v141, v151, v152
	ds_bpermute_b32 v142, v2, v140 offset:32
	s_waitcnt lgkmcnt(4)
	;; [unrolled: 3-line block ×3, first 2 shown]
	v_fmac_f32_e32 v144, v141, v8
	v_mul_f32_e32 v8, v155, v156
	ds_bpermute_b32 v141, v2, v140 offset:40
	s_waitcnt lgkmcnt(4)
	v_fmac_f32_e32 v144, v7, v145
	v_mul_f32_e32 v7, v154, v157
	ds_bpermute_b32 v145, v2, v140 offset:44
	s_waitcnt lgkmcnt(4)
	;; [unrolled: 4-line block ×3, first 2 shown]
	v_dual_fmac_f32 v144, v7, v142 :: v_dual_mul_f32 v7, v158, v161
	ds_bpermute_b32 v142, v2, v140 offset:52
	s_waitcnt lgkmcnt(4)
	v_fmac_f32_e32 v144, v8, v143
	v_mul_f32_e32 v8, v163, v164
	ds_bpermute_b32 v143, v2, v140 offset:56
	s_waitcnt lgkmcnt(4)
	v_fmac_f32_e32 v144, v7, v141
	v_mul_f32_e32 v7, v162, v165
	;; [unrolled: 4-line block ×3, first 2 shown]
	ds_bpermute_b32 v145, v2, v140 offset:64
	s_waitcnt lgkmcnt(4)
	v_dual_fmac_f32 v144, v7, v146 :: v_dual_mul_f32 v7, v166, v169
	ds_bpermute_b32 v146, v2, v140 offset:68
	s_waitcnt lgkmcnt(4)
	v_fmac_f32_e32 v144, v8, v142
	v_mul_f32_e32 v8, v171, v172
	ds_bpermute_b32 v142, v2, v140 offset:72
	s_waitcnt lgkmcnt(4)
	v_dual_fmac_f32 v144, v7, v143 :: v_dual_mul_f32 v7, v170, v173
	ds_bpermute_b32 v143, v2, v140 offset:76
	s_waitcnt lgkmcnt(4)
	v_fmac_f32_e32 v144, v8, v141
	v_mul_f32_e32 v8, v175, v176
	ds_bpermute_b32 v141, v2, v140 offset:80
	s_waitcnt lgkmcnt(4)
	v_fmac_f32_e32 v144, v7, v145
	v_mul_f32_e32 v7, v174, v177
	;; [unrolled: 4-line block ×3, first 2 shown]
	ds_bpermute_b32 v146, v2, v140 offset:88
	s_waitcnt lgkmcnt(4)
	v_dual_fmac_f32 v144, v7, v142 :: v_dual_mul_f32 v7, v178, v181
	ds_bpermute_b32 v142, v2, v140 offset:92
	s_waitcnt lgkmcnt(4)
	v_fmac_f32_e32 v144, v8, v143
	v_mul_f32_e32 v8, v183, v184
	ds_bpermute_b32 v143, v2, v140 offset:96
	s_waitcnt lgkmcnt(4)
	v_fmac_f32_e32 v144, v7, v141
	v_mul_f32_e32 v7, v182, v185
	;; [unrolled: 4-line block ×9, first 2 shown]
	s_waitcnt lgkmcnt(3)
	s_delay_alu instid0(VALU_DEP_2) | instskip(SKIP_1) | instid1(VALU_DEP_1)
	v_fmac_f32_e32 v144, v145, v142
	s_waitcnt lgkmcnt(2)
	v_fmac_f32_e32 v144, v8, v143
	v_mul_f32_e32 v8, v199, v202
	s_waitcnt lgkmcnt(1)
	s_delay_alu instid0(VALU_DEP_1)
	v_fmac_f32_e32 v144, v8, v141
	s_branch .LBB199_137
.LBB199_71:                             ;   in Loop: Header=BB199_3 Depth=1
                                        ; implicit-def: $vgpr144
                                        ; implicit-def: $vgpr189
                                        ; implicit-def: $vgpr7
	s_cbranch_execz .LBB199_137
; %bb.72:                               ;   in Loop: Header=BB199_3 Depth=1
	s_load_b32 s28, s[10:11], 0x0
	v_mov_b32_e32 v8, 0
	s_waitcnt lgkmcnt(0)
	s_cmp_lt_u32 s14, s28
	s_cselect_b32 s28, 12, 18
	s_delay_alu instid0(SALU_CYCLE_1)
	s_add_u32 s28, s10, s28
	s_addc_u32 s29, s11, 0
	global_load_u16 v7, v2, s[28:29]
	s_mov_b32 s28, exec_lo
	s_waitcnt vmcnt(0)
	v_mad_u32_u24 v7, v9, v7, v11
	s_delay_alu instid0(VALU_DEP_1) | instskip(NEXT) | instid1(VALU_DEP_1)
	v_and_b32_e32 v7, 31, v7
	v_add_co_u32 v5, vcc_lo, v5, v7
	v_add_co_ci_u32_e32 v6, vcc_lo, 0, v6, vcc_lo
	v_mov_b32_e32 v7, 0
	s_delay_alu instid0(VALU_DEP_2)
	v_cmpx_gt_i64_e64 s[16:17], v[5:6]
	s_cbranch_execz .LBB199_74
; %bb.73:                               ;   in Loop: Header=BB199_3 Depth=1
	v_lshlrev_b64 v[5:6], 2, v[5:6]
	s_delay_alu instid0(VALU_DEP_1) | instskip(NEXT) | instid1(VALU_DEP_2)
	v_add_co_u32 v5, vcc_lo, s6, v5
	v_add_co_ci_u32_e32 v6, vcc_lo, s7, v6, vcc_lo
	global_load_b32 v7, v[5:6], off
.LBB199_74:                             ;   in Loop: Header=BB199_3 Depth=1
	s_or_b32 exec_lo, exec_lo, s28
	v_mov_b32_e32 v5, 0
	s_and_saveexec_b32 s28, s3
	s_cbranch_execz .LBB199_76
; %bb.75:                               ;   in Loop: Header=BB199_3 Depth=1
	v_add_co_u32 v5, vcc_lo, v135, v3
	v_add_co_ci_u32_e32 v6, vcc_lo, v136, v4, vcc_lo
	v_add_co_u32 v140, vcc_lo, v137, v3
	v_add_co_ci_u32_e32 v141, vcc_lo, v138, v4, vcc_lo
	global_load_u16 v5, v[5:6], off
	global_load_u16 v6, v[140:141], off
	s_waitcnt vmcnt(1)
	v_lshlrev_b32_e32 v8, 16, v5
	s_waitcnt vmcnt(0)
	v_lshlrev_b32_e32 v5, 16, v6
.LBB199_76:                             ;   in Loop: Header=BB199_3 Depth=1
	s_or_b32 exec_lo, exec_lo, s28
	v_dual_mov_b32 v6, 0 :: v_dual_mov_b32 v141, 0
	v_mov_b32_e32 v140, 0
	s_and_saveexec_b32 s28, s3
	s_cbranch_execz .LBB199_78
; %bb.77:                               ;   in Loop: Header=BB199_3 Depth=1
	v_add_co_u32 v140, vcc_lo, v131, v3
	v_add_co_ci_u32_e32 v141, vcc_lo, v132, v4, vcc_lo
	v_add_co_u32 v142, vcc_lo, v133, v3
	v_add_co_ci_u32_e32 v143, vcc_lo, v134, v4, vcc_lo
	global_load_u16 v140, v[140:141], off
	global_load_u16 v141, v[142:143], off
	s_waitcnt vmcnt(1)
	v_lshlrev_b32_e32 v140, 16, v140
	s_waitcnt vmcnt(0)
	v_lshlrev_b32_e32 v141, 16, v141
.LBB199_78:                             ;   in Loop: Header=BB199_3 Depth=1
	s_or_b32 exec_lo, exec_lo, s28
	v_mov_b32_e32 v142, 0
	s_and_saveexec_b32 s28, s3
	s_cbranch_execz .LBB199_80
; %bb.79:                               ;   in Loop: Header=BB199_3 Depth=1
	v_add_co_u32 v142, vcc_lo, v127, v3
	v_add_co_ci_u32_e32 v143, vcc_lo, v128, v4, vcc_lo
	v_add_co_u32 v144, vcc_lo, v129, v3
	v_add_co_ci_u32_e32 v145, vcc_lo, v130, v4, vcc_lo
	global_load_u16 v6, v[142:143], off
	global_load_u16 v142, v[144:145], off
	s_waitcnt vmcnt(1)
	v_lshlrev_b32_e32 v6, 16, v6
	s_waitcnt vmcnt(0)
	v_lshlrev_b32_e32 v142, 16, v142
.LBB199_80:                             ;   in Loop: Header=BB199_3 Depth=1
	s_or_b32 exec_lo, exec_lo, s28
	v_dual_mov_b32 v143, 0 :: v_dual_mov_b32 v144, 0
	v_mov_b32_e32 v145, 0
	s_and_saveexec_b32 s28, s3
	s_cbranch_execz .LBB199_82
; %bb.81:                               ;   in Loop: Header=BB199_3 Depth=1
	v_add_co_u32 v144, vcc_lo, v123, v3
	v_add_co_ci_u32_e32 v145, vcc_lo, v124, v4, vcc_lo
	v_add_co_u32 v146, vcc_lo, v125, v3
	v_add_co_ci_u32_e32 v147, vcc_lo, v126, v4, vcc_lo
	global_load_u16 v144, v[144:145], off
	global_load_u16 v145, v[146:147], off
	s_waitcnt vmcnt(1)
	v_lshlrev_b32_e32 v144, 16, v144
	s_waitcnt vmcnt(0)
	v_lshlrev_b32_e32 v145, 16, v145
.LBB199_82:                             ;   in Loop: Header=BB199_3 Depth=1
	;; [unrolled: 33-line block ×6, first 2 shown]
	s_or_b32 exec_lo, exec_lo, s28
	v_mov_b32_e32 v162, 0
	s_and_saveexec_b32 s28, s3
	s_cbranch_execz .LBB199_100
; %bb.99:                               ;   in Loop: Header=BB199_3 Depth=1
	v_add_co_u32 v162, vcc_lo, v87, v3
	v_add_co_ci_u32_e32 v163, vcc_lo, v88, v4, vcc_lo
	v_add_co_u32 v164, vcc_lo, v89, v3
	v_add_co_ci_u32_e32 v165, vcc_lo, v90, v4, vcc_lo
	global_load_u16 v159, v[162:163], off
	global_load_u16 v162, v[164:165], off
	s_waitcnt vmcnt(1)
	v_lshlrev_b32_e32 v159, 16, v159
	s_waitcnt vmcnt(0)
	v_lshlrev_b32_e32 v162, 16, v162
.LBB199_100:                            ;   in Loop: Header=BB199_3 Depth=1
	s_or_b32 exec_lo, exec_lo, s28
	v_dual_mov_b32 v163, 0 :: v_dual_mov_b32 v164, 0
	v_mov_b32_e32 v165, 0
	s_and_saveexec_b32 s28, s3
	s_cbranch_execz .LBB199_102
; %bb.101:                              ;   in Loop: Header=BB199_3 Depth=1
	v_add_co_u32 v164, vcc_lo, v83, v3
	v_add_co_ci_u32_e32 v165, vcc_lo, v84, v4, vcc_lo
	v_add_co_u32 v166, vcc_lo, v85, v3
	v_add_co_ci_u32_e32 v167, vcc_lo, v86, v4, vcc_lo
	global_load_u16 v164, v[164:165], off
	global_load_u16 v165, v[166:167], off
	s_waitcnt vmcnt(1)
	v_lshlrev_b32_e32 v164, 16, v164
	s_waitcnt vmcnt(0)
	v_lshlrev_b32_e32 v165, 16, v165
.LBB199_102:                            ;   in Loop: Header=BB199_3 Depth=1
	s_or_b32 exec_lo, exec_lo, s28
	v_mov_b32_e32 v166, 0
	s_and_saveexec_b32 s28, s3
	s_cbranch_execz .LBB199_104
; %bb.103:                              ;   in Loop: Header=BB199_3 Depth=1
	v_add_co_u32 v166, vcc_lo, v79, v3
	v_add_co_ci_u32_e32 v167, vcc_lo, v80, v4, vcc_lo
	v_add_co_u32 v168, vcc_lo, v81, v3
	v_add_co_ci_u32_e32 v169, vcc_lo, v82, v4, vcc_lo
	global_load_u16 v163, v[166:167], off
	global_load_u16 v166, v[168:169], off
	s_waitcnt vmcnt(1)
	v_lshlrev_b32_e32 v163, 16, v163
	s_waitcnt vmcnt(0)
	v_lshlrev_b32_e32 v166, 16, v166
.LBB199_104:                            ;   in Loop: Header=BB199_3 Depth=1
	s_or_b32 exec_lo, exec_lo, s28
	v_dual_mov_b32 v167, 0 :: v_dual_mov_b32 v168, 0
	v_mov_b32_e32 v169, 0
	s_and_saveexec_b32 s28, s3
	s_cbranch_execz .LBB199_106
; %bb.105:                              ;   in Loop: Header=BB199_3 Depth=1
	v_add_co_u32 v168, vcc_lo, v75, v3
	v_add_co_ci_u32_e32 v169, vcc_lo, v76, v4, vcc_lo
	v_add_co_u32 v170, vcc_lo, v77, v3
	v_add_co_ci_u32_e32 v171, vcc_lo, v78, v4, vcc_lo
	global_load_u16 v168, v[168:169], off
	global_load_u16 v169, v[170:171], off
	s_waitcnt vmcnt(1)
	v_lshlrev_b32_e32 v168, 16, v168
	s_waitcnt vmcnt(0)
	v_lshlrev_b32_e32 v169, 16, v169
.LBB199_106:                            ;   in Loop: Header=BB199_3 Depth=1
	s_or_b32 exec_lo, exec_lo, s28
	v_mov_b32_e32 v170, 0
	s_and_saveexec_b32 s28, s3
	s_cbranch_execz .LBB199_108
; %bb.107:                              ;   in Loop: Header=BB199_3 Depth=1
	v_add_co_u32 v170, vcc_lo, v71, v3
	v_add_co_ci_u32_e32 v171, vcc_lo, v72, v4, vcc_lo
	v_add_co_u32 v172, vcc_lo, v73, v3
	v_add_co_ci_u32_e32 v173, vcc_lo, v74, v4, vcc_lo
	global_load_u16 v167, v[170:171], off
	global_load_u16 v170, v[172:173], off
	s_waitcnt vmcnt(1)
	v_lshlrev_b32_e32 v167, 16, v167
	s_waitcnt vmcnt(0)
	v_lshlrev_b32_e32 v170, 16, v170
.LBB199_108:                            ;   in Loop: Header=BB199_3 Depth=1
	;; [unrolled: 33-line block ×8, first 2 shown]
	s_or_b32 exec_lo, exec_lo, s28
	v_dual_mov_b32 v196, 0 :: v_dual_mov_b32 v197, 0
	v_mov_b32_e32 v198, 0
	s_and_saveexec_b32 s28, s3
	s_cbranch_execnz .LBB199_139
; %bb.133:                              ;   in Loop: Header=BB199_3 Depth=1
	s_or_b32 exec_lo, exec_lo, s28
	v_mov_b32_e32 v199, 0
	s_and_saveexec_b32 s28, s3
	s_cbranch_execnz .LBB199_140
.LBB199_134:                            ;   in Loop: Header=BB199_3 Depth=1
	s_or_b32 exec_lo, exec_lo, s28
	v_mov_b32_e32 v189, 0
	s_and_saveexec_b32 s28, s3
	s_cbranch_execz .LBB199_136
.LBB199_135:                            ;   in Loop: Header=BB199_3 Depth=1
	v_add_co_u32 v200, vcc_lo, v14, v3
	v_add_co_ci_u32_e32 v201, vcc_lo, v15, v4, vcc_lo
	v_add_co_u32 v202, vcc_lo, v1, v3
	v_add_co_ci_u32_e32 v203, vcc_lo, v13, v4, vcc_lo
	global_load_u16 v189, v[200:201], off
	global_load_u16 v200, v[202:203], off
	s_waitcnt vmcnt(1)
	v_lshlrev_b32_e32 v189, 16, v189
	s_waitcnt vmcnt(0)
	v_lshlrev_b32_e32 v200, 16, v200
	s_delay_alu instid0(VALU_DEP_1)
	v_mul_f32_e32 v189, v200, v189
.LBB199_136:                            ;   in Loop: Header=BB199_3 Depth=1
	s_or_b32 exec_lo, exec_lo, s28
	s_waitcnt vmcnt(0)
	ds_bpermute_b32 v200, v2, v7
	ds_bpermute_b32 v201, v2, v7 offset:4
	ds_bpermute_b32 v202, v2, v7 offset:8
	v_mul_f32_e32 v5, v8, v5
	ds_bpermute_b32 v8, v2, v7 offset:12
	v_mul_f32_e32 v140, v140, v141
	ds_bpermute_b32 v141, v2, v7 offset:16
	s_waitcnt lgkmcnt(4)
	v_fmac_f32_e32 v139, v5, v200
	v_mul_f32_e32 v5, v6, v142
	ds_bpermute_b32 v6, v2, v7 offset:20
	ds_bpermute_b32 v142, v2, v7 offset:24
	s_waitcnt lgkmcnt(5)
	v_fmac_f32_e32 v139, v140, v201
	s_waitcnt lgkmcnt(4)
	s_delay_alu instid0(VALU_DEP_1)
	v_dual_mul_f32 v140, v144, v145 :: v_dual_fmac_f32 v139, v5, v202
	v_mul_f32_e32 v5, v143, v146
	ds_bpermute_b32 v143, v2, v7 offset:28
	s_waitcnt lgkmcnt(4)
	v_fmac_f32_e32 v139, v140, v8
	v_mul_f32_e32 v8, v148, v149
	ds_bpermute_b32 v140, v2, v7 offset:32
	s_waitcnt lgkmcnt(4)
	v_fmac_f32_e32 v139, v5, v141
	;; [unrolled: 4-line block ×4, first 2 shown]
	v_mul_f32_e32 v5, v151, v154
	ds_bpermute_b32 v142, v2, v7 offset:44
	s_waitcnt lgkmcnt(4)
	v_dual_fmac_f32 v139, v6, v143 :: v_dual_mul_f32 v6, v156, v157
	ds_bpermute_b32 v143, v2, v7 offset:48
	s_waitcnt lgkmcnt(4)
	v_fmac_f32_e32 v139, v5, v140
	v_mul_f32_e32 v5, v155, v158
	ds_bpermute_b32 v140, v2, v7 offset:52
	s_waitcnt lgkmcnt(4)
	v_fmac_f32_e32 v139, v6, v141
	v_mul_f32_e32 v6, v160, v161
	;; [unrolled: 4-line block ×3, first 2 shown]
	ds_bpermute_b32 v8, v2, v7 offset:60
	s_waitcnt lgkmcnt(4)
	v_dual_fmac_f32 v139, v6, v142 :: v_dual_mul_f32 v6, v164, v165
	ds_bpermute_b32 v142, v2, v7 offset:64
	s_waitcnt lgkmcnt(4)
	v_fmac_f32_e32 v139, v5, v143
	v_mul_f32_e32 v5, v163, v166
	ds_bpermute_b32 v143, v2, v7 offset:68
	s_waitcnt lgkmcnt(4)
	v_dual_fmac_f32 v139, v6, v140 :: v_dual_mul_f32 v6, v168, v169
	ds_bpermute_b32 v140, v2, v7 offset:72
	s_waitcnt lgkmcnt(4)
	v_fmac_f32_e32 v139, v5, v141
	v_mul_f32_e32 v5, v167, v170
	;; [unrolled: 7-line block ×4, first 2 shown]
	ds_bpermute_b32 v140, v2, v7 offset:92
	s_waitcnt lgkmcnt(4)
	v_fmac_f32_e32 v139, v6, v141
	v_mul_f32_e32 v6, v180, v181
	ds_bpermute_b32 v141, v2, v7 offset:96
	s_waitcnt lgkmcnt(4)
	v_fmac_f32_e32 v139, v5, v8
	v_mul_f32_e32 v5, v179, v182
	ds_bpermute_b32 v8, v2, v7 offset:100
	s_waitcnt lgkmcnt(4)
	v_dual_fmac_f32 v139, v6, v142 :: v_dual_mul_f32 v6, v184, v185
	ds_bpermute_b32 v142, v2, v7 offset:104
	s_waitcnt lgkmcnt(4)
	v_fmac_f32_e32 v139, v5, v143
	v_mul_f32_e32 v5, v183, v186
	ds_bpermute_b32 v143, v2, v7 offset:108
	s_waitcnt lgkmcnt(4)
	v_dual_fmac_f32 v139, v6, v140 :: v_dual_mul_f32 v6, v188, v190
	ds_bpermute_b32 v140, v2, v7 offset:112
	s_waitcnt lgkmcnt(4)
	v_fmac_f32_e32 v139, v5, v141
	v_mul_f32_e32 v5, v187, v191
	ds_bpermute_b32 v141, v2, v7 offset:116
	s_waitcnt lgkmcnt(4)
	v_dual_fmac_f32 v139, v6, v8 :: v_dual_mul_f32 v6, v193, v194
	s_waitcnt lgkmcnt(3)
	s_delay_alu instid0(VALU_DEP_1)
	v_dual_mul_f32 v8, v192, v195 :: v_dual_fmac_f32 v139, v5, v142
	ds_bpermute_b32 v5, v2, v7 offset:120
	ds_bpermute_b32 v7, v2, v7 offset:124
	s_waitcnt lgkmcnt(4)
	v_dual_fmac_f32 v139, v6, v143 :: v_dual_mul_f32 v6, v197, v198
	s_waitcnt lgkmcnt(3)
	s_delay_alu instid0(VALU_DEP_1) | instskip(SKIP_1) | instid1(VALU_DEP_1)
	v_fmac_f32_e32 v139, v8, v140
	s_waitcnt lgkmcnt(2)
	v_dual_fmac_f32 v139, v6, v141 :: v_dual_mul_f32 v6, v196, v199
	s_waitcnt lgkmcnt(1)
	s_delay_alu instid0(VALU_DEP_1) | instskip(NEXT) | instid1(VALU_DEP_1)
	v_fmac_f32_e32 v139, v6, v5
	v_mov_b32_e32 v144, v139
.LBB199_137:                            ;   in Loop: Header=BB199_3 Depth=1
	v_add_co_u32 v1, vcc_lo, v1, s12
	v_add_co_ci_u32_e32 v13, vcc_lo, s13, v13, vcc_lo
	v_add_co_u32 v14, vcc_lo, v14, s12
	v_add_co_ci_u32_e32 v15, vcc_lo, s13, v15, vcc_lo
	;; [unrolled: 2-line block ×62, first 2 shown]
	v_add_co_u32 v135, vcc_lo, v135, s12
	s_add_u32 s24, s24, s27
	v_add_co_ci_u32_e32 v136, vcc_lo, s13, v136, vcc_lo
	s_addc_u32 s25, s25, 0
	v_add_co_u32 v137, vcc_lo, v137, s12
	v_add_co_ci_u32_e32 v138, vcc_lo, s13, v138, vcc_lo
	v_cmp_lt_i64_e64 s28, s[24:25], s[16:17]
	v_add_co_u32 v10, vcc_lo, v10, s27
	s_waitcnt lgkmcnt(0)
	v_fmac_f32_e32 v144, v189, v7
	v_add_co_ci_u32_e32 v12, vcc_lo, 0, v12, vcc_lo
	s_add_u32 s4, s4, s27
	s_addc_u32 s5, s5, 0
	s_and_b32 vcc_lo, exec_lo, s28
	s_cbranch_vccz .LBB199_142
; %bb.138:                              ;   in Loop: Header=BB199_3 Depth=1
	v_mov_b32_e32 v139, v144
	s_branch .LBB199_3
.LBB199_139:                            ;   in Loop: Header=BB199_3 Depth=1
	v_add_co_u32 v197, vcc_lo, v20, v3
	v_add_co_ci_u32_e32 v198, vcc_lo, v21, v4, vcc_lo
	v_add_co_u32 v199, vcc_lo, v22, v3
	v_add_co_ci_u32_e32 v200, vcc_lo, v23, v4, vcc_lo
	global_load_u16 v189, v[197:198], off
	global_load_u16 v198, v[199:200], off
	s_waitcnt vmcnt(1)
	v_lshlrev_b32_e32 v197, 16, v189
	s_waitcnt vmcnt(0)
	v_lshlrev_b32_e32 v198, 16, v198
	s_or_b32 exec_lo, exec_lo, s28
	v_mov_b32_e32 v199, 0
	s_and_saveexec_b32 s28, s3
	s_cbranch_execz .LBB199_134
.LBB199_140:                            ;   in Loop: Header=BB199_3 Depth=1
	v_add_co_u32 v199, vcc_lo, v16, v3
	v_add_co_ci_u32_e32 v200, vcc_lo, v17, v4, vcc_lo
	v_add_co_u32 v201, vcc_lo, v18, v3
	v_add_co_ci_u32_e32 v202, vcc_lo, v19, v4, vcc_lo
	global_load_u16 v189, v[199:200], off
	global_load_u16 v199, v[201:202], off
	s_waitcnt vmcnt(1)
	v_lshlrev_b32_e32 v196, 16, v189
	s_waitcnt vmcnt(0)
	v_lshlrev_b32_e32 v199, 16, v199
	s_or_b32 exec_lo, exec_lo, s28
	v_mov_b32_e32 v189, 0
	s_and_saveexec_b32 s28, s3
	s_cbranch_execnz .LBB199_135
	s_branch .LBB199_136
.LBB199_141:
                                        ; implicit-def: $vgpr144
	s_load_b64 s[4:5], s[0:1], 0x30
	s_branch .LBB199_143
.LBB199_142:
	s_load_b64 s[4:5], s[0:1], 0x30
	s_cbranch_execnz .LBB199_220
.LBB199_143:
	v_mov_b32_e32 v144, 0
	s_and_not1_b32 vcc_lo, exec_lo, s26
	s_cbranch_vccnz .LBB199_220
; %bb.144:
	v_bfe_u32 v7, v207, 10, 10
	s_add_u32 s10, s0, 64
	s_addc_u32 s11, s1, 0
	s_lshl_b64 s[12:13], s[8:9], 1
	s_delay_alu instid0(VALU_DEP_1) | instskip(NEXT) | instid1(VALU_DEP_1)
	v_lshlrev_b32_e32 v0, 6, v7
	v_add_co_u32 v121, s3, v0, s12
	s_delay_alu instid0(VALU_DEP_1) | instskip(NEXT) | instid1(VALU_DEP_2)
	v_add_co_ci_u32_e64 v122, null, 0, s13, s3
	v_add_co_u32 v11, vcc_lo, v121, 2
	s_delay_alu instid0(VALU_DEP_2) | instskip(SKIP_3) | instid1(VALU_DEP_4)
	v_add_co_ci_u32_e32 v0, vcc_lo, 0, v122, vcc_lo
	v_add_co_u32 v15, vcc_lo, v121, 4
	v_add_co_ci_u32_e32 v5, vcc_lo, 0, v122, vcc_lo
	v_add_co_u32 v19, vcc_lo, v121, 6
	v_mul_lo_u32 v18, s18, v0
	v_add_co_ci_u32_e32 v0, vcc_lo, 0, v122, vcc_lo
	v_add_co_u32 v24, vcc_lo, v121, 8
	v_add_co_ci_u32_e32 v9, vcc_lo, 0, v122, vcc_lo
	s_delay_alu instid0(VALU_DEP_3)
	v_mul_lo_u32 v22, s18, v0
	v_lshlrev_b32_e32 v0, 5, v7
	scratch_store_b32 off, v7, off offset:288 ; 4-byte Folded Spill
	v_add_co_u32 v25, vcc_lo, v121, 10
	v_mad_u64_u32 v[1:2], null, s18, v11, s[20:21]
	scratch_store_b32 off, v0, off          ; 4-byte Folded Spill
	v_add_co_u32 v0, s3, v0, s8
	s_delay_alu instid0(VALU_DEP_1) | instskip(SKIP_1) | instid1(VALU_DEP_3)
	v_add_co_ci_u32_e64 v133, null, 0, 0, s3
	v_mul_lo_u32 v17, s19, v11
	v_mul_lo_u32 v14, s19, v0
	v_mad_u64_u32 v[135:136], null, s18, v0, 0
	s_delay_alu instid0(VALU_DEP_4)
	v_mul_lo_u32 v16, s18, v133
	v_add_co_ci_u32_e32 v13, vcc_lo, 0, v122, vcc_lo
	v_mul_lo_u32 v26, s18, v9
	v_mad_u64_u32 v[9:10], null, s18, v11, s[22:23]
	v_mad_u64_u32 v[3:4], null, s18, v15, s[20:21]
	v_mul_lo_u32 v20, s18, v5
	v_mul_lo_u32 v21, s19, v15
	v_mad_u64_u32 v[5:6], null, s18, v19, s[20:21]
	v_mul_lo_u32 v23, s19, v19
	v_mul_lo_u32 v28, s18, v13
	v_add3_u32 v136, v136, v16, v14
	v_mad_u64_u32 v[13:14], null, s18, v15, s[22:23]
	v_mad_u64_u32 v[15:16], null, s18, v19, s[22:23]
	v_add3_u32 v2, v17, v2, v18
	v_mad_u64_u32 v[7:8], null, s18, v24, s[20:21]
	v_mul_lo_u32 v27, s19, v24
	v_add3_u32 v10, v17, v10, v18
	v_mad_u64_u32 v[17:18], null, s18, v24, s[22:23]
	v_add_co_u32 v30, vcc_lo, v121, 12
	v_add3_u32 v4, v21, v4, v20
	v_add3_u32 v6, v23, v6, v22
	v_mad_u64_u32 v[11:12], null, s18, v25, s[20:21]
	v_mul_lo_u32 v29, s19, v25
	v_add_co_ci_u32_e32 v31, vcc_lo, 0, v122, vcc_lo
	v_add3_u32 v14, v21, v14, v20
	v_add3_u32 v16, v23, v16, v22
	v_mad_u64_u32 v[21:22], null, s18, v25, s[22:23]
	v_mad_u64_u32 v[19:20], null, s18, v30, s[20:21]
	v_mul_lo_u32 v32, s19, v30
	v_mad_u64_u32 v[23:24], null, s18, v30, s[22:23]
	v_add_co_u32 v30, vcc_lo, v121, 14
	v_add3_u32 v8, v27, v8, v26
	v_add3_u32 v18, v27, v18, v26
	v_add_co_ci_u32_e32 v27, vcc_lo, 0, v122, vcc_lo
	v_mul_lo_u32 v31, s18, v31
	v_add3_u32 v12, v29, v12, v28
	v_add3_u32 v22, v29, v22, v28
	v_mad_u64_u32 v[25:26], null, s18, v30, s[20:21]
	v_mul_lo_u32 v29, s18, v27
	v_mul_lo_u32 v33, s19, v30
	v_mad_u64_u32 v[27:28], null, s18, v30, s[22:23]
	v_add_co_u32 v34, vcc_lo, v121, 16
	v_add_co_ci_u32_e32 v30, vcc_lo, 0, v122, vcc_lo
	v_add3_u32 v20, v32, v20, v31
	v_add3_u32 v24, v32, v24, v31
	;; [unrolled: 1-line block ×4, first 2 shown]
	v_mul_lo_u32 v33, s18, v30
	v_mul_lo_u32 v35, s19, v34
	v_mad_u64_u32 v[29:30], null, s18, v34, s[20:21]
	v_mad_u64_u32 v[31:32], null, s18, v34, s[22:23]
	v_add_co_u32 v37, vcc_lo, v121, 18
	v_lshlrev_b64 v[137:138], 1, v[135:136]
	s_load_b32 s3, s[0:1], 0x44
	s_delay_alu instid0(VALU_DEP_4) | instskip(NEXT) | instid1(VALU_DEP_3)
	v_add3_u32 v30, v35, v30, v33
	v_mul_lo_u32 v39, s19, v37
	v_add3_u32 v32, v35, v32, v33
	v_add_co_ci_u32_e32 v33, vcc_lo, 0, v122, vcc_lo
	v_mad_u64_u32 v[35:36], null, s18, v37, s[22:23]
	v_add_co_u32 v41, vcc_lo, v121, 20
	s_delay_alu instid0(VALU_DEP_3) | instskip(SKIP_2) | instid1(VALU_DEP_4)
	v_mul_lo_u32 v38, s18, v33
	v_mad_u64_u32 v[33:34], null, s18, v37, s[20:21]
	v_add_co_ci_u32_e32 v37, vcc_lo, 0, v122, vcc_lo
	v_mul_lo_u32 v43, s19, v41
	v_add_co_u32 v45, vcc_lo, v121, 22
	v_add3_u32 v36, v39, v36, v38
	v_add3_u32 v34, v39, v34, v38
	v_mul_lo_u32 v42, s18, v37
	v_mad_u64_u32 v[37:38], null, s18, v41, s[20:21]
	v_mad_u64_u32 v[39:40], null, s18, v41, s[22:23]
	v_add_co_ci_u32_e32 v41, vcc_lo, 0, v122, vcc_lo
	v_mul_lo_u32 v47, s19, v45
	v_add_co_u32 v49, vcc_lo, v121, 24
	v_add3_u32 v38, v43, v38, v42
	v_add3_u32 v40, v43, v40, v42
	v_mul_lo_u32 v46, s18, v41
	v_mad_u64_u32 v[41:42], null, s18, v45, s[20:21]
	;; [unrolled: 8-line block ×20, first 2 shown]
	v_mad_u64_u32 v[115:116], null, s18, v117, s[22:23]
	v_add_co_ci_u32_e32 v117, vcc_lo, 0, v122, vcc_lo
	v_mul_lo_u32 v125, s19, v123
	s_waitcnt lgkmcnt(0)
	s_lshl_b32 s3, s3, 5
	s_delay_alu instid0(VALU_DEP_4)
	v_add3_u32 v114, v119, v114, v118
	v_mul_lo_u32 v124, s18, v117
	v_add3_u32 v116, v119, v116, v118
	v_mad_u64_u32 v[117:118], null, s18, v123, s[20:21]
	v_mad_u64_u32 v[119:120], null, s18, v123, s[22:23]
	s_mul_i32 s12, s19, s3
	s_mul_hi_u32 s13, s18, s3
	s_delay_alu instid0(SALU_CYCLE_1) | instskip(NEXT) | instid1(VALU_DEP_2)
	s_add_i32 s13, s13, s12
	v_add3_u32 v118, v125, v118, v124
	s_mul_i32 s12, s18, s3
	s_delay_alu instid0(VALU_DEP_2) | instskip(SKIP_3) | instid1(VALU_DEP_2)
	v_add3_u32 v120, v125, v120, v124
	v_add_co_u32 v125, vcc_lo, v121, 62
	v_add_co_ci_u32_e32 v121, vcc_lo, 0, v122, vcc_lo
	s_lshl_b64 s[12:13], s[12:13], 1
	v_mul_lo_u32 v127, s19, v125
	v_mad_u64_u32 v[123:124], null, s18, v125, s[22:23]
	s_delay_alu instid0(VALU_DEP_3) | instskip(SKIP_2) | instid1(VALU_DEP_3)
	v_mul_lo_u32 v126, s18, v121
	v_mad_u64_u32 v[121:122], null, s18, v125, s[20:21]
	v_add_co_u32 v125, vcc_lo, v0, 31
	v_add3_u32 v124, v127, v124, v126
	s_delay_alu instid0(VALU_DEP_3) | instskip(SKIP_1) | instid1(VALU_DEP_4)
	v_add3_u32 v122, v127, v122, v126
	v_add_co_ci_u32_e32 v126, vcc_lo, 0, v133, vcc_lo
	v_mul_lo_u32 v129, s19, v125
	v_mad_u64_u32 v[127:128], null, s18, v125, 0
	s_delay_alu instid0(VALU_DEP_3) | instskip(SKIP_1) | instid1(VALU_DEP_1)
	v_mul_lo_u32 v126, s18, v126
	v_add_co_u32 v125, vcc_lo, v0, 30
	v_mul_lo_u32 v131, s19, v125
	s_delay_alu instid0(VALU_DEP_3) | instskip(SKIP_3) | instid1(VALU_DEP_3)
	v_add3_u32 v128, v128, v126, v129
	v_add_co_ci_u32_e32 v126, vcc_lo, 0, v133, vcc_lo
	v_mad_u64_u32 v[129:130], null, s18, v125, 0
	v_add_co_u32 v125, vcc_lo, v0, 29
	v_mul_lo_u32 v126, s18, v126
	v_lshlrev_b64 v[127:128], 1, v[127:128]
	s_delay_alu instid0(VALU_DEP_3) | instskip(NEXT) | instid1(VALU_DEP_3)
	v_mul_lo_u32 v134, s19, v125
	v_add3_u32 v130, v130, v126, v131
	v_add_co_ci_u32_e32 v126, vcc_lo, 0, v133, vcc_lo
	v_mad_u64_u32 v[131:132], null, s18, v125, 0
	v_add_co_u32 v125, vcc_lo, v0, 28
	s_delay_alu instid0(VALU_DEP_3) | instskip(NEXT) | instid1(VALU_DEP_2)
	v_mul_lo_u32 v126, s18, v126
	v_mad_u64_u32 v[139:140], null, s18, v125, 0
	s_delay_alu instid0(VALU_DEP_2) | instskip(SKIP_3) | instid1(VALU_DEP_3)
	v_add3_u32 v132, v132, v126, v134
	v_add_co_ci_u32_e32 v126, vcc_lo, 0, v133, vcc_lo
	v_mul_lo_u32 v134, s19, v125
	v_add_co_u32 v125, vcc_lo, v0, 27
	v_mul_lo_u32 v126, s18, v126
	s_delay_alu instid0(VALU_DEP_2) | instskip(NEXT) | instid1(VALU_DEP_2)
	v_mad_u64_u32 v[141:142], null, s18, v125, 0
	v_add3_u32 v140, v140, v126, v134
	v_add_co_ci_u32_e32 v126, vcc_lo, 0, v133, vcc_lo
	v_mul_lo_u32 v134, s19, v125
	v_add_co_u32 v125, vcc_lo, v0, 26
	s_delay_alu instid0(VALU_DEP_3) | instskip(NEXT) | instid1(VALU_DEP_2)
	v_mul_lo_u32 v126, s18, v126
	v_mad_u64_u32 v[143:144], null, s18, v125, 0
	s_delay_alu instid0(VALU_DEP_2) | instskip(SKIP_3) | instid1(VALU_DEP_3)
	v_add3_u32 v142, v142, v126, v134
	v_add_co_ci_u32_e32 v126, vcc_lo, 0, v133, vcc_lo
	v_mul_lo_u32 v134, s19, v125
	v_add_co_u32 v125, vcc_lo, v0, 25
	v_mul_lo_u32 v126, s18, v126
	s_delay_alu instid0(VALU_DEP_2) | instskip(NEXT) | instid1(VALU_DEP_2)
	v_mad_u64_u32 v[145:146], null, s18, v125, 0
	v_add3_u32 v144, v144, v126, v134
	v_add_co_ci_u32_e32 v126, vcc_lo, 0, v133, vcc_lo
	v_mul_lo_u32 v134, s19, v125
	;; [unrolled: 15-line block ×13, first 2 shown]
	v_add_co_u32 v0, vcc_lo, v0, 2
	s_delay_alu instid0(VALU_DEP_3) | instskip(SKIP_1) | instid1(VALU_DEP_1)
	v_mul_lo_u32 v126, s18, v126
	v_add_co_ci_u32_e32 v125, vcc_lo, 0, v133, vcc_lo
	v_mul_lo_u32 v125, s18, v125
	s_delay_alu instid0(VALU_DEP_3) | instskip(SKIP_2) | instid1(VALU_DEP_1)
	v_add3_u32 v252, v252, v126, v134
	v_mul_lo_u32 v126, s19, v0
	v_mad_u64_u32 v[133:134], null, s18, v0, 0
	v_add3_u32 v134, v134, v125, v126
	v_add_co_u32 v125, vcc_lo, v135, s18
	v_add_co_ci_u32_e32 v126, vcc_lo, s19, v136, vcc_lo
	v_add_co_u32 v0, vcc_lo, s20, v137
	v_add_co_ci_u32_e32 v136, vcc_lo, s21, v138, vcc_lo
	v_add_co_u32 v137, vcc_lo, s22, v137
	v_add_co_ci_u32_e32 v138, vcc_lo, s23, v138, vcc_lo
	scratch_store_b32 off, v0, off offset:4 ; 4-byte Folded Spill
	v_add_co_u32 v0, vcc_lo, s20, v127
	v_lshlrev_b64 v[125:126], 1, v[125:126]
	scratch_store_b32 off, v0, off offset:8 ; 4-byte Folded Spill
	v_add_co_ci_u32_e32 v0, vcc_lo, s21, v128, vcc_lo
	scratch_store_b32 off, v0, off offset:12 ; 4-byte Folded Spill
	v_add_co_u32 v0, vcc_lo, s22, v127
	scratch_store_b32 off, v0, off offset:16 ; 4-byte Folded Spill
	v_add_co_ci_u32_e32 v0, vcc_lo, s23, v128, vcc_lo
	v_lshlrev_b64 v[127:128], 1, v[129:130]
	v_mov_b32_e32 v129, v207
	s_clause 0x1
	scratch_store_b32 off, v0, off offset:20
	scratch_store_b32 off, v129, off offset:296
	v_add_co_u32 v0, vcc_lo, s20, v127
	scratch_store_b32 off, v0, off offset:24 ; 4-byte Folded Spill
	v_add_co_ci_u32_e32 v0, vcc_lo, s21, v128, vcc_lo
	scratch_store_b32 off, v0, off offset:28 ; 4-byte Folded Spill
	v_add_co_u32 v0, vcc_lo, s22, v127
	scratch_store_b32 off, v0, off offset:32 ; 4-byte Folded Spill
	v_add_co_ci_u32_e32 v0, vcc_lo, s23, v128, vcc_lo
	v_lshlrev_b64 v[127:128], 1, v[131:132]
	scratch_store_b32 off, v0, off offset:36 ; 4-byte Folded Spill
	v_add_co_u32 v0, vcc_lo, s20, v127
	scratch_store_b32 off, v0, off offset:40 ; 4-byte Folded Spill
	v_add_co_ci_u32_e32 v0, vcc_lo, s21, v128, vcc_lo
	scratch_store_b32 off, v0, off offset:44 ; 4-byte Folded Spill
	v_add_co_u32 v0, vcc_lo, s22, v127
	scratch_store_b32 off, v0, off offset:48 ; 4-byte Folded Spill
	v_add_co_ci_u32_e32 v0, vcc_lo, s23, v128, vcc_lo
	v_lshlrev_b64 v[127:128], 1, v[139:140]
	scratch_store_b32 off, v0, off offset:52 ; 4-byte Folded Spill
	v_add_co_u32 v0, vcc_lo, s20, v127
	scratch_store_b32 off, v0, off offset:56 ; 4-byte Folded Spill
	v_add_co_ci_u32_e32 v0, vcc_lo, s21, v128, vcc_lo
	scratch_store_b32 off, v0, off offset:60 ; 4-byte Folded Spill
	v_add_co_u32 v0, vcc_lo, s22, v127
	scratch_store_b32 off, v0, off offset:64 ; 4-byte Folded Spill
	v_add_co_ci_u32_e32 v0, vcc_lo, s23, v128, vcc_lo
	v_lshlrev_b64 v[127:128], 1, v[141:142]
	scratch_store_b32 off, v0, off offset:68 ; 4-byte Folded Spill
	v_add_co_u32 v0, vcc_lo, s20, v127
	scratch_store_b32 off, v0, off offset:72 ; 4-byte Folded Spill
	v_add_co_ci_u32_e32 v0, vcc_lo, s21, v128, vcc_lo
	scratch_store_b32 off, v0, off offset:76 ; 4-byte Folded Spill
	v_add_co_u32 v0, vcc_lo, s22, v127
	scratch_store_b32 off, v0, off offset:80 ; 4-byte Folded Spill
	v_add_co_ci_u32_e32 v0, vcc_lo, s23, v128, vcc_lo
	v_lshlrev_b64 v[127:128], 1, v[143:144]
	scratch_store_b32 off, v0, off offset:84 ; 4-byte Folded Spill
	v_add_co_u32 v0, vcc_lo, s20, v127
	scratch_store_b32 off, v0, off offset:88 ; 4-byte Folded Spill
	v_add_co_ci_u32_e32 v0, vcc_lo, s21, v128, vcc_lo
	scratch_store_b32 off, v0, off offset:92 ; 4-byte Folded Spill
	v_add_co_u32 v0, vcc_lo, s22, v127
	scratch_store_b32 off, v0, off offset:96 ; 4-byte Folded Spill
	v_add_co_ci_u32_e32 v0, vcc_lo, s23, v128, vcc_lo
	v_lshlrev_b64 v[127:128], 1, v[145:146]
	v_mov_b32_e32 v145, 0
	scratch_store_b32 off, v0, off offset:100 ; 4-byte Folded Spill
	v_add_co_u32 v0, vcc_lo, s20, v127
	scratch_store_b32 off, v0, off offset:104 ; 4-byte Folded Spill
	v_add_co_ci_u32_e32 v0, vcc_lo, s21, v128, vcc_lo
	scratch_store_b32 off, v0, off offset:108 ; 4-byte Folded Spill
	v_add_co_u32 v0, vcc_lo, s22, v127
	scratch_store_b32 off, v0, off offset:112 ; 4-byte Folded Spill
	v_add_co_ci_u32_e32 v0, vcc_lo, s23, v128, vcc_lo
	v_lshlrev_b64 v[127:128], 1, v[147:148]
	scratch_store_b32 off, v0, off offset:116 ; 4-byte Folded Spill
	v_add_co_u32 v0, vcc_lo, s20, v127
	scratch_store_b32 off, v0, off offset:120 ; 4-byte Folded Spill
	v_add_co_ci_u32_e32 v0, vcc_lo, s21, v128, vcc_lo
	scratch_store_b32 off, v0, off offset:124 ; 4-byte Folded Spill
	v_add_co_u32 v0, vcc_lo, s22, v127
	scratch_store_b32 off, v0, off offset:128 ; 4-byte Folded Spill
	v_add_co_ci_u32_e32 v0, vcc_lo, s23, v128, vcc_lo
	v_lshlrev_b64 v[127:128], 1, v[149:150]
	;; [unrolled: 9-line block ×4, first 2 shown]
	scratch_store_b32 off, v0, off offset:164 ; 4-byte Folded Spill
	v_add_co_u32 v0, vcc_lo, s20, v127
	v_add_co_ci_u32_e32 v180, vcc_lo, s21, v128, vcc_lo
	v_add_co_u32 v181, vcc_lo, s22, v127
	v_add_co_ci_u32_e32 v182, vcc_lo, s23, v128, vcc_lo
	v_lshlrev_b64 v[127:128], 1, v[155:156]
	scratch_store_b32 off, v0, off offset:168 ; 4-byte Folded Spill
	v_add_co_u32 v183, vcc_lo, s20, v127
	v_add_co_ci_u32_e32 v184, vcc_lo, s21, v128, vcc_lo
	v_add_co_u32 v185, vcc_lo, s22, v127
	v_add_co_ci_u32_e32 v186, vcc_lo, s23, v128, vcc_lo
	v_lshlrev_b64 v[127:128], 1, v[157:158]
	s_delay_alu instid0(VALU_DEP_1) | instskip(NEXT) | instid1(VALU_DEP_2)
	v_add_co_u32 v187, vcc_lo, s20, v127
	v_add_co_ci_u32_e32 v188, vcc_lo, s21, v128, vcc_lo
	v_add_co_u32 v189, vcc_lo, s22, v127
	v_add_co_ci_u32_e32 v190, vcc_lo, s23, v128, vcc_lo
	v_lshlrev_b64 v[127:128], 1, v[159:160]
	s_delay_alu instid0(VALU_DEP_1) | instskip(NEXT) | instid1(VALU_DEP_2)
	;; [unrolled: 6-line block ×18, first 2 shown]
	v_add_co_u32 v255, vcc_lo, s20, v127
	v_add_co_ci_u32_e32 v133, vcc_lo, s21, v128, vcc_lo
	v_add_co_u32 v0, vcc_lo, s22, v127
	v_add_co_ci_u32_e32 v134, vcc_lo, s23, v128, vcc_lo
	;; [unrolled: 2-line block ×3, first 2 shown]
	v_add_co_u32 v141, vcc_lo, s22, v125
	v_and_b32_e32 v125, 0x3ff, v129
	v_add_co_ci_u32_e32 v142, vcc_lo, s23, v126, vcc_lo
	v_mov_b32_e32 v126, 0
	s_mov_b64 s[20:21], 31
	scratch_store_b32 off, v125, off offset:292 ; 4-byte Folded Spill
	v_add_nc_u32_e32 v125, s15, v125
	s_mov_b64 s[22:23], s[8:9]
	v_mov_b32_e32 v143, v126
	s_delay_alu instid0(VALU_DEP_2)
	v_lshlrev_b64 v[127:128], 1, v[125:126]
.LBB199_145:                            ; =>This Inner Loop Header: Depth=1
	scratch_load_b32 v125, off, off         ; 4-byte Folded Reload
	s_add_u32 s24, s8, s20
	s_addc_u32 s25, 0, s21
	s_delay_alu instid0(SALU_CYCLE_1) | instskip(SKIP_3) | instid1(VALU_DEP_3)
	v_cmp_ge_i64_e64 s9, s[24:25], s[16:17]
	s_waitcnt vmcnt(0)
	v_add_co_u32 v129, vcc_lo, s8, v125
	v_add_co_ci_u32_e32 v130, vcc_lo, 0, v143, vcc_lo
	s_and_b32 vcc_lo, exec_lo, s9
	s_cbranch_vccz .LBB199_213
; %bb.146:                              ;   in Loop: Header=BB199_145 Depth=1
	s_load_b32 s9, s[10:11], 0xc
	s_clause 0x1
	scratch_load_b32 v125, off, off offset:288
	scratch_load_b32 v131, off, off offset:292
	v_mov_b32_e32 v177, 0
	s_waitcnt lgkmcnt(0)
	s_and_b32 s9, s9, 0xffff
	s_waitcnt vmcnt(0)
	v_mad_u32_u24 v125, v125, s9, v131
	s_mov_b32 s9, exec_lo
	s_delay_alu instid0(VALU_DEP_1) | instskip(NEXT) | instid1(VALU_DEP_1)
	v_and_b32_e32 v125, 31, v125
	v_add_co_u32 v131, vcc_lo, v129, v125
	v_add_co_ci_u32_e32 v132, vcc_lo, 0, v130, vcc_lo
	v_mov_b32_e32 v125, 0
	s_delay_alu instid0(VALU_DEP_2)
	v_cmpx_gt_i64_e64 s[16:17], v[131:132]
	s_cbranch_execz .LBB199_148
; %bb.147:                              ;   in Loop: Header=BB199_145 Depth=1
	v_lshlrev_b64 v[131:132], 2, v[131:132]
	s_delay_alu instid0(VALU_DEP_1) | instskip(NEXT) | instid1(VALU_DEP_2)
	v_add_co_u32 v131, vcc_lo, s6, v131
	v_add_co_ci_u32_e32 v132, vcc_lo, s7, v132, vcc_lo
	global_load_b32 v125, v[131:132], off
.LBB199_148:                            ;   in Loop: Header=BB199_145 Depth=1
	s_or_b32 exec_lo, exec_lo, s9
	v_mov_b32_e32 v178, 0
	s_mov_b32 s9, exec_lo
	v_cmpx_gt_i64_e64 s[16:17], v[129:130]
	s_cbranch_execz .LBB199_150
; %bb.149:                              ;   in Loop: Header=BB199_145 Depth=1
	scratch_load_b32 v131, off, off offset:4 ; 4-byte Folded Reload
	s_waitcnt vmcnt(0)
	v_add_co_u32 v131, vcc_lo, v131, v127
	v_add_co_ci_u32_e32 v132, vcc_lo, v136, v128, vcc_lo
	v_add_co_u32 v146, vcc_lo, v137, v127
	v_add_co_ci_u32_e32 v147, vcc_lo, v138, v128, vcc_lo
	global_load_u16 v131, v[131:132], off
	global_load_u16 v132, v[146:147], off
	s_waitcnt vmcnt(1)
	v_lshlrev_b32_e32 v177, 16, v131
	s_waitcnt vmcnt(0)
	v_lshlrev_b32_e32 v178, 16, v132
.LBB199_150:                            ;   in Loop: Header=BB199_145 Depth=1
	s_or_b32 exec_lo, exec_lo, s9
	v_add_co_u32 v131, vcc_lo, v129, 1
	v_add_co_ci_u32_e32 v132, vcc_lo, 0, v130, vcc_lo
	v_dual_mov_b32 v179, 0 :: v_dual_mov_b32 v176, 0
	v_mov_b32_e32 v144, 0
	s_mov_b32 s9, exec_lo
	s_delay_alu instid0(VALU_DEP_3)
	v_cmpx_gt_i64_e64 s[16:17], v[131:132]
	s_cbranch_execz .LBB199_152
; %bb.151:                              ;   in Loop: Header=BB199_145 Depth=1
	v_add_co_u32 v131, vcc_lo, v139, v127
	v_add_co_ci_u32_e32 v132, vcc_lo, v140, v128, vcc_lo
	v_add_co_u32 v146, vcc_lo, v141, v127
	v_add_co_ci_u32_e32 v147, vcc_lo, v142, v128, vcc_lo
	global_load_u16 v131, v[131:132], off
	global_load_u16 v132, v[146:147], off
	s_waitcnt vmcnt(1)
	v_lshlrev_b32_e32 v176, 16, v131
	s_waitcnt vmcnt(0)
	v_lshlrev_b32_e32 v144, 16, v132
.LBB199_152:                            ;   in Loop: Header=BB199_145 Depth=1
	s_or_b32 exec_lo, exec_lo, s9
	v_add_co_u32 v131, vcc_lo, v129, 2
	v_add_co_ci_u32_e32 v132, vcc_lo, 0, v130, vcc_lo
	v_mov_b32_e32 v175, 0
	s_mov_b32 s9, exec_lo
	s_delay_alu instid0(VALU_DEP_2)
	v_cmpx_gt_i64_e64 s[16:17], v[131:132]
	s_cbranch_execz .LBB199_154
; %bb.153:                              ;   in Loop: Header=BB199_145 Depth=1
	v_add_co_u32 v131, vcc_lo, v255, v127
	v_add_co_ci_u32_e32 v132, vcc_lo, v133, v128, vcc_lo
	v_add_co_u32 v146, vcc_lo, v0, v127
	v_add_co_ci_u32_e32 v147, vcc_lo, v134, v128, vcc_lo
	global_load_u16 v131, v[131:132], off
	global_load_u16 v132, v[146:147], off
	s_waitcnt vmcnt(1)
	v_lshlrev_b32_e32 v179, 16, v131
	s_waitcnt vmcnt(0)
	v_lshlrev_b32_e32 v175, 16, v132
.LBB199_154:                            ;   in Loop: Header=BB199_145 Depth=1
	s_or_b32 exec_lo, exec_lo, s9
	v_add_co_u32 v131, vcc_lo, v129, 3
	v_add_co_ci_u32_e32 v132, vcc_lo, 0, v130, vcc_lo
	v_mov_b32_e32 v146, 0
	s_delay_alu instid0(VALU_DEP_2)
	v_cmp_gt_i64_e32 vcc_lo, s[16:17], v[131:132]
	v_mov_b32_e32 v131, 0
	s_clause 0x1
	scratch_store_b32 off, v146, off offset:172
	scratch_store_b32 off, v131, off offset:176
	v_mov_b32_e32 v131, 0
	scratch_store_b32 off, v131, off offset:180 ; 4-byte Folded Spill
	s_and_saveexec_b32 s9, vcc_lo
	s_cbranch_execz .LBB199_156
; %bb.155:                              ;   in Loop: Header=BB199_145 Depth=1
	v_add_co_u32 v131, vcc_lo, v251, v127
	v_add_co_ci_u32_e32 v132, vcc_lo, v252, v128, vcc_lo
	v_add_co_u32 v146, vcc_lo, v253, v127
	v_add_co_ci_u32_e32 v147, vcc_lo, v254, v128, vcc_lo
	global_load_u16 v131, v[131:132], off
	global_load_u16 v132, v[146:147], off
	s_waitcnt vmcnt(1)
	v_lshlrev_b32_e32 v131, 16, v131
	scratch_store_b32 off, v131, off offset:176 ; 4-byte Folded Spill
	s_waitcnt vmcnt(0)
	v_lshlrev_b32_e32 v131, 16, v132
	scratch_store_b32 off, v131, off offset:180 ; 4-byte Folded Spill
.LBB199_156:                            ;   in Loop: Header=BB199_145 Depth=1
	s_or_b32 exec_lo, exec_lo, s9
	v_add_co_u32 v131, vcc_lo, v129, 4
	v_add_co_ci_u32_e32 v132, vcc_lo, 0, v130, vcc_lo
	s_delay_alu instid0(VALU_DEP_1)
	v_cmp_gt_i64_e32 vcc_lo, s[16:17], v[131:132]
	v_mov_b32_e32 v131, 0
	scratch_store_b32 off, v131, off offset:184 ; 4-byte Folded Spill
	s_and_saveexec_b32 s9, vcc_lo
	s_cbranch_execz .LBB199_158
; %bb.157:                              ;   in Loop: Header=BB199_145 Depth=1
	v_add_co_u32 v131, vcc_lo, v247, v127
	v_add_co_ci_u32_e32 v132, vcc_lo, v248, v128, vcc_lo
	v_add_co_u32 v146, vcc_lo, v249, v127
	v_add_co_ci_u32_e32 v147, vcc_lo, v250, v128, vcc_lo
	global_load_u16 v131, v[131:132], off
	global_load_u16 v132, v[146:147], off
	s_waitcnt vmcnt(1)
	v_lshlrev_b32_e32 v131, 16, v131
	scratch_store_b32 off, v131, off offset:172 ; 4-byte Folded Spill
	s_waitcnt vmcnt(0)
	v_lshlrev_b32_e32 v131, 16, v132
	scratch_store_b32 off, v131, off offset:184 ; 4-byte Folded Spill
.LBB199_158:                            ;   in Loop: Header=BB199_145 Depth=1
	s_or_b32 exec_lo, exec_lo, s9
	v_add_co_u32 v131, vcc_lo, v129, 5
	v_add_co_ci_u32_e32 v132, vcc_lo, 0, v130, vcc_lo
	v_mov_b32_e32 v146, 0
	s_delay_alu instid0(VALU_DEP_2)
	v_cmp_gt_i64_e32 vcc_lo, s[16:17], v[131:132]
	v_mov_b32_e32 v131, 0
	s_clause 0x1
	scratch_store_b32 off, v146, off offset:188
	scratch_store_b32 off, v131, off offset:192
	v_mov_b32_e32 v131, 0
	scratch_store_b32 off, v131, off offset:196 ; 4-byte Folded Spill
	s_and_saveexec_b32 s9, vcc_lo
	s_cbranch_execz .LBB199_160
; %bb.159:                              ;   in Loop: Header=BB199_145 Depth=1
	v_add_co_u32 v131, vcc_lo, v243, v127
	v_add_co_ci_u32_e32 v132, vcc_lo, v244, v128, vcc_lo
	v_add_co_u32 v146, vcc_lo, v245, v127
	v_add_co_ci_u32_e32 v147, vcc_lo, v246, v128, vcc_lo
	global_load_u16 v131, v[131:132], off
	global_load_u16 v132, v[146:147], off
	s_waitcnt vmcnt(1)
	v_lshlrev_b32_e32 v131, 16, v131
	scratch_store_b32 off, v131, off offset:192 ; 4-byte Folded Spill
	s_waitcnt vmcnt(0)
	v_lshlrev_b32_e32 v131, 16, v132
	scratch_store_b32 off, v131, off offset:196 ; 4-byte Folded Spill
.LBB199_160:                            ;   in Loop: Header=BB199_145 Depth=1
	s_or_b32 exec_lo, exec_lo, s9
	v_add_co_u32 v131, vcc_lo, v129, 6
	v_add_co_ci_u32_e32 v132, vcc_lo, 0, v130, vcc_lo
	s_delay_alu instid0(VALU_DEP_1)
	v_cmp_gt_i64_e32 vcc_lo, s[16:17], v[131:132]
	v_mov_b32_e32 v131, 0
	scratch_store_b32 off, v131, off offset:200 ; 4-byte Folded Spill
	s_and_saveexec_b32 s9, vcc_lo
	s_cbranch_execz .LBB199_162
; %bb.161:                              ;   in Loop: Header=BB199_145 Depth=1
	v_add_co_u32 v131, vcc_lo, v239, v127
	v_add_co_ci_u32_e32 v132, vcc_lo, v240, v128, vcc_lo
	v_add_co_u32 v146, vcc_lo, v241, v127
	v_add_co_ci_u32_e32 v147, vcc_lo, v242, v128, vcc_lo
	global_load_u16 v131, v[131:132], off
	global_load_u16 v132, v[146:147], off
	s_waitcnt vmcnt(1)
	v_lshlrev_b32_e32 v131, 16, v131
	scratch_store_b32 off, v131, off offset:188 ; 4-byte Folded Spill
	s_waitcnt vmcnt(0)
	v_lshlrev_b32_e32 v131, 16, v132
	scratch_store_b32 off, v131, off offset:200 ; 4-byte Folded Spill
.LBB199_162:                            ;   in Loop: Header=BB199_145 Depth=1
	;; [unrolled: 51-line block ×7, first 2 shown]
	s_or_b32 exec_lo, exec_lo, s9
	v_add_co_u32 v146, vcc_lo, v129, 17
	v_add_co_ci_u32_e32 v147, vcc_lo, 0, v130, vcc_lo
	v_dual_mov_b32 v135, 0 :: v_dual_mov_b32 v132, 0
	s_delay_alu instid0(VALU_DEP_2)
	v_cmp_gt_i64_e32 vcc_lo, s[16:17], v[146:147]
	v_mov_b32_e32 v146, 0
	scratch_store_b32 off, v132, off offset:284 ; 4-byte Folded Spill
	s_and_saveexec_b32 s9, vcc_lo
	s_cbranch_execz .LBB199_184
; %bb.183:                              ;   in Loop: Header=BB199_145 Depth=1
	v_add_co_u32 v146, vcc_lo, v195, v127
	v_add_co_ci_u32_e32 v147, vcc_lo, v196, v128, vcc_lo
	v_add_co_u32 v148, vcc_lo, v197, v127
	v_add_co_ci_u32_e32 v149, vcc_lo, v198, v128, vcc_lo
	global_load_u16 v132, v[146:147], off
	global_load_u16 v147, v[148:149], off
	s_waitcnt vmcnt(1)
	v_lshlrev_b32_e32 v146, 16, v132
	s_waitcnt vmcnt(0)
	v_lshlrev_b32_e32 v132, 16, v147
	scratch_store_b32 off, v132, off offset:284 ; 4-byte Folded Spill
.LBB199_184:                            ;   in Loop: Header=BB199_145 Depth=1
	s_or_b32 exec_lo, exec_lo, s9
	v_add_co_u32 v148, vcc_lo, v129, 18
	v_add_co_ci_u32_e32 v149, vcc_lo, 0, v130, vcc_lo
	s_delay_alu instid0(VALU_DEP_1)
	v_cmp_gt_i64_e32 vcc_lo, s[16:17], v[148:149]
	v_mov_b32_e32 v148, 0
	s_and_saveexec_b32 s9, vcc_lo
	s_cbranch_execz .LBB199_186
; %bb.185:                              ;   in Loop: Header=BB199_145 Depth=1
	v_add_co_u32 v131, vcc_lo, v191, v127
	v_add_co_ci_u32_e32 v132, vcc_lo, v192, v128, vcc_lo
	v_add_co_u32 v148, vcc_lo, v193, v127
	v_add_co_ci_u32_e32 v149, vcc_lo, v194, v128, vcc_lo
	global_load_u16 v131, v[131:132], off
	global_load_u16 v132, v[148:149], off
	s_waitcnt vmcnt(1)
	v_lshlrev_b32_e32 v135, 16, v131
	s_waitcnt vmcnt(0)
	v_lshlrev_b32_e32 v148, 16, v132
.LBB199_186:                            ;   in Loop: Header=BB199_145 Depth=1
	s_or_b32 exec_lo, exec_lo, s9
	v_add_co_u32 v150, vcc_lo, v129, 19
	v_add_co_ci_u32_e32 v151, vcc_lo, 0, v130, vcc_lo
	v_mov_b32_e32 v149, 0
	s_delay_alu instid0(VALU_DEP_2)
	v_cmp_gt_i64_e32 vcc_lo, s[16:17], v[150:151]
	v_dual_mov_b32 v150, 0 :: v_dual_mov_b32 v151, 0
	s_and_saveexec_b32 s9, vcc_lo
	s_cbranch_execz .LBB199_188
; %bb.187:                              ;   in Loop: Header=BB199_145 Depth=1
	v_add_co_u32 v150, vcc_lo, v187, v127
	v_add_co_ci_u32_e32 v151, vcc_lo, v188, v128, vcc_lo
	v_add_co_u32 v152, vcc_lo, v189, v127
	v_add_co_ci_u32_e32 v153, vcc_lo, v190, v128, vcc_lo
	global_load_u16 v132, v[150:151], off
	global_load_u16 v151, v[152:153], off
	s_waitcnt vmcnt(1)
	v_lshlrev_b32_e32 v150, 16, v132
	s_waitcnt vmcnt(0)
	v_lshlrev_b32_e32 v151, 16, v151
.LBB199_188:                            ;   in Loop: Header=BB199_145 Depth=1
	s_or_b32 exec_lo, exec_lo, s9
	v_add_co_u32 v152, vcc_lo, v129, 20
	v_add_co_ci_u32_e32 v153, vcc_lo, 0, v130, vcc_lo
	s_delay_alu instid0(VALU_DEP_1)
	v_cmp_gt_i64_e32 vcc_lo, s[16:17], v[152:153]
	v_mov_b32_e32 v152, 0
	s_and_saveexec_b32 s9, vcc_lo
	s_cbranch_execz .LBB199_190
; %bb.189:                              ;   in Loop: Header=BB199_145 Depth=1
	v_add_co_u32 v152, vcc_lo, v183, v127
	v_add_co_ci_u32_e32 v153, vcc_lo, v184, v128, vcc_lo
	v_add_co_u32 v154, vcc_lo, v185, v127
	v_add_co_ci_u32_e32 v155, vcc_lo, v186, v128, vcc_lo
	global_load_u16 v132, v[152:153], off
	global_load_u16 v152, v[154:155], off
	s_waitcnt vmcnt(1)
	v_lshlrev_b32_e32 v149, 16, v132
	s_waitcnt vmcnt(0)
	v_lshlrev_b32_e32 v152, 16, v152
.LBB199_190:                            ;   in Loop: Header=BB199_145 Depth=1
	s_or_b32 exec_lo, exec_lo, s9
	v_add_co_u32 v154, vcc_lo, v129, 21
	v_add_co_ci_u32_e32 v155, vcc_lo, 0, v130, vcc_lo
	v_mov_b32_e32 v153, 0
	s_delay_alu instid0(VALU_DEP_2)
	v_cmp_gt_i64_e32 vcc_lo, s[16:17], v[154:155]
	v_dual_mov_b32 v154, 0 :: v_dual_mov_b32 v155, 0
	s_and_saveexec_b32 s9, vcc_lo
	s_cbranch_execz .LBB199_192
; %bb.191:                              ;   in Loop: Header=BB199_145 Depth=1
	scratch_load_b32 v132, off, off offset:168 ; 4-byte Folded Reload
	s_waitcnt vmcnt(0)
	v_add_co_u32 v154, vcc_lo, v132, v127
	v_add_co_ci_u32_e32 v155, vcc_lo, v180, v128, vcc_lo
	v_add_co_u32 v156, vcc_lo, v181, v127
	v_add_co_ci_u32_e32 v157, vcc_lo, v182, v128, vcc_lo
	global_load_u16 v132, v[154:155], off
	global_load_u16 v155, v[156:157], off
	s_waitcnt vmcnt(1)
	v_lshlrev_b32_e32 v154, 16, v132
	s_waitcnt vmcnt(0)
	v_lshlrev_b32_e32 v155, 16, v155
.LBB199_192:                            ;   in Loop: Header=BB199_145 Depth=1
	s_or_b32 exec_lo, exec_lo, s9
	v_add_co_u32 v156, vcc_lo, v129, 22
	v_add_co_ci_u32_e32 v157, vcc_lo, 0, v130, vcc_lo
	s_delay_alu instid0(VALU_DEP_1)
	v_cmp_gt_i64_e32 vcc_lo, s[16:17], v[156:157]
	v_mov_b32_e32 v156, 0
	s_and_saveexec_b32 s9, vcc_lo
	s_cbranch_execz .LBB199_194
; %bb.193:                              ;   in Loop: Header=BB199_145 Depth=1
	scratch_load_b32 v132, off, off offset:152 ; 4-byte Folded Reload
	s_waitcnt vmcnt(0)
	v_add_co_u32 v156, vcc_lo, v132, v127
	scratch_load_b32 v132, off, off offset:156 ; 4-byte Folded Reload
	s_waitcnt vmcnt(0)
	v_add_co_ci_u32_e32 v157, vcc_lo, v132, v128, vcc_lo
	scratch_load_b32 v132, off, off offset:160 ; 4-byte Folded Reload
	s_waitcnt vmcnt(0)
	v_add_co_u32 v158, vcc_lo, v132, v127
	scratch_load_b32 v132, off, off offset:164 ; 4-byte Folded Reload
	s_waitcnt vmcnt(0)
	v_add_co_ci_u32_e32 v159, vcc_lo, v132, v128, vcc_lo
	global_load_u16 v132, v[156:157], off
	global_load_u16 v156, v[158:159], off
	s_waitcnt vmcnt(1)
	v_lshlrev_b32_e32 v153, 16, v132
	s_waitcnt vmcnt(0)
	v_lshlrev_b32_e32 v156, 16, v156
.LBB199_194:                            ;   in Loop: Header=BB199_145 Depth=1
	s_or_b32 exec_lo, exec_lo, s9
	v_add_co_u32 v158, vcc_lo, v129, 23
	v_add_co_ci_u32_e32 v159, vcc_lo, 0, v130, vcc_lo
	v_mov_b32_e32 v157, 0
	s_delay_alu instid0(VALU_DEP_2)
	v_cmp_gt_i64_e32 vcc_lo, s[16:17], v[158:159]
	v_dual_mov_b32 v158, 0 :: v_dual_mov_b32 v159, 0
	s_and_saveexec_b32 s9, vcc_lo
	s_cbranch_execz .LBB199_196
; %bb.195:                              ;   in Loop: Header=BB199_145 Depth=1
	scratch_load_b32 v132, off, off offset:136 ; 4-byte Folded Reload
	s_waitcnt vmcnt(0)
	v_add_co_u32 v158, vcc_lo, v132, v127
	scratch_load_b32 v132, off, off offset:140 ; 4-byte Folded Reload
	s_waitcnt vmcnt(0)
	v_add_co_ci_u32_e32 v159, vcc_lo, v132, v128, vcc_lo
	scratch_load_b32 v132, off, off offset:144 ; 4-byte Folded Reload
	s_waitcnt vmcnt(0)
	v_add_co_u32 v160, vcc_lo, v132, v127
	scratch_load_b32 v132, off, off offset:148 ; 4-byte Folded Reload
	s_waitcnt vmcnt(0)
	v_add_co_ci_u32_e32 v161, vcc_lo, v132, v128, vcc_lo
	global_load_u16 v132, v[158:159], off
	global_load_u16 v159, v[160:161], off
	s_waitcnt vmcnt(1)
	v_lshlrev_b32_e32 v158, 16, v132
	s_waitcnt vmcnt(0)
	v_lshlrev_b32_e32 v159, 16, v159
.LBB199_196:                            ;   in Loop: Header=BB199_145 Depth=1
	s_or_b32 exec_lo, exec_lo, s9
	v_add_co_u32 v160, vcc_lo, v129, 24
	v_add_co_ci_u32_e32 v161, vcc_lo, 0, v130, vcc_lo
	s_delay_alu instid0(VALU_DEP_1)
	v_cmp_gt_i64_e32 vcc_lo, s[16:17], v[160:161]
	v_mov_b32_e32 v160, 0
	s_and_saveexec_b32 s9, vcc_lo
	s_cbranch_execz .LBB199_198
; %bb.197:                              ;   in Loop: Header=BB199_145 Depth=1
	scratch_load_b32 v132, off, off offset:120 ; 4-byte Folded Reload
	s_waitcnt vmcnt(0)
	v_add_co_u32 v160, vcc_lo, v132, v127
	scratch_load_b32 v132, off, off offset:124 ; 4-byte Folded Reload
	s_waitcnt vmcnt(0)
	v_add_co_ci_u32_e32 v161, vcc_lo, v132, v128, vcc_lo
	scratch_load_b32 v132, off, off offset:128 ; 4-byte Folded Reload
	s_waitcnt vmcnt(0)
	v_add_co_u32 v162, vcc_lo, v132, v127
	scratch_load_b32 v132, off, off offset:132 ; 4-byte Folded Reload
	s_waitcnt vmcnt(0)
	v_add_co_ci_u32_e32 v163, vcc_lo, v132, v128, vcc_lo
	global_load_u16 v132, v[160:161], off
	global_load_u16 v160, v[162:163], off
	s_waitcnt vmcnt(1)
	v_lshlrev_b32_e32 v157, 16, v132
	s_waitcnt vmcnt(0)
	v_lshlrev_b32_e32 v160, 16, v160
.LBB199_198:                            ;   in Loop: Header=BB199_145 Depth=1
	s_or_b32 exec_lo, exec_lo, s9
	v_add_co_u32 v162, vcc_lo, v129, 25
	v_add_co_ci_u32_e32 v163, vcc_lo, 0, v130, vcc_lo
	v_mov_b32_e32 v161, 0
	s_delay_alu instid0(VALU_DEP_2)
	v_cmp_gt_i64_e32 vcc_lo, s[16:17], v[162:163]
	v_dual_mov_b32 v162, 0 :: v_dual_mov_b32 v163, 0
	s_and_saveexec_b32 s9, vcc_lo
	s_cbranch_execz .LBB199_200
; %bb.199:                              ;   in Loop: Header=BB199_145 Depth=1
	scratch_load_b32 v132, off, off offset:104 ; 4-byte Folded Reload
	s_waitcnt vmcnt(0)
	v_add_co_u32 v162, vcc_lo, v132, v127
	scratch_load_b32 v132, off, off offset:108 ; 4-byte Folded Reload
	s_waitcnt vmcnt(0)
	v_add_co_ci_u32_e32 v163, vcc_lo, v132, v128, vcc_lo
	scratch_load_b32 v132, off, off offset:112 ; 4-byte Folded Reload
	s_waitcnt vmcnt(0)
	v_add_co_u32 v164, vcc_lo, v132, v127
	scratch_load_b32 v132, off, off offset:116 ; 4-byte Folded Reload
	s_waitcnt vmcnt(0)
	v_add_co_ci_u32_e32 v165, vcc_lo, v132, v128, vcc_lo
	global_load_u16 v132, v[162:163], off
	global_load_u16 v163, v[164:165], off
	s_waitcnt vmcnt(1)
	v_lshlrev_b32_e32 v162, 16, v132
	s_waitcnt vmcnt(0)
	v_lshlrev_b32_e32 v163, 16, v163
.LBB199_200:                            ;   in Loop: Header=BB199_145 Depth=1
	;; [unrolled: 57-line block ×4, first 2 shown]
	s_or_b32 exec_lo, exec_lo, s9
	v_add_co_u32 v172, vcc_lo, v129, 30
	v_add_co_ci_u32_e32 v173, vcc_lo, 0, v130, vcc_lo
	s_delay_alu instid0(VALU_DEP_1)
	v_cmp_gt_i64_e32 vcc_lo, s[16:17], v[172:173]
	v_mov_b32_e32 v172, 0
	s_and_saveexec_b32 s9, vcc_lo
	s_cbranch_execz .LBB199_210
; %bb.209:                              ;   in Loop: Header=BB199_145 Depth=1
	scratch_load_b32 v132, off, off offset:24 ; 4-byte Folded Reload
	v_mov_b32_e32 v131, v175
	s_waitcnt vmcnt(0)
	v_add_co_u32 v172, vcc_lo, v132, v127
	scratch_load_b32 v132, off, off offset:28 ; 4-byte Folded Reload
	s_waitcnt vmcnt(0)
	v_add_co_ci_u32_e32 v173, vcc_lo, v132, v128, vcc_lo
	scratch_load_b32 v132, off, off offset:32 ; 4-byte Folded Reload
	s_waitcnt vmcnt(0)
	v_add_co_u32 v174, vcc_lo, v132, v127
	scratch_load_b32 v132, off, off offset:36 ; 4-byte Folded Reload
	s_waitcnt vmcnt(0)
	v_add_co_ci_u32_e32 v175, vcc_lo, v132, v128, vcc_lo
	global_load_u16 v132, v[172:173], off
	global_load_u16 v172, v[174:175], off
	s_waitcnt vmcnt(1)
	v_lshlrev_b32_e32 v169, 16, v132
	s_waitcnt vmcnt(0)
	v_dual_mov_b32 v175, v131 :: v_dual_lshlrev_b32 v172, 16, v172
.LBB199_210:                            ;   in Loop: Header=BB199_145 Depth=1
	s_or_b32 exec_lo, exec_lo, s9
	v_add_co_u32 v173, vcc_lo, v129, 31
	v_dual_mov_b32 v147, v146 :: v_dual_mov_b32 v132, 0
	v_add_co_ci_u32_e32 v174, vcc_lo, 0, v130, vcc_lo
	s_mov_b32 s9, exec_lo
	s_delay_alu instid0(VALU_DEP_1)
	v_cmpx_gt_i64_e64 s[16:17], v[173:174]
	s_cbranch_execz .LBB199_212
; %bb.211:                              ;   in Loop: Header=BB199_145 Depth=1
	scratch_load_b32 v132, off, off offset:16 ; 4-byte Folded Reload
	v_dual_mov_b32 v146, v175 :: v_dual_mov_b32 v131, v142
	v_dual_mov_b32 v142, v141 :: v_dual_mov_b32 v141, v140
	;; [unrolled: 1-line block ×3, first 2 shown]
	v_mov_b32_e32 v134, v0
	v_dual_mov_b32 v0, v133 :: v_dual_mov_b32 v133, v255
	v_dual_mov_b32 v255, v254 :: v_dual_mov_b32 v254, v253
	;; [unrolled: 1-line block ×38, first 2 shown]
	v_mov_b32_e32 v181, v180
	v_mov_b32_e32 v180, v144
	v_dual_mov_b32 v144, v179 :: v_dual_mov_b32 v179, v178
	v_dual_mov_b32 v178, v177 :: v_dual_mov_b32 v177, v176
	s_waitcnt vmcnt(0)
	v_add_co_u32 v173, vcc_lo, v132, v127
	scratch_load_b32 v132, off, off offset:20 ; 4-byte Folded Reload
	s_waitcnt vmcnt(0)
	v_add_co_ci_u32_e32 v174, vcc_lo, v132, v128, vcc_lo
	scratch_load_b32 v132, off, off offset:8 ; 4-byte Folded Reload
	s_waitcnt vmcnt(0)
	v_add_co_u32 v175, vcc_lo, v132, v127
	scratch_load_b32 v132, off, off offset:12 ; 4-byte Folded Reload
	s_waitcnt vmcnt(0)
	v_add_co_ci_u32_e32 v176, vcc_lo, v132, v128, vcc_lo
	global_load_u16 v132, v[173:174], off
	global_load_u16 v173, v[175:176], off
	v_dual_mov_b32 v175, v146 :: v_dual_mov_b32 v176, v177
	v_dual_mov_b32 v177, v178 :: v_dual_mov_b32 v178, v179
	v_mov_b32_e32 v179, v144
	v_mov_b32_e32 v144, v180
	v_dual_mov_b32 v180, v181 :: v_dual_mov_b32 v181, v182
	v_dual_mov_b32 v182, v183 :: v_dual_mov_b32 v183, v184
	;; [unrolled: 1-line block ×41, first 2 shown]
	v_mov_b32_e32 v142, v131
	s_waitcnt vmcnt(1)
	v_lshlrev_b32_e32 v132, 16, v132
	s_waitcnt vmcnt(0)
	v_lshlrev_b32_e32 v173, 16, v173
	s_delay_alu instid0(VALU_DEP_1)
	v_mul_f32_e32 v132, v173, v132
.LBB199_212:                            ;   in Loop: Header=BB199_145 Depth=1
	s_or_b32 exec_lo, exec_lo, s9
	s_clause 0x1
	scratch_load_b32 v131, off, off offset:176
	scratch_load_b32 v146, off, off offset:180
	v_dual_mul_f32 v173, v177, v178 :: v_dual_mul_f32 v174, v176, v144
	s_waitcnt vmcnt(2)
	ds_bpermute_b32 v144, v126, v125
	ds_bpermute_b32 v176, v126, v125 offset:60
	ds_bpermute_b32 v178, v126, v125 offset:64
	s_waitcnt lgkmcnt(2)
	v_fma_f32 v144, v173, v144, v145
	ds_bpermute_b32 v173, v126, v125 offset:4
	s_waitcnt lgkmcnt(0)
	v_dual_fmac_f32 v144, v174, v173 :: v_dual_mul_f32 v173, v179, v175
	ds_bpermute_b32 v174, v126, v125 offset:8
	ds_bpermute_b32 v179, v126, v125 offset:72
	s_waitcnt lgkmcnt(1)
	v_fmac_f32_e32 v144, v173, v174
	ds_bpermute_b32 v174, v126, v125 offset:12
	s_waitcnt vmcnt(0)
	v_mul_f32_e32 v173, v131, v146
	s_clause 0x1
	scratch_load_b32 v131, off, off offset:172
	scratch_load_b32 v146, off, off offset:184
	s_waitcnt lgkmcnt(0)
	v_fmac_f32_e32 v144, v173, v174
	ds_bpermute_b32 v174, v126, v125 offset:16
	s_waitcnt vmcnt(0)
	v_mul_f32_e32 v173, v131, v146
	s_clause 0x1
	scratch_load_b32 v131, off, off offset:192
	scratch_load_b32 v146, off, off offset:196
	;; [unrolled: 8-line block ×10, first 2 shown]
	s_waitcnt lgkmcnt(0)
	v_fmac_f32_e32 v144, v173, v174
	ds_bpermute_b32 v173, v126, v125 offset:52
	ds_bpermute_b32 v174, v126, v125 offset:56
	s_waitcnt vmcnt(0)
	v_mul_f32_e32 v175, v131, v146
	s_clause 0x1
	scratch_load_b32 v131, off, off offset:252
	scratch_load_b32 v146, off, off offset:264
	s_waitcnt lgkmcnt(1)
	v_fmac_f32_e32 v144, v175, v173
	ds_bpermute_b32 v173, v126, v125 offset:68
	s_waitcnt vmcnt(0)
	v_mul_f32_e32 v177, v131, v146
	s_clause 0x1
	scratch_load_b32 v131, off, off offset:272
	scratch_load_b32 v146, off, off offset:276
	s_waitcnt lgkmcnt(1)
	v_fmac_f32_e32 v144, v177, v174
	ds_bpermute_b32 v177, v126, v125 offset:76
	s_waitcnt vmcnt(0)
	v_mul_f32_e32 v175, v131, v146
	s_clause 0x1
	scratch_load_b32 v131, off, off offset:268
	scratch_load_b32 v146, off, off offset:280
	v_fmac_f32_e32 v144, v175, v176
	s_waitcnt vmcnt(0)
	v_mul_f32_e32 v174, v131, v146
	scratch_load_b32 v131, off, off offset:284 ; 4-byte Folded Reload
	v_fmac_f32_e32 v144, v174, v178
	s_waitcnt vmcnt(0)
	v_mul_f32_e32 v146, v147, v131
	ds_bpermute_b32 v147, v126, v125 offset:80
	v_mul_f32_e32 v131, v135, v148
	ds_bpermute_b32 v148, v126, v125 offset:84
	s_waitcnt lgkmcnt(3)
	v_fmac_f32_e32 v144, v146, v173
	v_mul_f32_e32 v146, v150, v151
	ds_bpermute_b32 v150, v126, v125 offset:88
	ds_bpermute_b32 v151, v126, v125 offset:96
	v_dual_fmac_f32 v144, v131, v179 :: v_dual_mul_f32 v131, v149, v152
	ds_bpermute_b32 v149, v126, v125 offset:92
	s_waitcnt lgkmcnt(5)
	v_fmac_f32_e32 v144, v146, v177
	v_mul_f32_e32 v146, v154, v155
	s_waitcnt lgkmcnt(4)
	s_delay_alu instid0(VALU_DEP_2)
	v_dual_fmac_f32 v144, v131, v147 :: v_dual_mul_f32 v131, v153, v156
	ds_bpermute_b32 v147, v126, v125 offset:100
	s_waitcnt lgkmcnt(4)
	v_fmac_f32_e32 v144, v146, v148
	v_mul_f32_e32 v146, v158, v159
	ds_bpermute_b32 v148, v126, v125 offset:104
	s_waitcnt lgkmcnt(4)
	v_dual_fmac_f32 v144, v131, v150 :: v_dual_mul_f32 v131, v157, v160
	ds_bpermute_b32 v150, v126, v125 offset:108
	s_waitcnt lgkmcnt(3)
	v_fmac_f32_e32 v144, v146, v149
	v_mul_f32_e32 v146, v162, v163
	ds_bpermute_b32 v149, v126, v125 offset:112
	v_dual_fmac_f32 v144, v131, v151 :: v_dual_mul_f32 v131, v161, v164
	ds_bpermute_b32 v151, v126, v125 offset:116
	s_waitcnt lgkmcnt(4)
	v_dual_fmac_f32 v144, v146, v147 :: v_dual_mul_f32 v147, v165, v168
	v_mul_f32_e32 v146, v166, v167
	s_waitcnt lgkmcnt(3)
	s_delay_alu instid0(VALU_DEP_2)
	v_fmac_f32_e32 v144, v131, v148
	ds_bpermute_b32 v131, v126, v125 offset:120
	ds_bpermute_b32 v125, v126, v125 offset:124
	s_waitcnt lgkmcnt(4)
	v_fmac_f32_e32 v144, v146, v150
	v_mul_f32_e32 v146, v170, v171
	s_waitcnt lgkmcnt(3)
	s_delay_alu instid0(VALU_DEP_2) | instskip(SKIP_1) | instid1(VALU_DEP_1)
	v_fmac_f32_e32 v144, v147, v149
	s_waitcnt lgkmcnt(2)
	v_fmac_f32_e32 v144, v146, v151
	v_mul_f32_e32 v146, v169, v172
	s_waitcnt lgkmcnt(1)
	s_delay_alu instid0(VALU_DEP_1) | instskip(SKIP_1) | instid1(VALU_DEP_1)
	v_fmac_f32_e32 v144, v146, v131
	s_waitcnt lgkmcnt(0)
	v_fmac_f32_e32 v144, v132, v125
	s_branch .LBB199_217
.LBB199_213:                            ;   in Loop: Header=BB199_145 Depth=1
                                        ; implicit-def: $vgpr144
	s_cbranch_execz .LBB199_217
; %bb.214:                              ;   in Loop: Header=BB199_145 Depth=1
	s_load_b32 s9, s[10:11], 0x0
	s_waitcnt lgkmcnt(0)
	s_cmp_lt_u32 s14, s9
	s_cselect_b32 s9, 12, 18
	s_delay_alu instid0(SALU_CYCLE_1)
	s_add_u32 s24, s10, s9
	s_addc_u32 s25, s11, 0
	s_mov_b32 s9, exec_lo
	global_load_u16 v125, v126, s[24:25]
	s_clause 0x1
	scratch_load_b32 v131, off, off offset:288
	scratch_load_b32 v132, off, off offset:292
	s_waitcnt vmcnt(0)
	v_mad_u32_u24 v125, v131, v125, v132
	s_delay_alu instid0(VALU_DEP_1) | instskip(NEXT) | instid1(VALU_DEP_1)
	v_and_b32_e32 v125, 31, v125
	v_add_co_u32 v129, vcc_lo, v129, v125
	v_add_co_ci_u32_e32 v130, vcc_lo, 0, v130, vcc_lo
	v_mov_b32_e32 v125, 0
	s_delay_alu instid0(VALU_DEP_2)
	v_cmpx_gt_i64_e64 s[16:17], v[129:130]
	s_cbranch_execz .LBB199_216
; %bb.215:                              ;   in Loop: Header=BB199_145 Depth=1
	v_lshlrev_b64 v[129:130], 2, v[129:130]
	s_delay_alu instid0(VALU_DEP_1) | instskip(NEXT) | instid1(VALU_DEP_2)
	v_add_co_u32 v129, vcc_lo, s6, v129
	v_add_co_ci_u32_e32 v130, vcc_lo, s7, v130, vcc_lo
	global_load_b32 v125, v[129:130], off
.LBB199_216:                            ;   in Loop: Header=BB199_145 Depth=1
	s_or_b32 exec_lo, exec_lo, s9
	scratch_load_b32 v129, off, off offset:4 ; 4-byte Folded Reload
	s_waitcnt vmcnt(0)
	v_add_co_u32 v129, vcc_lo, v129, v127
	v_add_co_ci_u32_e32 v130, vcc_lo, v136, v128, vcc_lo
	global_load_u16 v131, v[129:130], off
	v_add_co_u32 v129, vcc_lo, v137, v127
	v_add_co_ci_u32_e32 v130, vcc_lo, v138, v128, vcc_lo
	global_load_u16 v129, v[129:130], off
	s_waitcnt vmcnt(1)
	v_lshlrev_b32_e32 v130, 16, v131
	s_waitcnt vmcnt(0)
	v_lshlrev_b32_e32 v129, 16, v129
	s_delay_alu instid0(VALU_DEP_1)
	v_mul_f32_e32 v129, v130, v129
	ds_bpermute_b32 v130, v126, v125
	s_waitcnt lgkmcnt(0)
	v_fmac_f32_e32 v145, v129, v130
	v_add_co_u32 v129, vcc_lo, v1, v127
	v_add_co_ci_u32_e32 v130, vcc_lo, v2, v128, vcc_lo
	global_load_u16 v131, v[129:130], off
	v_add_co_u32 v129, vcc_lo, v9, v127
	v_add_co_ci_u32_e32 v130, vcc_lo, v10, v128, vcc_lo
	global_load_u16 v129, v[129:130], off
	s_waitcnt vmcnt(1)
	v_lshlrev_b32_e32 v130, 16, v131
	s_waitcnt vmcnt(0)
	v_lshlrev_b32_e32 v129, 16, v129
	s_delay_alu instid0(VALU_DEP_1)
	v_mul_f32_e32 v129, v130, v129
	ds_bpermute_b32 v130, v126, v125 offset:4
	s_waitcnt lgkmcnt(0)
	v_fmac_f32_e32 v145, v129, v130
	v_add_co_u32 v129, vcc_lo, v3, v127
	v_add_co_ci_u32_e32 v130, vcc_lo, v4, v128, vcc_lo
	global_load_u16 v131, v[129:130], off
	v_add_co_u32 v129, vcc_lo, v13, v127
	v_add_co_ci_u32_e32 v130, vcc_lo, v14, v128, vcc_lo
	global_load_u16 v129, v[129:130], off
	s_waitcnt vmcnt(1)
	v_lshlrev_b32_e32 v130, 16, v131
	s_waitcnt vmcnt(0)
	v_lshlrev_b32_e32 v129, 16, v129
	s_delay_alu instid0(VALU_DEP_1)
	v_mul_f32_e32 v129, v130, v129
	ds_bpermute_b32 v130, v126, v125 offset:8
	;; [unrolled: 15-line block ×30, first 2 shown]
	ds_bpermute_b32 v125, v126, v125 offset:124
	s_waitcnt lgkmcnt(1)
	v_fmac_f32_e32 v145, v129, v130
	v_add_co_u32 v129, vcc_lo, v123, v127
	v_add_co_ci_u32_e32 v130, vcc_lo, v124, v128, vcc_lo
	global_load_u16 v131, v[129:130], off
	v_add_co_u32 v129, vcc_lo, v121, v127
	v_add_co_ci_u32_e32 v130, vcc_lo, v122, v128, vcc_lo
	global_load_u16 v129, v[129:130], off
	s_waitcnt vmcnt(1)
	v_lshlrev_b32_e32 v130, 16, v131
	s_waitcnt vmcnt(0)
	v_lshlrev_b32_e32 v129, 16, v129
	s_delay_alu instid0(VALU_DEP_1) | instskip(SKIP_1) | instid1(VALU_DEP_1)
	v_mul_f32_e32 v129, v129, v130
	s_waitcnt lgkmcnt(0)
	v_fmac_f32_e32 v145, v129, v125
	s_delay_alu instid0(VALU_DEP_1)
	v_mov_b32_e32 v144, v145
.LBB199_217:                            ;   in Loop: Header=BB199_145 Depth=1
	scratch_load_b32 v125, off, off offset:4 ; 4-byte Folded Reload
	v_add_co_u32 v1, vcc_lo, v1, s12
	v_add_co_ci_u32_e32 v2, vcc_lo, s13, v2, vcc_lo
	v_add_co_u32 v3, vcc_lo, v3, s12
	v_add_co_ci_u32_e32 v4, vcc_lo, s13, v4, vcc_lo
	;; [unrolled: 2-line block ×31, first 2 shown]
	s_add_u32 s22, s22, s3
	s_addc_u32 s23, s23, 0
	s_add_u32 s20, s20, s3
	v_cmp_ge_i64_e64 s9, s[22:23], s[16:17]
	s_addc_u32 s21, s21, 0
	s_waitcnt vmcnt(0)
	v_add_co_u32 v125, vcc_lo, v125, s12
	v_add_co_ci_u32_e32 v136, vcc_lo, s13, v136, vcc_lo
	v_add_co_u32 v9, vcc_lo, v9, s12
	scratch_store_b32 off, v125, off offset:4 ; 4-byte Folded Spill
	scratch_load_b32 v125, off, off         ; 4-byte Folded Reload
	v_add_co_ci_u32_e32 v10, vcc_lo, s13, v10, vcc_lo
	v_add_co_u32 v13, vcc_lo, v13, s12
	v_add_co_ci_u32_e32 v14, vcc_lo, s13, v14, vcc_lo
	v_add_co_u32 v15, vcc_lo, v15, s12
	;; [unrolled: 2-line block ×31, first 2 shown]
	v_add_co_ci_u32_e32 v138, vcc_lo, s13, v138, vcc_lo
	s_waitcnt vmcnt(0)
	v_add_co_u32 v125, vcc_lo, v125, s3
	v_add_co_ci_u32_e32 v143, vcc_lo, 0, v143, vcc_lo
	scratch_store_b32 off, v125, off        ; 4-byte Folded Spill
	scratch_load_b32 v125, off, off offset:8 ; 4-byte Folded Reload
	s_waitcnt vmcnt(0)
	v_add_co_u32 v125, vcc_lo, v125, s12
	scratch_store_b32 off, v125, off offset:8 ; 4-byte Folded Spill
	scratch_load_b32 v125, off, off offset:12 ; 4-byte Folded Reload
	s_waitcnt vmcnt(0)
	v_add_co_ci_u32_e32 v125, vcc_lo, s13, v125, vcc_lo
	scratch_store_b32 off, v125, off offset:12 ; 4-byte Folded Spill
	scratch_load_b32 v125, off, off offset:16 ; 4-byte Folded Reload
	s_waitcnt vmcnt(0)
	v_add_co_u32 v125, vcc_lo, v125, s12
	scratch_store_b32 off, v125, off offset:16 ; 4-byte Folded Spill
	scratch_load_b32 v125, off, off offset:20 ; 4-byte Folded Reload
	s_waitcnt vmcnt(0)
	v_add_co_ci_u32_e32 v125, vcc_lo, s13, v125, vcc_lo
	scratch_store_b32 off, v125, off offset:20 ; 4-byte Folded Spill
	;; [unrolled: 8-line block ×20, first 2 shown]
	scratch_load_b32 v125, off, off offset:168 ; 4-byte Folded Reload
	s_waitcnt vmcnt(0)
	v_add_co_u32 v125, vcc_lo, v125, s12
	v_add_co_ci_u32_e32 v180, vcc_lo, s13, v180, vcc_lo
	v_add_co_u32 v181, vcc_lo, v181, s12
	v_add_co_ci_u32_e32 v182, vcc_lo, s13, v182, vcc_lo
	;; [unrolled: 2-line block ×42, first 2 shown]
	s_and_b32 vcc_lo, exec_lo, s9
	scratch_store_b32 off, v125, off offset:168 ; 4-byte Folded Spill
	s_cbranch_vccnz .LBB199_219
; %bb.218:                              ;   in Loop: Header=BB199_145 Depth=1
	v_mov_b32_e32 v145, v144
	s_branch .LBB199_145
.LBB199_219:
	scratch_load_b32 v207, off, off offset:296 ; 4-byte Folded Reload
.LBB199_220:
	s_waitcnt vmcnt(0)
	v_and_b32_e32 v0, 0x3ff, v207
	s_mov_b32 s15, 0
	s_delay_alu instid0(SALU_CYCLE_1)
	s_lshl_b64 s[6:7], s[14:15], 5
	s_waitcnt lgkmcnt(0)
	s_cmp_lg_u64 s[4:5], 0
	v_or_b32_e32 v1, s6, v0
	v_mov_b32_e32 v2, s7
	s_cselect_b32 s3, -1, 0
	s_delay_alu instid0(VALU_DEP_1) | instskip(SKIP_1) | instid1(SALU_CYCLE_1)
	v_cmp_gt_i64_e32 vcc_lo, s[18:19], v[1:2]
	s_and_b32 s3, vcc_lo, s3
	s_and_saveexec_b32 s6, s3
	s_cbranch_execz .LBB199_222
; %bb.221:
	s_load_b32 s0, s[0:1], 0x4c
	v_bfe_u32 v3, v207, 10, 10
	v_mov_b32_e32 v4, 0
	s_waitcnt lgkmcnt(0)
	s_lshr_b32 s0, s0, 16
	s_delay_alu instid0(VALU_DEP_1) | instid1(SALU_CYCLE_1)
	v_mad_u64_u32 v[5:6], null, s0, s2, v[3:4]
	s_delay_alu instid0(VALU_DEP_1) | instskip(NEXT) | instid1(VALU_DEP_2)
	v_mul_lo_u32 v0, v6, s18
	v_mul_lo_u32 v6, v5, s19
	v_mad_u64_u32 v[3:4], null, v5, s18, 0
	v_bfe_u32 v5, v144, 16, 1
	s_delay_alu instid0(VALU_DEP_1) | instskip(NEXT) | instid1(VALU_DEP_3)
	v_add3_u32 v5, v144, v5, 0x7fff
	v_add3_u32 v4, v4, v6, v0
	v_lshlrev_b64 v[0:1], 1, v[1:2]
	s_delay_alu instid0(VALU_DEP_3) | instskip(NEXT) | instid1(VALU_DEP_3)
	v_lshrrev_b32_e32 v2, 16, v5
	v_lshlrev_b64 v[3:4], 1, v[3:4]
	s_delay_alu instid0(VALU_DEP_1) | instskip(NEXT) | instid1(VALU_DEP_2)
	v_add_co_u32 v3, vcc_lo, s4, v3
	v_add_co_ci_u32_e32 v4, vcc_lo, s5, v4, vcc_lo
	v_cmp_o_f32_e32 vcc_lo, v144, v144
	v_cndmask_b32_e32 v2, 0x7fc0, v2, vcc_lo
	s_delay_alu instid0(VALU_DEP_4) | instskip(NEXT) | instid1(VALU_DEP_4)
	v_add_co_u32 v0, vcc_lo, v3, v0
	v_add_co_ci_u32_e32 v1, vcc_lo, v4, v1, vcc_lo
	global_store_b16 v[0:1], v2, off
.LBB199_222:
	s_endpgm
	.section	.rodata,"a",@progbits
	.p2align	6, 0x0
	.amdhsa_kernel _ZN2at6native12_GLOBAL__N_135GammaBetaBackwardCUDAKernelTemplateIN3c108BFloat16EfLj32ELj1ELj32ELb1ELb0ELb1EEEvllPKT_S7_PKT0_SA_PS5_SB_
		.amdhsa_group_segment_fixed_size 0
		.amdhsa_private_segment_fixed_size 304
		.amdhsa_kernarg_size 320
		.amdhsa_user_sgpr_count 14
		.amdhsa_user_sgpr_dispatch_ptr 0
		.amdhsa_user_sgpr_queue_ptr 0
		.amdhsa_user_sgpr_kernarg_segment_ptr 1
		.amdhsa_user_sgpr_dispatch_id 0
		.amdhsa_user_sgpr_private_segment_size 0
		.amdhsa_wavefront_size32 1
		.amdhsa_uses_dynamic_stack 0
		.amdhsa_enable_private_segment 1
		.amdhsa_system_sgpr_workgroup_id_x 1
		.amdhsa_system_sgpr_workgroup_id_y 1
		.amdhsa_system_sgpr_workgroup_id_z 0
		.amdhsa_system_sgpr_workgroup_info 0
		.amdhsa_system_vgpr_workitem_id 1
		.amdhsa_next_free_vgpr 256
		.amdhsa_next_free_sgpr 30
		.amdhsa_reserve_vcc 1
		.amdhsa_float_round_mode_32 0
		.amdhsa_float_round_mode_16_64 0
		.amdhsa_float_denorm_mode_32 3
		.amdhsa_float_denorm_mode_16_64 3
		.amdhsa_dx10_clamp 1
		.amdhsa_ieee_mode 1
		.amdhsa_fp16_overflow 0
		.amdhsa_workgroup_processor_mode 1
		.amdhsa_memory_ordered 1
		.amdhsa_forward_progress 0
		.amdhsa_shared_vgpr_count 0
		.amdhsa_exception_fp_ieee_invalid_op 0
		.amdhsa_exception_fp_denorm_src 0
		.amdhsa_exception_fp_ieee_div_zero 0
		.amdhsa_exception_fp_ieee_overflow 0
		.amdhsa_exception_fp_ieee_underflow 0
		.amdhsa_exception_fp_ieee_inexact 0
		.amdhsa_exception_int_div_zero 0
	.end_amdhsa_kernel
	.section	.text._ZN2at6native12_GLOBAL__N_135GammaBetaBackwardCUDAKernelTemplateIN3c108BFloat16EfLj32ELj1ELj32ELb1ELb0ELb1EEEvllPKT_S7_PKT0_SA_PS5_SB_,"axG",@progbits,_ZN2at6native12_GLOBAL__N_135GammaBetaBackwardCUDAKernelTemplateIN3c108BFloat16EfLj32ELj1ELj32ELb1ELb0ELb1EEEvllPKT_S7_PKT0_SA_PS5_SB_,comdat
.Lfunc_end199:
	.size	_ZN2at6native12_GLOBAL__N_135GammaBetaBackwardCUDAKernelTemplateIN3c108BFloat16EfLj32ELj1ELj32ELb1ELb0ELb1EEEvllPKT_S7_PKT0_SA_PS5_SB_, .Lfunc_end199-_ZN2at6native12_GLOBAL__N_135GammaBetaBackwardCUDAKernelTemplateIN3c108BFloat16EfLj32ELj1ELj32ELb1ELb0ELb1EEEvllPKT_S7_PKT0_SA_PS5_SB_
                                        ; -- End function
	.section	.AMDGPU.csdata,"",@progbits
; Kernel info:
; codeLenInByte = 27356
; NumSgprs: 32
; NumVgprs: 256
; ScratchSize: 304
; MemoryBound: 0
; FloatMode: 240
; IeeeMode: 1
; LDSByteSize: 0 bytes/workgroup (compile time only)
; SGPRBlocks: 3
; VGPRBlocks: 31
; NumSGPRsForWavesPerEU: 32
; NumVGPRsForWavesPerEU: 256
; Occupancy: 5
; WaveLimiterHint : 0
; COMPUTE_PGM_RSRC2:SCRATCH_EN: 1
; COMPUTE_PGM_RSRC2:USER_SGPR: 14
; COMPUTE_PGM_RSRC2:TRAP_HANDLER: 0
; COMPUTE_PGM_RSRC2:TGID_X_EN: 1
; COMPUTE_PGM_RSRC2:TGID_Y_EN: 1
; COMPUTE_PGM_RSRC2:TGID_Z_EN: 0
; COMPUTE_PGM_RSRC2:TIDIG_COMP_CNT: 1
	.section	.text._ZN2at6native12_GLOBAL__N_135GammaBetaBackwardCUDAKernelTemplateIN3c108BFloat16EfLj32ELj1ELj8ELb1ELb1ELb1EEEvllPKT_S7_PKT0_SA_PS5_SB_,"axG",@progbits,_ZN2at6native12_GLOBAL__N_135GammaBetaBackwardCUDAKernelTemplateIN3c108BFloat16EfLj32ELj1ELj8ELb1ELb1ELb1EEEvllPKT_S7_PKT0_SA_PS5_SB_,comdat
	.globl	_ZN2at6native12_GLOBAL__N_135GammaBetaBackwardCUDAKernelTemplateIN3c108BFloat16EfLj32ELj1ELj8ELb1ELb1ELb1EEEvllPKT_S7_PKT0_SA_PS5_SB_ ; -- Begin function _ZN2at6native12_GLOBAL__N_135GammaBetaBackwardCUDAKernelTemplateIN3c108BFloat16EfLj32ELj1ELj8ELb1ELb1ELb1EEEvllPKT_S7_PKT0_SA_PS5_SB_
	.p2align	8
	.type	_ZN2at6native12_GLOBAL__N_135GammaBetaBackwardCUDAKernelTemplateIN3c108BFloat16EfLj32ELj1ELj8ELb1ELb1ELb1EEEvllPKT_S7_PKT0_SA_PS5_SB_,@function
_ZN2at6native12_GLOBAL__N_135GammaBetaBackwardCUDAKernelTemplateIN3c108BFloat16EfLj32ELj1ELj8ELb1ELb1ELb1EEEvllPKT_S7_PKT0_SA_PS5_SB_: ; @_ZN2at6native12_GLOBAL__N_135GammaBetaBackwardCUDAKernelTemplateIN3c108BFloat16EfLj32ELj1ELj8ELb1ELb1ELb1EEEvllPKT_S7_PKT0_SA_PS5_SB_
; %bb.0:
	s_clause 0x1
	s_load_b128 s[4:7], s[0:1], 0x0
	s_load_b64 s[12:13], s[0:1], 0x30
	s_mov_b32 s17, 0
	s_lshl_b32 s16, s15, 3
	v_mov_b32_e32 v12, 0
	v_bfe_u32 v1, v0, 10, 10
	v_and_b32_e32 v0, 0x3ff, v0
	s_waitcnt lgkmcnt(0)
	v_cmp_ge_i64_e64 s2, s[16:17], s[4:5]
	s_delay_alu instid0(VALU_DEP_1)
	s_and_b32 vcc_lo, exec_lo, s2
	s_cbranch_vccnz .LBB200_7
; %bb.1:
	s_clause 0x3
	s_load_b32 s2, s[0:1], 0x4c
	s_load_b32 s3, s[0:1], 0x44
	s_load_b128 s[8:11], s[0:1], 0x10
	s_load_b64 s[20:21], s[0:1], 0x28
	v_dual_mov_b32 v9, 4 :: v_dual_lshlrev_b32 v4, 3, v1
	v_dual_mov_b32 v8, 8 :: v_dual_mov_b32 v3, 0
	v_lshl_or_b32 v2, s14, 5, v0
	s_delay_alu instid0(VALU_DEP_3) | instskip(NEXT) | instid1(VALU_DEP_1)
	v_add_co_u32 v4, s18, v4, s16
	v_add_co_ci_u32_e64 v5, null, 0, 0, s18
	s_delay_alu instid0(VALU_DEP_3) | instskip(NEXT) | instid1(VALU_DEP_3)
	v_lshlrev_b64 v[16:17], 1, v[2:3]
	v_mul_lo_u32 v12, s7, v4
	v_dual_mov_b32 v10, 12 :: v_dual_mov_b32 v11, 16
	s_delay_alu instid0(VALU_DEP_4)
	v_mul_lo_u32 v18, s6, v5
	v_dual_mov_b32 v13, 20 :: v_dual_mov_b32 v14, 24
	s_waitcnt lgkmcnt(0)
	s_and_b32 s2, s2, 0xffff
	s_lshl_b32 s18, s3, 3
	v_mad_u32_u24 v6, v1, s2, v0
	s_mul_i32 s3, s7, s18
	s_mul_hi_u32 s22, s6, s18
	s_mov_b32 s19, s17
	s_add_i32 s23, s22, s3
	v_dual_mov_b32 v15, 28 :: v_dual_and_b32 v22, 31, v6
	v_mad_u64_u32 v[6:7], null, s6, v4, 0
	s_mul_i32 s22, s6, s18
	s_delay_alu instid0(VALU_DEP_2) | instskip(SKIP_2) | instid1(VALU_DEP_4)
	v_add_co_u32 v4, vcc_lo, v4, v22
	v_add_co_ci_u32_e32 v5, vcc_lo, 0, v5, vcc_lo
	v_cmp_gt_u32_e64 s2, 8, v22
	v_add3_u32 v7, v7, v18, v12
	v_mov_b32_e32 v12, 0
	s_delay_alu instid0(VALU_DEP_4) | instskip(SKIP_3) | instid1(VALU_DEP_2)
	v_lshlrev_b64 v[18:19], 2, v[4:5]
	s_lshl_b64 s[22:23], s[22:23], 1
	s_lshl_b64 s[24:25], s[6:7], 1
	v_lshlrev_b64 v[20:21], 1, v[6:7]
	v_add_co_u32 v6, vcc_lo, s20, v18
	s_delay_alu instid0(VALU_DEP_3) | instskip(NEXT) | instid1(VALU_DEP_3)
	v_add_co_ci_u32_e32 v7, vcc_lo, s21, v19, vcc_lo
	v_add_co_u32 v2, vcc_lo, v20, v16
	s_delay_alu instid0(VALU_DEP_4)
	v_add_co_ci_u32_e32 v16, vcc_lo, v21, v17, vcc_lo
	s_lshl_b64 s[20:21], s[18:19], 2
	s_branch .LBB200_4
.LBB200_2:                              ;   in Loop: Header=BB200_4 Depth=1
	s_or_b32 exec_lo, exec_lo, s19
.LBB200_3:                              ;   in Loop: Header=BB200_4 Depth=1
	s_delay_alu instid0(SALU_CYCLE_1)
	s_or_b32 exec_lo, exec_lo, s3
	v_add_co_u32 v18, vcc_lo, s8, v2
	v_add_co_ci_u32_e32 v19, vcc_lo, s9, v16, vcc_lo
	v_add_co_u32 v20, vcc_lo, s10, v2
	v_add_co_ci_u32_e32 v21, vcc_lo, s11, v16, vcc_lo
	global_load_u16 v28, v[18:19], off
	v_add_co_u32 v18, vcc_lo, v18, s24
	v_add_co_ci_u32_e32 v19, vcc_lo, s25, v19, vcc_lo
	v_add_co_u32 v22, vcc_lo, v20, s24
	v_add_co_ci_u32_e32 v23, vcc_lo, s25, v21, vcc_lo
	s_delay_alu instid0(VALU_DEP_4) | instskip(NEXT) | instid1(VALU_DEP_4)
	v_add_co_u32 v24, vcc_lo, v18, s24
	v_add_co_ci_u32_e32 v25, vcc_lo, s25, v19, vcc_lo
	s_delay_alu instid0(VALU_DEP_4) | instskip(NEXT) | instid1(VALU_DEP_4)
	v_add_co_u32 v26, vcc_lo, v22, s24
	v_add_co_ci_u32_e32 v27, vcc_lo, s25, v23, vcc_lo
	global_load_u16 v29, v[20:21], off
	global_load_u16 v30, v[18:19], off
	;; [unrolled: 1-line block ×5, first 2 shown]
	v_add_co_u32 v18, vcc_lo, v24, s24
	v_add_co_ci_u32_e32 v19, vcc_lo, s25, v25, vcc_lo
	v_add_co_u32 v20, vcc_lo, v26, s24
	v_add_co_ci_u32_e32 v21, vcc_lo, s25, v27, vcc_lo
	global_load_u16 v34, v[18:19], off
	v_add_co_u32 v18, vcc_lo, v18, s24
	v_add_co_ci_u32_e32 v19, vcc_lo, s25, v19, vcc_lo
	v_add_co_u32 v22, vcc_lo, v20, s24
	v_add_co_ci_u32_e32 v23, vcc_lo, s25, v21, vcc_lo
	s_delay_alu instid0(VALU_DEP_4) | instskip(NEXT) | instid1(VALU_DEP_4)
	v_add_co_u32 v24, vcc_lo, v18, s24
	v_add_co_ci_u32_e32 v25, vcc_lo, s25, v19, vcc_lo
	s_delay_alu instid0(VALU_DEP_4) | instskip(NEXT) | instid1(VALU_DEP_4)
	v_add_co_u32 v26, vcc_lo, v22, s24
	v_add_co_ci_u32_e32 v27, vcc_lo, s25, v23, vcc_lo
	global_load_u16 v35, v[20:21], off
	global_load_u16 v36, v[18:19], off
	;; [unrolled: 1-line block ×5, first 2 shown]
	v_add_co_u32 v18, vcc_lo, v26, s24
	v_add_co_ci_u32_e32 v19, vcc_lo, s25, v27, vcc_lo
	v_add_co_u32 v20, vcc_lo, v24, s24
	v_add_co_ci_u32_e32 v21, vcc_lo, s25, v25, vcc_lo
	global_load_u16 v24, v[18:19], off
	v_add_co_u32 v18, vcc_lo, v18, s24
	v_add_co_ci_u32_e32 v19, vcc_lo, s25, v19, vcc_lo
	v_add_co_u32 v22, vcc_lo, v20, s24
	v_add_co_ci_u32_e32 v23, vcc_lo, s25, v21, vcc_lo
	global_load_u16 v20, v[20:21], off
	global_load_u16 v18, v[18:19], off
	;; [unrolled: 1-line block ×3, first 2 shown]
	s_waitcnt vmcnt(16)
	ds_bpermute_b32 v21, v3, v17
	ds_bpermute_b32 v22, v9, v17
	;; [unrolled: 1-line block ×3, first 2 shown]
	v_add_co_u32 v6, vcc_lo, v6, s20
	s_add_u32 s16, s16, s18
	v_add_co_ci_u32_e32 v7, vcc_lo, s21, v7, vcc_lo
	s_addc_u32 s17, s17, 0
	v_add_co_u32 v4, vcc_lo, v4, s18
	v_add_co_ci_u32_e32 v5, vcc_lo, 0, v5, vcc_lo
	v_cmp_lt_i64_e64 s3, s[16:17], s[4:5]
	v_add_co_u32 v2, vcc_lo, v2, s22
	v_add_co_ci_u32_e32 v16, vcc_lo, s23, v16, vcc_lo
	s_delay_alu instid0(VALU_DEP_3)
	s_and_b32 vcc_lo, exec_lo, s3
	s_waitcnt vmcnt(15)
	v_lshlrev_b32_e32 v25, 16, v28
	ds_bpermute_b32 v28, v10, v17
	s_waitcnt vmcnt(14)
	v_lshlrev_b32_e32 v23, 16, v29
	s_waitcnt vmcnt(12)
	v_lshlrev_b32_e32 v27, 16, v31
	s_delay_alu instid0(VALU_DEP_2) | instskip(SKIP_1) | instid1(VALU_DEP_1)
	v_mul_f32_e32 v23, v25, v23
	s_waitcnt lgkmcnt(3)
	v_dual_fmac_f32 v12, v23, v21 :: v_dual_lshlrev_b32 v25, 16, v30
	s_delay_alu instid0(VALU_DEP_1)
	v_mul_f32_e32 v21, v25, v27
	ds_bpermute_b32 v25, v11, v17
	s_waitcnt vmcnt(11)
	v_lshlrev_b32_e32 v23, 16, v32
	ds_bpermute_b32 v27, v13, v17
	s_waitcnt vmcnt(10) lgkmcnt(4)
	v_dual_fmac_f32 v12, v21, v22 :: v_dual_lshlrev_b32 v29, 16, v33
	s_waitcnt vmcnt(9)
	s_delay_alu instid0(VALU_DEP_1)
	v_dual_mul_f32 v21, v23, v29 :: v_dual_lshlrev_b32 v22, 16, v34
	ds_bpermute_b32 v23, v14, v17
	ds_bpermute_b32 v17, v15, v17
	s_waitcnt lgkmcnt(5)
	v_fmac_f32_e32 v12, v21, v26
	s_waitcnt vmcnt(8)
	v_lshlrev_b32_e32 v30, 16, v35
	s_waitcnt vmcnt(4)
	s_delay_alu instid0(VALU_DEP_1) | instskip(SKIP_2) | instid1(VALU_DEP_2)
	v_dual_mul_f32 v21, v22, v30 :: v_dual_lshlrev_b32 v26, 16, v39
	v_lshlrev_b32_e32 v22, 16, v36
	s_waitcnt lgkmcnt(4)
	v_fmac_f32_e32 v12, v21, v28
	s_waitcnt vmcnt(2)
	v_lshlrev_b32_e32 v20, 16, v20
	v_lshlrev_b32_e32 v29, 16, v37
	;; [unrolled: 1-line block ×3, first 2 shown]
	s_waitcnt vmcnt(1)
	s_delay_alu instid0(VALU_DEP_2) | instskip(SKIP_2) | instid1(VALU_DEP_2)
	v_dual_mul_f32 v21, v22, v29 :: v_dual_lshlrev_b32 v18, 16, v18
	v_lshlrev_b32_e32 v22, 16, v24
	s_waitcnt lgkmcnt(3)
	v_dual_fmac_f32 v12, v21, v25 :: v_dual_mul_f32 v21, v30, v26
	s_delay_alu instid0(VALU_DEP_2) | instskip(SKIP_1) | instid1(VALU_DEP_2)
	v_mul_f32_e32 v20, v20, v22
	s_waitcnt lgkmcnt(2)
	v_fmac_f32_e32 v12, v21, v27
	s_waitcnt lgkmcnt(1)
	s_delay_alu instid0(VALU_DEP_1) | instskip(SKIP_2) | instid1(VALU_DEP_1)
	v_fmac_f32_e32 v12, v20, v23
	s_waitcnt vmcnt(0)
	v_lshlrev_b32_e32 v19, 16, v19
	v_mul_f32_e32 v18, v19, v18
	s_waitcnt lgkmcnt(0)
	s_delay_alu instid0(VALU_DEP_1)
	v_fmac_f32_e32 v12, v18, v17
	s_cbranch_vccz .LBB200_7
.LBB200_4:                              ; =>This Inner Loop Header: Depth=1
	v_mov_b32_e32 v17, 0
	s_and_saveexec_b32 s3, s2
	s_cbranch_execz .LBB200_3
; %bb.5:                                ;   in Loop: Header=BB200_4 Depth=1
	v_mov_b32_e32 v17, 0
	s_mov_b32 s19, exec_lo
	v_cmpx_gt_i64_e64 s[4:5], v[4:5]
	s_cbranch_execz .LBB200_2
; %bb.6:                                ;   in Loop: Header=BB200_4 Depth=1
	global_load_b32 v17, v[6:7], off
	s_branch .LBB200_2
.LBB200_7:
	s_cmp_eq_u64 s[12:13], 0
	s_cbranch_scc1 .LBB200_9
; %bb.8:
	s_load_b32 s0, s[0:1], 0x4c
	v_mov_b32_e32 v2, 0
	s_waitcnt lgkmcnt(0)
	s_lshr_b32 s0, s0, 16
	s_delay_alu instid0(VALU_DEP_1) | instid1(SALU_CYCLE_1)
	v_mad_u64_u32 v[3:4], null, s0, s15, v[1:2]
	s_mov_b32 s15, 0
	s_delay_alu instid0(SALU_CYCLE_1) | instskip(NEXT) | instid1(SALU_CYCLE_1)
	s_lshl_b64 s[0:1], s[14:15], 6
	s_add_u32 s0, s0, s12
	s_addc_u32 s1, s1, s13
	s_delay_alu instid0(VALU_DEP_1) | instskip(NEXT) | instid1(VALU_DEP_2)
	v_mul_lo_u32 v4, v4, s6
	v_mul_lo_u32 v5, v3, s7
	v_mad_u64_u32 v[1:2], null, v3, s6, 0
	v_bfe_u32 v3, v12, 16, 1
	s_delay_alu instid0(VALU_DEP_1) | instskip(NEXT) | instid1(VALU_DEP_3)
	v_add3_u32 v3, v12, v3, 0x7fff
	v_add3_u32 v2, v2, v5, v4
	v_lshlrev_b32_e32 v4, 1, v0
	s_delay_alu instid0(VALU_DEP_2) | instskip(NEXT) | instid1(VALU_DEP_4)
	v_lshlrev_b64 v[0:1], 1, v[1:2]
	v_lshrrev_b32_e32 v2, 16, v3
	s_delay_alu instid0(VALU_DEP_2) | instskip(NEXT) | instid1(VALU_DEP_3)
	v_add_co_u32 v0, vcc_lo, s0, v0
	v_add_co_ci_u32_e32 v1, vcc_lo, s1, v1, vcc_lo
	v_cmp_o_f32_e32 vcc_lo, v12, v12
	s_delay_alu instid0(VALU_DEP_4) | instskip(NEXT) | instid1(VALU_DEP_4)
	v_cndmask_b32_e32 v2, 0x7fc0, v2, vcc_lo
	v_add_co_u32 v0, vcc_lo, v0, v4
	s_delay_alu instid0(VALU_DEP_4)
	v_add_co_ci_u32_e32 v1, vcc_lo, 0, v1, vcc_lo
	global_store_b16 v[0:1], v2, off
.LBB200_9:
	s_nop 0
	s_sendmsg sendmsg(MSG_DEALLOC_VGPRS)
	s_endpgm
	.section	.rodata,"a",@progbits
	.p2align	6, 0x0
	.amdhsa_kernel _ZN2at6native12_GLOBAL__N_135GammaBetaBackwardCUDAKernelTemplateIN3c108BFloat16EfLj32ELj1ELj8ELb1ELb1ELb1EEEvllPKT_S7_PKT0_SA_PS5_SB_
		.amdhsa_group_segment_fixed_size 0
		.amdhsa_private_segment_fixed_size 0
		.amdhsa_kernarg_size 320
		.amdhsa_user_sgpr_count 14
		.amdhsa_user_sgpr_dispatch_ptr 0
		.amdhsa_user_sgpr_queue_ptr 0
		.amdhsa_user_sgpr_kernarg_segment_ptr 1
		.amdhsa_user_sgpr_dispatch_id 0
		.amdhsa_user_sgpr_private_segment_size 0
		.amdhsa_wavefront_size32 1
		.amdhsa_uses_dynamic_stack 0
		.amdhsa_enable_private_segment 0
		.amdhsa_system_sgpr_workgroup_id_x 1
		.amdhsa_system_sgpr_workgroup_id_y 1
		.amdhsa_system_sgpr_workgroup_id_z 0
		.amdhsa_system_sgpr_workgroup_info 0
		.amdhsa_system_vgpr_workitem_id 1
		.amdhsa_next_free_vgpr 40
		.amdhsa_next_free_sgpr 26
		.amdhsa_reserve_vcc 1
		.amdhsa_float_round_mode_32 0
		.amdhsa_float_round_mode_16_64 0
		.amdhsa_float_denorm_mode_32 3
		.amdhsa_float_denorm_mode_16_64 3
		.amdhsa_dx10_clamp 1
		.amdhsa_ieee_mode 1
		.amdhsa_fp16_overflow 0
		.amdhsa_workgroup_processor_mode 1
		.amdhsa_memory_ordered 1
		.amdhsa_forward_progress 0
		.amdhsa_shared_vgpr_count 0
		.amdhsa_exception_fp_ieee_invalid_op 0
		.amdhsa_exception_fp_denorm_src 0
		.amdhsa_exception_fp_ieee_div_zero 0
		.amdhsa_exception_fp_ieee_overflow 0
		.amdhsa_exception_fp_ieee_underflow 0
		.amdhsa_exception_fp_ieee_inexact 0
		.amdhsa_exception_int_div_zero 0
	.end_amdhsa_kernel
	.section	.text._ZN2at6native12_GLOBAL__N_135GammaBetaBackwardCUDAKernelTemplateIN3c108BFloat16EfLj32ELj1ELj8ELb1ELb1ELb1EEEvllPKT_S7_PKT0_SA_PS5_SB_,"axG",@progbits,_ZN2at6native12_GLOBAL__N_135GammaBetaBackwardCUDAKernelTemplateIN3c108BFloat16EfLj32ELj1ELj8ELb1ELb1ELb1EEEvllPKT_S7_PKT0_SA_PS5_SB_,comdat
.Lfunc_end200:
	.size	_ZN2at6native12_GLOBAL__N_135GammaBetaBackwardCUDAKernelTemplateIN3c108BFloat16EfLj32ELj1ELj8ELb1ELb1ELb1EEEvllPKT_S7_PKT0_SA_PS5_SB_, .Lfunc_end200-_ZN2at6native12_GLOBAL__N_135GammaBetaBackwardCUDAKernelTemplateIN3c108BFloat16EfLj32ELj1ELj8ELb1ELb1ELb1EEEvllPKT_S7_PKT0_SA_PS5_SB_
                                        ; -- End function
	.section	.AMDGPU.csdata,"",@progbits
; Kernel info:
; codeLenInByte = 1328
; NumSgprs: 28
; NumVgprs: 40
; ScratchSize: 0
; MemoryBound: 0
; FloatMode: 240
; IeeeMode: 1
; LDSByteSize: 0 bytes/workgroup (compile time only)
; SGPRBlocks: 3
; VGPRBlocks: 4
; NumSGPRsForWavesPerEU: 28
; NumVGPRsForWavesPerEU: 40
; Occupancy: 16
; WaveLimiterHint : 0
; COMPUTE_PGM_RSRC2:SCRATCH_EN: 0
; COMPUTE_PGM_RSRC2:USER_SGPR: 14
; COMPUTE_PGM_RSRC2:TRAP_HANDLER: 0
; COMPUTE_PGM_RSRC2:TGID_X_EN: 1
; COMPUTE_PGM_RSRC2:TGID_Y_EN: 1
; COMPUTE_PGM_RSRC2:TGID_Z_EN: 0
; COMPUTE_PGM_RSRC2:TIDIG_COMP_CNT: 1
	.section	.text._ZN2at6native12_GLOBAL__N_135GammaBetaBackwardCUDAKernelTemplateIN3c108BFloat16EfLj32ELj1ELj8ELb1ELb0ELb1EEEvllPKT_S7_PKT0_SA_PS5_SB_,"axG",@progbits,_ZN2at6native12_GLOBAL__N_135GammaBetaBackwardCUDAKernelTemplateIN3c108BFloat16EfLj32ELj1ELj8ELb1ELb0ELb1EEEvllPKT_S7_PKT0_SA_PS5_SB_,comdat
	.globl	_ZN2at6native12_GLOBAL__N_135GammaBetaBackwardCUDAKernelTemplateIN3c108BFloat16EfLj32ELj1ELj8ELb1ELb0ELb1EEEvllPKT_S7_PKT0_SA_PS5_SB_ ; -- Begin function _ZN2at6native12_GLOBAL__N_135GammaBetaBackwardCUDAKernelTemplateIN3c108BFloat16EfLj32ELj1ELj8ELb1ELb0ELb1EEEvllPKT_S7_PKT0_SA_PS5_SB_
	.p2align	8
	.type	_ZN2at6native12_GLOBAL__N_135GammaBetaBackwardCUDAKernelTemplateIN3c108BFloat16EfLj32ELj1ELj8ELb1ELb0ELb1EEEvllPKT_S7_PKT0_SA_PS5_SB_,@function
_ZN2at6native12_GLOBAL__N_135GammaBetaBackwardCUDAKernelTemplateIN3c108BFloat16EfLj32ELj1ELj8ELb1ELb0ELb1EEEvllPKT_S7_PKT0_SA_PS5_SB_: ; @_ZN2at6native12_GLOBAL__N_135GammaBetaBackwardCUDAKernelTemplateIN3c108BFloat16EfLj32ELj1ELj8ELb1ELb0ELb1EEEvllPKT_S7_PKT0_SA_PS5_SB_
; %bb.0:
	s_clause 0x1
	s_load_b256 s[16:23], s[0:1], 0x0
	s_load_b64 s[12:13], s[0:1], 0x28
	s_mov_b32 s2, s15
	s_lshl_b32 s15, s14, 5
	s_mov_b32 s35, 0
	s_or_b32 s34, s15, 31
	s_waitcnt lgkmcnt(0)
	v_cmp_ge_i64_e64 s3, s[34:35], s[18:19]
	s_lshl_b32 s34, s2, 3
	s_delay_alu instid0(SALU_CYCLE_1) | instskip(NEXT) | instid1(VALU_DEP_2)
	v_cmp_lt_i64_e64 s33, s[34:35], s[16:17]
	s_and_b32 vcc_lo, exec_lo, s3
	s_delay_alu instid0(VALU_DEP_1) | instskip(NEXT) | instid1(VALU_DEP_1)
	v_cndmask_b32_e64 v1, 0, 1, s33
	v_cmp_ne_u32_e64 s3, 1, v1
	s_cbranch_vccz .LBB201_49
; %bb.1:
	v_mov_b32_e32 v3, 0
	s_delay_alu instid0(VALU_DEP_2)
	s_and_b32 vcc_lo, exec_lo, s3
	s_cbranch_vccnz .LBB201_50
; %bb.2:
	v_bfe_u32 v29, v0, 10, 10
	s_load_b32 s4, s[0:1], 0x44
	v_dual_mov_b32 v2, 0 :: v_dual_and_b32 v31, 0x3ff, v0
	s_add_u32 s6, s0, 64
	s_delay_alu instid0(VALU_DEP_2) | instskip(NEXT) | instid1(VALU_DEP_2)
	v_dual_mov_b32 v65, 0 :: v_dual_lshlrev_b32 v30, 3, v29
	v_dual_mov_b32 v32, v2 :: v_dual_add_nc_u32 v1, s15, v31
	s_addc_u32 s7, s1, 0
	s_delay_alu instid0(VALU_DEP_2) | instskip(NEXT) | instid1(VALU_DEP_1)
	v_add_co_u32 v9, s3, v30, s34
	v_add_co_ci_u32_e64 v10, null, 0, 0, s3
	s_delay_alu instid0(VALU_DEP_3) | instskip(NEXT) | instid1(VALU_DEP_3)
	v_cmp_gt_i64_e64 s3, s[18:19], v[1:2]
	v_add_co_u32 v5, vcc_lo, v9, 7
	s_delay_alu instid0(VALU_DEP_3) | instskip(SKIP_1) | instid1(VALU_DEP_3)
	v_add_co_ci_u32_e32 v3, vcc_lo, 0, v10, vcc_lo
	v_add_co_u32 v8, vcc_lo, v9, 6
	v_mul_lo_u32 v6, s19, v5
	s_delay_alu instid0(VALU_DEP_3)
	v_mul_lo_u32 v7, s18, v3
	v_mad_u64_u32 v[3:4], null, s18, v5, 0
	v_add_co_ci_u32_e32 v5, vcc_lo, 0, v10, vcc_lo
	v_lshlrev_b64 v[25:26], 1, v[1:2]
	v_mul_lo_u32 v1, s19, v8
	s_waitcnt lgkmcnt(0)
	s_lshl_b32 s36, s4, 3
	s_mov_b32 s24, 0
	s_delay_alu instid0(VALU_DEP_4) | instskip(SKIP_3) | instid1(VALU_DEP_3)
	v_add3_u32 v4, v4, v7, v6
	v_mul_lo_u32 v7, s18, v5
	v_mad_u64_u32 v[5:6], null, s18, v8, 0
	s_mul_i32 s4, s19, s36
	v_lshlrev_b64 v[3:4], 1, v[3:4]
	s_mul_hi_u32 s5, s18, s36
	s_mul_i32 s8, s18, s36
	s_add_i32 s9, s5, s4
	s_mov_b64 s[10:11], s[34:35]
	s_delay_alu instid0(VALU_DEP_2) | instskip(SKIP_4) | instid1(VALU_DEP_1)
	v_add3_u32 v6, v6, v7, v1
	v_add_co_u32 v33, vcc_lo, s20, v3
	v_add_co_ci_u32_e32 v34, vcc_lo, s21, v4, vcc_lo
	v_add_co_u32 v1, vcc_lo, v9, 5
	v_add_co_u32 v35, s4, s22, v3
	v_add_co_ci_u32_e64 v36, s4, s23, v4, s4
	v_lshlrev_b64 v[3:4], 1, v[5:6]
	v_add_co_ci_u32_e32 v5, vcc_lo, 0, v10, vcc_lo
	v_add_co_u32 v12, vcc_lo, v9, 4
	v_mul_lo_u32 v11, s19, v1
	s_delay_alu instid0(VALU_DEP_3) | instskip(SKIP_4) | instid1(VALU_DEP_3)
	v_mul_lo_u32 v13, s18, v5
	v_mad_u64_u32 v[5:6], null, s18, v1, 0
	v_add_co_ci_u32_e32 v7, vcc_lo, 0, v10, vcc_lo
	v_mul_lo_u32 v1, s19, v12
	v_add_co_u32 v37, vcc_lo, s20, v3
	v_mul_lo_u32 v14, s18, v7
	v_mad_u64_u32 v[7:8], null, s18, v12, 0
	v_add3_u32 v6, v6, v13, v11
	v_add_co_ci_u32_e32 v38, vcc_lo, s21, v4, vcc_lo
	v_add_co_u32 v39, vcc_lo, s22, v3
	v_add_co_ci_u32_e32 v40, vcc_lo, s23, v4, vcc_lo
	s_delay_alu instid0(VALU_DEP_4) | instskip(SKIP_3) | instid1(VALU_DEP_4)
	v_lshlrev_b64 v[3:4], 1, v[5:6]
	v_add3_u32 v8, v8, v14, v1
	v_add_co_u32 v1, vcc_lo, v9, 3
	v_add_co_ci_u32_e32 v11, vcc_lo, 0, v10, vcc_lo
	v_add_co_u32 v41, vcc_lo, s20, v3
	s_delay_alu instid0(VALU_DEP_4)
	v_lshlrev_b64 v[5:6], 1, v[7:8]
	v_add_co_ci_u32_e32 v42, vcc_lo, s21, v4, vcc_lo
	v_mul_lo_u32 v12, s19, v1
	v_mul_lo_u32 v11, s18, v11
	v_mad_u64_u32 v[7:8], null, s18, v1, 0
	v_add_co_u32 v43, vcc_lo, s22, v3
	v_add_co_ci_u32_e32 v44, vcc_lo, s23, v4, vcc_lo
	v_add_co_u32 v45, vcc_lo, s20, v5
	v_add_co_ci_u32_e32 v46, vcc_lo, s21, v6, vcc_lo
	v_add_co_u32 v1, vcc_lo, v9, 2
	v_add3_u32 v8, v8, v11, v12
	v_add_co_ci_u32_e32 v11, vcc_lo, 0, v10, vcc_lo
	v_add_co_u32 v47, vcc_lo, s22, v5
	v_add_co_ci_u32_e32 v48, vcc_lo, s23, v6, vcc_lo
	v_mul_lo_u32 v12, s19, v1
	s_delay_alu instid0(VALU_DEP_4)
	v_mul_lo_u32 v11, s18, v11
	v_mad_u64_u32 v[5:6], null, s18, v1, 0
	v_lshlrev_b64 v[3:4], 1, v[7:8]
	v_mul_lo_u32 v1, s19, v9
	v_mul_lo_u32 v10, s18, v10
	v_mad_u64_u32 v[7:8], null, s18, v9, 0
	s_mov_b64 s[4:5], 7
	s_delay_alu instid0(VALU_DEP_4)
	v_add_co_u32 v49, vcc_lo, s20, v3
	v_add3_u32 v6, v6, v11, v12
	v_add_co_ci_u32_e32 v50, vcc_lo, s21, v4, vcc_lo
	v_add_co_u32 v51, vcc_lo, s22, v3
	v_add3_u32 v8, v8, v10, v1
	v_add_co_ci_u32_e32 v52, vcc_lo, s23, v4, vcc_lo
	v_lshlrev_b64 v[3:4], 1, v[5:6]
	v_add_co_u32 v5, vcc_lo, v7, s18
	s_delay_alu instid0(VALU_DEP_4) | instskip(SKIP_1) | instid1(VALU_DEP_3)
	v_add_co_ci_u32_e32 v6, vcc_lo, s19, v8, vcc_lo
	s_lshl_b64 s[8:9], s[8:9], 1
	v_add_co_u32 v53, vcc_lo, s20, v3
	s_delay_alu instid0(VALU_DEP_2) | instskip(SKIP_3) | instid1(VALU_DEP_4)
	v_lshlrev_b64 v[5:6], 1, v[5:6]
	v_add_co_ci_u32_e32 v54, vcc_lo, s21, v4, vcc_lo
	v_add_co_u32 v55, vcc_lo, s22, v3
	v_add_co_ci_u32_e32 v56, vcc_lo, s23, v4, vcc_lo
	v_add_co_u32 v57, vcc_lo, s20, v5
	v_lshlrev_b64 v[3:4], 1, v[7:8]
	v_add_co_ci_u32_e32 v58, vcc_lo, s21, v6, vcc_lo
	v_add_co_u32 v59, vcc_lo, s22, v5
	v_add_co_ci_u32_e32 v60, vcc_lo, s23, v6, vcc_lo
	s_delay_alu instid0(VALU_DEP_4)
	v_add_co_u32 v61, vcc_lo, s20, v3
	v_add_co_ci_u32_e32 v62, vcc_lo, s21, v4, vcc_lo
	v_add_co_u32 v63, vcc_lo, s22, v3
	v_add_co_ci_u32_e32 v64, vcc_lo, s23, v4, vcc_lo
.LBB201_3:                              ; =>This Inner Loop Header: Depth=1
	s_add_u32 s26, s34, s4
	s_addc_u32 s27, 0, s5
	v_add_co_u32 v27, vcc_lo, s34, v30
	v_cmp_ge_i64_e64 s25, s[26:27], s[16:17]
	v_add_co_ci_u32_e32 v28, vcc_lo, 0, v32, vcc_lo
	s_delay_alu instid0(VALU_DEP_2)
	s_and_b32 vcc_lo, exec_lo, s25
	s_cbranch_vccz .LBB201_25
; %bb.4:                                ;   in Loop: Header=BB201_3 Depth=1
	s_load_b32 s25, s[6:7], 0xc
	v_mov_b32_e32 v66, 0
	s_waitcnt lgkmcnt(0)
	s_and_b32 s25, s25, 0xffff
	s_delay_alu instid0(SALU_CYCLE_1) | instskip(SKIP_1) | instid1(VALU_DEP_1)
	v_mad_u32_u24 v1, v29, s25, v31
	s_mov_b32 s25, exec_lo
	v_and_b32_e32 v1, 31, v1
	s_delay_alu instid0(VALU_DEP_1)
	v_cmpx_gt_u32_e32 8, v1
	s_cbranch_execz .LBB201_8
; %bb.5:                                ;   in Loop: Header=BB201_3 Depth=1
	v_add_co_u32 v3, vcc_lo, v27, v1
	v_add_co_ci_u32_e32 v4, vcc_lo, 0, v28, vcc_lo
	v_mov_b32_e32 v66, 0
	s_mov_b32 s26, exec_lo
	s_delay_alu instid0(VALU_DEP_2)
	v_cmpx_gt_i64_e64 s[16:17], v[3:4]
	s_cbranch_execz .LBB201_7
; %bb.6:                                ;   in Loop: Header=BB201_3 Depth=1
	v_lshlrev_b64 v[3:4], 2, v[3:4]
	s_delay_alu instid0(VALU_DEP_1) | instskip(NEXT) | instid1(VALU_DEP_2)
	v_add_co_u32 v3, vcc_lo, s12, v3
	v_add_co_ci_u32_e32 v4, vcc_lo, s13, v4, vcc_lo
	global_load_b32 v66, v[3:4], off
.LBB201_7:                              ;   in Loop: Header=BB201_3 Depth=1
	s_or_b32 exec_lo, exec_lo, s26
.LBB201_8:                              ;   in Loop: Header=BB201_3 Depth=1
	s_delay_alu instid0(SALU_CYCLE_1)
	s_or_b32 exec_lo, exec_lo, s25
	s_mov_b32 s30, s24
	s_mov_b32 s31, s24
	;; [unrolled: 1-line block ×7, first 2 shown]
	v_dual_mov_b32 v9, s24 :: v_dual_mov_b32 v10, s25
	v_dual_mov_b32 v15, s30 :: v_dual_mov_b32 v16, s31
	;; [unrolled: 1-line block ×4, first 2 shown]
	v_cmp_gt_i64_e32 vcc_lo, s[16:17], v[27:28]
	s_delay_alu instid0(VALU_DEP_4) | instskip(NEXT) | instid1(VALU_DEP_3)
	v_dual_mov_b32 v24, v16 :: v_dual_mov_b32 v23, v15
	v_dual_mov_b32 v21, v13 :: v_dual_mov_b32 v22, v14
	;; [unrolled: 1-line block ×4, first 2 shown]
	s_and_b32 s26, s3, vcc_lo
	s_delay_alu instid0(SALU_CYCLE_1)
	s_and_saveexec_b32 s25, s26
	s_cbranch_execz .LBB201_10
; %bb.9:                                ;   in Loop: Header=BB201_3 Depth=1
	v_add_co_u32 v3, vcc_lo, v61, v25
	v_add_co_ci_u32_e32 v4, vcc_lo, v62, v26, vcc_lo
	v_add_co_u32 v5, vcc_lo, v63, v25
	v_add_co_ci_u32_e32 v6, vcc_lo, v64, v26, vcc_lo
	v_mov_b32_e32 v8, v2
	global_load_u16 v1, v[3:4], off
	global_load_u16 v9, v[5:6], off
	v_mov_b32_e32 v3, v2
	v_mov_b32_e32 v4, v2
	;; [unrolled: 1-line block ×6, first 2 shown]
	s_waitcnt vmcnt(1)
	v_lshlrev_b32_e32 v1, 16, v1
	s_waitcnt vmcnt(0)
	v_lshlrev_b32_e32 v9, 16, v9
	v_dual_mov_b32 v11, v2 :: v_dual_mov_b32 v24, v8
	v_dual_mov_b32 v10, v2 :: v_dual_mov_b32 v23, v7
	v_dual_mov_b32 v12, v2 :: v_dual_mov_b32 v21, v5
	v_dual_mov_b32 v13, v2 :: v_dual_mov_b32 v20, v4
	v_dual_mov_b32 v14, v2 :: v_dual_mov_b32 v19, v3
	v_dual_mov_b32 v16, v2 :: v_dual_mov_b32 v17, v1
	v_mov_b32_e32 v22, v6
	v_mov_b32_e32 v18, v2
.LBB201_10:                             ;   in Loop: Header=BB201_3 Depth=1
	s_or_b32 exec_lo, exec_lo, s25
	v_add_co_u32 v3, vcc_lo, v27, 1
	v_add_co_ci_u32_e32 v4, vcc_lo, 0, v28, vcc_lo
	s_delay_alu instid0(VALU_DEP_1) | instskip(SKIP_1) | instid1(SALU_CYCLE_1)
	v_cmp_gt_i64_e32 vcc_lo, s[16:17], v[3:4]
	s_and_b32 s26, s3, vcc_lo
	s_and_saveexec_b32 s25, s26
	s_cbranch_execz .LBB201_12
; %bb.11:                               ;   in Loop: Header=BB201_3 Depth=1
	v_add_co_u32 v3, vcc_lo, v57, v25
	v_add_co_ci_u32_e32 v4, vcc_lo, v58, v26, vcc_lo
	v_add_co_u32 v5, vcc_lo, v59, v25
	v_add_co_ci_u32_e32 v6, vcc_lo, v60, v26, vcc_lo
	global_load_u16 v1, v[3:4], off
	global_load_u16 v3, v[5:6], off
	s_waitcnt vmcnt(1)
	v_lshlrev_b32_e32 v18, 16, v1
	s_waitcnt vmcnt(0)
	v_lshlrev_b32_e32 v10, 16, v3
.LBB201_12:                             ;   in Loop: Header=BB201_3 Depth=1
	s_or_b32 exec_lo, exec_lo, s25
	v_add_co_u32 v3, vcc_lo, v27, 2
	v_add_co_ci_u32_e32 v4, vcc_lo, 0, v28, vcc_lo
	s_delay_alu instid0(VALU_DEP_1) | instskip(SKIP_1) | instid1(SALU_CYCLE_1)
	v_cmp_gt_i64_e32 vcc_lo, s[16:17], v[3:4]
	s_and_b32 s26, s3, vcc_lo
	s_and_saveexec_b32 s25, s26
	s_cbranch_execz .LBB201_14
; %bb.13:                               ;   in Loop: Header=BB201_3 Depth=1
	v_add_co_u32 v3, vcc_lo, v53, v25
	v_add_co_ci_u32_e32 v4, vcc_lo, v54, v26, vcc_lo
	v_add_co_u32 v5, vcc_lo, v55, v25
	v_add_co_ci_u32_e32 v6, vcc_lo, v56, v26, vcc_lo
	global_load_u16 v1, v[3:4], off
	global_load_u16 v3, v[5:6], off
	s_waitcnt vmcnt(1)
	v_lshlrev_b32_e32 v19, 16, v1
	s_waitcnt vmcnt(0)
	v_lshlrev_b32_e32 v11, 16, v3
.LBB201_14:                             ;   in Loop: Header=BB201_3 Depth=1
	s_or_b32 exec_lo, exec_lo, s25
	v_add_co_u32 v3, vcc_lo, v27, 3
	v_add_co_ci_u32_e32 v4, vcc_lo, 0, v28, vcc_lo
	s_delay_alu instid0(VALU_DEP_1) | instskip(SKIP_1) | instid1(SALU_CYCLE_1)
	v_cmp_gt_i64_e32 vcc_lo, s[16:17], v[3:4]
	s_and_b32 s26, s3, vcc_lo
	s_and_saveexec_b32 s25, s26
	s_cbranch_execz .LBB201_16
; %bb.15:                               ;   in Loop: Header=BB201_3 Depth=1
	v_add_co_u32 v3, vcc_lo, v49, v25
	v_add_co_ci_u32_e32 v4, vcc_lo, v50, v26, vcc_lo
	v_add_co_u32 v5, vcc_lo, v51, v25
	v_add_co_ci_u32_e32 v6, vcc_lo, v52, v26, vcc_lo
	global_load_u16 v1, v[3:4], off
	global_load_u16 v3, v[5:6], off
	s_waitcnt vmcnt(1)
	v_lshlrev_b32_e32 v20, 16, v1
	s_waitcnt vmcnt(0)
	v_lshlrev_b32_e32 v12, 16, v3
.LBB201_16:                             ;   in Loop: Header=BB201_3 Depth=1
	s_or_b32 exec_lo, exec_lo, s25
	v_add_co_u32 v3, vcc_lo, v27, 4
	v_add_co_ci_u32_e32 v4, vcc_lo, 0, v28, vcc_lo
	s_delay_alu instid0(VALU_DEP_1) | instskip(SKIP_1) | instid1(SALU_CYCLE_1)
	v_cmp_gt_i64_e32 vcc_lo, s[16:17], v[3:4]
	s_and_b32 s26, s3, vcc_lo
	s_and_saveexec_b32 s25, s26
	s_cbranch_execz .LBB201_18
; %bb.17:                               ;   in Loop: Header=BB201_3 Depth=1
	v_add_co_u32 v3, vcc_lo, v45, v25
	v_add_co_ci_u32_e32 v4, vcc_lo, v46, v26, vcc_lo
	v_add_co_u32 v5, vcc_lo, v47, v25
	v_add_co_ci_u32_e32 v6, vcc_lo, v48, v26, vcc_lo
	global_load_u16 v1, v[3:4], off
	global_load_u16 v3, v[5:6], off
	s_waitcnt vmcnt(1)
	v_lshlrev_b32_e32 v21, 16, v1
	s_waitcnt vmcnt(0)
	v_lshlrev_b32_e32 v13, 16, v3
.LBB201_18:                             ;   in Loop: Header=BB201_3 Depth=1
	s_or_b32 exec_lo, exec_lo, s25
	v_add_co_u32 v3, vcc_lo, v27, 5
	v_add_co_ci_u32_e32 v4, vcc_lo, 0, v28, vcc_lo
	s_delay_alu instid0(VALU_DEP_1) | instskip(SKIP_1) | instid1(SALU_CYCLE_1)
	v_cmp_gt_i64_e32 vcc_lo, s[16:17], v[3:4]
	s_and_b32 s26, s3, vcc_lo
	s_and_saveexec_b32 s25, s26
	s_cbranch_execz .LBB201_20
; %bb.19:                               ;   in Loop: Header=BB201_3 Depth=1
	v_add_co_u32 v3, vcc_lo, v41, v25
	v_add_co_ci_u32_e32 v4, vcc_lo, v42, v26, vcc_lo
	v_add_co_u32 v5, vcc_lo, v43, v25
	v_add_co_ci_u32_e32 v6, vcc_lo, v44, v26, vcc_lo
	global_load_u16 v1, v[3:4], off
	global_load_u16 v3, v[5:6], off
	s_waitcnt vmcnt(1)
	v_lshlrev_b32_e32 v22, 16, v1
	s_waitcnt vmcnt(0)
	v_lshlrev_b32_e32 v14, 16, v3
.LBB201_20:                             ;   in Loop: Header=BB201_3 Depth=1
	s_or_b32 exec_lo, exec_lo, s25
	v_add_co_u32 v3, vcc_lo, v27, 6
	v_add_co_ci_u32_e32 v4, vcc_lo, 0, v28, vcc_lo
	s_delay_alu instid0(VALU_DEP_1) | instskip(SKIP_1) | instid1(SALU_CYCLE_1)
	v_cmp_gt_i64_e32 vcc_lo, s[16:17], v[3:4]
	s_and_b32 s26, s3, vcc_lo
	s_and_saveexec_b32 s25, s26
	s_cbranch_execz .LBB201_22
; %bb.21:                               ;   in Loop: Header=BB201_3 Depth=1
	v_add_co_u32 v3, vcc_lo, v37, v25
	v_add_co_ci_u32_e32 v4, vcc_lo, v38, v26, vcc_lo
	v_add_co_u32 v5, vcc_lo, v39, v25
	v_add_co_ci_u32_e32 v6, vcc_lo, v40, v26, vcc_lo
	global_load_u16 v1, v[3:4], off
	global_load_u16 v3, v[5:6], off
	s_waitcnt vmcnt(1)
	v_lshlrev_b32_e32 v23, 16, v1
	s_waitcnt vmcnt(0)
	v_lshlrev_b32_e32 v15, 16, v3
.LBB201_22:                             ;   in Loop: Header=BB201_3 Depth=1
	s_or_b32 exec_lo, exec_lo, s25
	v_add_co_u32 v3, vcc_lo, v27, 7
	v_add_co_ci_u32_e32 v4, vcc_lo, 0, v28, vcc_lo
	s_delay_alu instid0(VALU_DEP_1) | instskip(SKIP_1) | instid1(SALU_CYCLE_1)
	v_cmp_gt_i64_e32 vcc_lo, s[16:17], v[3:4]
	s_and_b32 s26, s3, vcc_lo
	s_and_saveexec_b32 s25, s26
	s_cbranch_execz .LBB201_24
; %bb.23:                               ;   in Loop: Header=BB201_3 Depth=1
	v_add_co_u32 v3, vcc_lo, v33, v25
	v_add_co_ci_u32_e32 v4, vcc_lo, v34, v26, vcc_lo
	v_add_co_u32 v5, vcc_lo, v35, v25
	v_add_co_ci_u32_e32 v6, vcc_lo, v36, v26, vcc_lo
	global_load_u16 v1, v[3:4], off
	global_load_u16 v3, v[5:6], off
	s_waitcnt vmcnt(1)
	v_lshlrev_b32_e32 v24, 16, v1
	s_waitcnt vmcnt(0)
	v_lshlrev_b32_e32 v16, 16, v3
.LBB201_24:                             ;   in Loop: Header=BB201_3 Depth=1
	s_or_b32 exec_lo, exec_lo, s25
	s_waitcnt vmcnt(0)
	ds_bpermute_b32 v1, v2, v66
	ds_bpermute_b32 v4, v2, v66 offset:4
	ds_bpermute_b32 v5, v2, v66 offset:8
	v_mul_f32_e32 v3, v9, v17
	ds_bpermute_b32 v6, v2, v66 offset:12
	v_mul_f32_e32 v7, v10, v18
	ds_bpermute_b32 v8, v2, v66 offset:16
	ds_bpermute_b32 v9, v2, v66 offset:20
	s_waitcnt lgkmcnt(5)
	v_fma_f32 v3, v3, v1, v65
	v_mul_f32_e32 v1, v11, v19
	s_waitcnt lgkmcnt(4)
	s_delay_alu instid0(VALU_DEP_2) | instskip(SKIP_2) | instid1(VALU_DEP_2)
	v_fmac_f32_e32 v3, v7, v4
	v_dual_mul_f32 v4, v12, v20 :: v_dual_mul_f32 v7, v13, v21
	s_waitcnt lgkmcnt(3)
	v_fmac_f32_e32 v3, v1, v5
	ds_bpermute_b32 v5, v2, v66 offset:24
	ds_bpermute_b32 v1, v2, v66 offset:28
	s_waitcnt lgkmcnt(4)
	v_fmac_f32_e32 v3, v4, v6
	s_waitcnt lgkmcnt(3)
	s_delay_alu instid0(VALU_DEP_1) | instskip(SKIP_1) | instid1(VALU_DEP_1)
	v_dual_mul_f32 v4, v14, v22 :: v_dual_fmac_f32 v3, v7, v8
	s_waitcnt lgkmcnt(2)
	v_dual_fmac_f32 v3, v4, v9 :: v_dual_mul_f32 v4, v15, v23
	s_waitcnt lgkmcnt(1)
	s_delay_alu instid0(VALU_DEP_1)
	v_fmac_f32_e32 v3, v4, v5
	s_branch .LBB201_40
.LBB201_25:                             ;   in Loop: Header=BB201_3 Depth=1
                                        ; implicit-def: $vgpr3
                                        ; implicit-def: $vgpr9_vgpr10_vgpr11_vgpr12_vgpr13_vgpr14_vgpr15_vgpr16
                                        ; implicit-def: $vgpr17_vgpr18_vgpr19_vgpr20_vgpr21_vgpr22_vgpr23_vgpr24
                                        ; implicit-def: $vgpr1
	s_cbranch_execz .LBB201_40
; %bb.26:                               ;   in Loop: Header=BB201_3 Depth=1
	s_load_b32 s25, s[6:7], 0x0
	v_mov_b32_e32 v66, 0
	s_waitcnt lgkmcnt(0)
	s_cmp_lt_u32 s14, s25
	s_cselect_b32 s25, 12, 18
	s_delay_alu instid0(SALU_CYCLE_1)
	s_add_u32 s26, s6, s25
	s_addc_u32 s27, s7, 0
	s_mov_b32 s25, exec_lo
	global_load_u16 v1, v2, s[26:27]
	s_waitcnt vmcnt(0)
	v_mad_u32_u24 v1, v29, v1, v31
	s_delay_alu instid0(VALU_DEP_1) | instskip(NEXT) | instid1(VALU_DEP_1)
	v_and_b32_e32 v1, 31, v1
	v_cmpx_gt_u32_e32 8, v1
	s_cbranch_execz .LBB201_30
; %bb.27:                               ;   in Loop: Header=BB201_3 Depth=1
	v_add_co_u32 v3, vcc_lo, v27, v1
	v_add_co_ci_u32_e32 v4, vcc_lo, 0, v28, vcc_lo
	v_mov_b32_e32 v66, 0
	s_mov_b32 s26, exec_lo
	s_delay_alu instid0(VALU_DEP_2)
	v_cmpx_gt_i64_e64 s[16:17], v[3:4]
	s_cbranch_execz .LBB201_29
; %bb.28:                               ;   in Loop: Header=BB201_3 Depth=1
	v_lshlrev_b64 v[3:4], 2, v[3:4]
	s_delay_alu instid0(VALU_DEP_1) | instskip(NEXT) | instid1(VALU_DEP_2)
	v_add_co_u32 v3, vcc_lo, s12, v3
	v_add_co_ci_u32_e32 v4, vcc_lo, s13, v4, vcc_lo
	global_load_b32 v66, v[3:4], off
.LBB201_29:                             ;   in Loop: Header=BB201_3 Depth=1
	s_or_b32 exec_lo, exec_lo, s26
.LBB201_30:                             ;   in Loop: Header=BB201_3 Depth=1
	s_delay_alu instid0(SALU_CYCLE_1)
	s_or_b32 exec_lo, exec_lo, s25
	s_mov_b32 s30, s24
	s_mov_b32 s31, s24
	;; [unrolled: 1-line block ×7, first 2 shown]
	v_dual_mov_b32 v9, s24 :: v_dual_mov_b32 v10, s25
	v_dual_mov_b32 v15, s30 :: v_dual_mov_b32 v16, s31
	;; [unrolled: 1-line block ×4, first 2 shown]
	s_delay_alu instid0(VALU_DEP_3) | instskip(NEXT) | instid1(VALU_DEP_3)
	v_dual_mov_b32 v24, v16 :: v_dual_mov_b32 v23, v15
	v_dual_mov_b32 v20, v12 :: v_dual_mov_b32 v19, v11
	s_delay_alu instid0(VALU_DEP_3)
	v_dual_mov_b32 v22, v14 :: v_dual_mov_b32 v21, v13
	v_dual_mov_b32 v18, v10 :: v_dual_mov_b32 v17, v9
	s_and_saveexec_b32 s25, s3
	s_cbranch_execnz .LBB201_42
; %bb.31:                               ;   in Loop: Header=BB201_3 Depth=1
	s_or_b32 exec_lo, exec_lo, s25
	s_and_saveexec_b32 s25, s3
	s_cbranch_execnz .LBB201_43
.LBB201_32:                             ;   in Loop: Header=BB201_3 Depth=1
	s_or_b32 exec_lo, exec_lo, s25
	s_and_saveexec_b32 s25, s3
	s_cbranch_execnz .LBB201_44
.LBB201_33:                             ;   in Loop: Header=BB201_3 Depth=1
	s_or_b32 exec_lo, exec_lo, s25
	s_and_saveexec_b32 s25, s3
	s_cbranch_execnz .LBB201_45
.LBB201_34:                             ;   in Loop: Header=BB201_3 Depth=1
	s_or_b32 exec_lo, exec_lo, s25
	s_and_saveexec_b32 s25, s3
	s_cbranch_execnz .LBB201_46
.LBB201_35:                             ;   in Loop: Header=BB201_3 Depth=1
	s_or_b32 exec_lo, exec_lo, s25
	s_and_saveexec_b32 s25, s3
	s_cbranch_execnz .LBB201_47
.LBB201_36:                             ;   in Loop: Header=BB201_3 Depth=1
	s_or_b32 exec_lo, exec_lo, s25
	s_and_saveexec_b32 s25, s3
	s_cbranch_execnz .LBB201_48
.LBB201_37:                             ;   in Loop: Header=BB201_3 Depth=1
	s_or_b32 exec_lo, exec_lo, s25
	s_and_saveexec_b32 s25, s3
	s_cbranch_execz .LBB201_39
.LBB201_38:                             ;   in Loop: Header=BB201_3 Depth=1
	v_add_co_u32 v3, vcc_lo, v33, v25
	v_add_co_ci_u32_e32 v4, vcc_lo, v34, v26, vcc_lo
	v_add_co_u32 v5, vcc_lo, v35, v25
	v_add_co_ci_u32_e32 v6, vcc_lo, v36, v26, vcc_lo
	global_load_u16 v1, v[3:4], off
	global_load_u16 v3, v[5:6], off
	s_waitcnt vmcnt(1)
	v_lshlrev_b32_e32 v24, 16, v1
	s_waitcnt vmcnt(0)
	v_lshlrev_b32_e32 v16, 16, v3
.LBB201_39:                             ;   in Loop: Header=BB201_3 Depth=1
	s_or_b32 exec_lo, exec_lo, s25
	s_waitcnt vmcnt(0)
	ds_bpermute_b32 v1, v2, v66
	ds_bpermute_b32 v3, v2, v66 offset:4
	ds_bpermute_b32 v4, v2, v66 offset:8
	v_mul_f32_e32 v5, v9, v17
	ds_bpermute_b32 v6, v2, v66 offset:12
	v_mul_f32_e32 v7, v10, v18
	ds_bpermute_b32 v8, v2, v66 offset:16
	s_waitcnt lgkmcnt(4)
	v_fmac_f32_e32 v65, v5, v1
	v_mul_f32_e32 v1, v11, v19
	ds_bpermute_b32 v5, v2, v66 offset:20
	s_waitcnt lgkmcnt(4)
	v_fmac_f32_e32 v65, v7, v3
	v_mul_f32_e32 v3, v12, v20
	s_waitcnt lgkmcnt(3)
	s_delay_alu instid0(VALU_DEP_2)
	v_fmac_f32_e32 v65, v1, v4
	ds_bpermute_b32 v4, v2, v66 offset:24
	v_mul_f32_e32 v1, v13, v21
	s_waitcnt lgkmcnt(3)
	v_fmac_f32_e32 v65, v3, v6
	v_mul_f32_e32 v3, v14, v22
	s_waitcnt lgkmcnt(2)
	s_delay_alu instid0(VALU_DEP_2)
	v_fmac_f32_e32 v65, v1, v8
	ds_bpermute_b32 v1, v2, v66 offset:28
	s_waitcnt lgkmcnt(2)
	v_fmac_f32_e32 v65, v3, v5
	v_mul_f32_e32 v3, v15, v23
	s_waitcnt lgkmcnt(1)
	s_delay_alu instid0(VALU_DEP_1) | instskip(NEXT) | instid1(VALU_DEP_1)
	v_fmac_f32_e32 v65, v3, v4
	v_mov_b32_e32 v3, v65
.LBB201_40:                             ;   in Loop: Header=BB201_3 Depth=1
	v_add_co_u32 v33, vcc_lo, v33, s8
	v_add_co_ci_u32_e32 v34, vcc_lo, s9, v34, vcc_lo
	v_add_co_u32 v35, vcc_lo, v35, s8
	v_add_co_ci_u32_e32 v36, vcc_lo, s9, v36, vcc_lo
	;; [unrolled: 2-line block ×14, first 2 shown]
	v_add_co_u32 v30, vcc_lo, v30, s36
	s_add_u32 s10, s10, s36
	v_add_co_ci_u32_e32 v32, vcc_lo, 0, v32, vcc_lo
	v_mul_f32_e32 v4, v24, v16
	s_addc_u32 s11, s11, 0
	v_add_co_u32 v61, vcc_lo, v61, s8
	v_add_co_ci_u32_e32 v62, vcc_lo, s9, v62, vcc_lo
	v_cmp_lt_i64_e64 s25, s[10:11], s[16:17]
	v_add_co_u32 v63, vcc_lo, v63, s8
	s_waitcnt lgkmcnt(0)
	v_fmac_f32_e32 v3, v4, v1
	v_add_co_ci_u32_e32 v64, vcc_lo, s9, v64, vcc_lo
	s_add_u32 s4, s4, s36
	s_addc_u32 s5, s5, 0
	s_and_b32 vcc_lo, exec_lo, s25
	s_cbranch_vccz .LBB201_50
; %bb.41:                               ;   in Loop: Header=BB201_3 Depth=1
	v_mov_b32_e32 v65, v3
	s_branch .LBB201_3
.LBB201_42:                             ;   in Loop: Header=BB201_3 Depth=1
	v_add_co_u32 v3, vcc_lo, v61, v25
	v_add_co_ci_u32_e32 v4, vcc_lo, v62, v26, vcc_lo
	v_add_co_u32 v5, vcc_lo, v63, v25
	v_add_co_ci_u32_e32 v6, vcc_lo, v64, v26, vcc_lo
	v_mov_b32_e32 v8, v2
	global_load_u16 v1, v[3:4], off
	global_load_u16 v9, v[5:6], off
	v_mov_b32_e32 v3, v2
	v_mov_b32_e32 v4, v2
	;; [unrolled: 1-line block ×6, first 2 shown]
	s_waitcnt vmcnt(1)
	v_lshlrev_b32_e32 v1, 16, v1
	s_waitcnt vmcnt(0)
	v_lshlrev_b32_e32 v9, 16, v9
	v_dual_mov_b32 v11, v2 :: v_dual_mov_b32 v24, v8
	v_dual_mov_b32 v10, v2 :: v_dual_mov_b32 v23, v7
	;; [unrolled: 1-line block ×6, first 2 shown]
	v_mov_b32_e32 v22, v6
	v_mov_b32_e32 v18, v2
	s_or_b32 exec_lo, exec_lo, s25
	s_and_saveexec_b32 s25, s3
	s_cbranch_execz .LBB201_32
.LBB201_43:                             ;   in Loop: Header=BB201_3 Depth=1
	v_add_co_u32 v3, vcc_lo, v57, v25
	v_add_co_ci_u32_e32 v4, vcc_lo, v58, v26, vcc_lo
	v_add_co_u32 v5, vcc_lo, v59, v25
	v_add_co_ci_u32_e32 v6, vcc_lo, v60, v26, vcc_lo
	global_load_u16 v1, v[3:4], off
	global_load_u16 v3, v[5:6], off
	s_waitcnt vmcnt(1)
	v_lshlrev_b32_e32 v18, 16, v1
	s_waitcnt vmcnt(0)
	v_lshlrev_b32_e32 v10, 16, v3
	s_or_b32 exec_lo, exec_lo, s25
	s_and_saveexec_b32 s25, s3
	s_cbranch_execz .LBB201_33
.LBB201_44:                             ;   in Loop: Header=BB201_3 Depth=1
	v_add_co_u32 v3, vcc_lo, v53, v25
	v_add_co_ci_u32_e32 v4, vcc_lo, v54, v26, vcc_lo
	v_add_co_u32 v5, vcc_lo, v55, v25
	v_add_co_ci_u32_e32 v6, vcc_lo, v56, v26, vcc_lo
	global_load_u16 v1, v[3:4], off
	global_load_u16 v3, v[5:6], off
	s_waitcnt vmcnt(1)
	v_lshlrev_b32_e32 v19, 16, v1
	s_waitcnt vmcnt(0)
	v_lshlrev_b32_e32 v11, 16, v3
	s_or_b32 exec_lo, exec_lo, s25
	s_and_saveexec_b32 s25, s3
	s_cbranch_execz .LBB201_34
.LBB201_45:                             ;   in Loop: Header=BB201_3 Depth=1
	v_add_co_u32 v3, vcc_lo, v49, v25
	v_add_co_ci_u32_e32 v4, vcc_lo, v50, v26, vcc_lo
	v_add_co_u32 v5, vcc_lo, v51, v25
	v_add_co_ci_u32_e32 v6, vcc_lo, v52, v26, vcc_lo
	global_load_u16 v1, v[3:4], off
	global_load_u16 v3, v[5:6], off
	s_waitcnt vmcnt(1)
	v_lshlrev_b32_e32 v20, 16, v1
	s_waitcnt vmcnt(0)
	v_lshlrev_b32_e32 v12, 16, v3
	s_or_b32 exec_lo, exec_lo, s25
	s_and_saveexec_b32 s25, s3
	s_cbranch_execz .LBB201_35
.LBB201_46:                             ;   in Loop: Header=BB201_3 Depth=1
	v_add_co_u32 v3, vcc_lo, v45, v25
	v_add_co_ci_u32_e32 v4, vcc_lo, v46, v26, vcc_lo
	v_add_co_u32 v5, vcc_lo, v47, v25
	v_add_co_ci_u32_e32 v6, vcc_lo, v48, v26, vcc_lo
	global_load_u16 v1, v[3:4], off
	global_load_u16 v3, v[5:6], off
	s_waitcnt vmcnt(1)
	v_lshlrev_b32_e32 v21, 16, v1
	s_waitcnt vmcnt(0)
	v_lshlrev_b32_e32 v13, 16, v3
	s_or_b32 exec_lo, exec_lo, s25
	s_and_saveexec_b32 s25, s3
	s_cbranch_execz .LBB201_36
.LBB201_47:                             ;   in Loop: Header=BB201_3 Depth=1
	v_add_co_u32 v3, vcc_lo, v41, v25
	v_add_co_ci_u32_e32 v4, vcc_lo, v42, v26, vcc_lo
	v_add_co_u32 v5, vcc_lo, v43, v25
	v_add_co_ci_u32_e32 v6, vcc_lo, v44, v26, vcc_lo
	global_load_u16 v1, v[3:4], off
	global_load_u16 v3, v[5:6], off
	s_waitcnt vmcnt(1)
	v_lshlrev_b32_e32 v22, 16, v1
	s_waitcnt vmcnt(0)
	v_lshlrev_b32_e32 v14, 16, v3
	s_or_b32 exec_lo, exec_lo, s25
	s_and_saveexec_b32 s25, s3
	s_cbranch_execz .LBB201_37
.LBB201_48:                             ;   in Loop: Header=BB201_3 Depth=1
	v_add_co_u32 v3, vcc_lo, v37, v25
	v_add_co_ci_u32_e32 v4, vcc_lo, v38, v26, vcc_lo
	v_add_co_u32 v5, vcc_lo, v39, v25
	v_add_co_ci_u32_e32 v6, vcc_lo, v40, v26, vcc_lo
	global_load_u16 v1, v[3:4], off
	global_load_u16 v3, v[5:6], off
	s_waitcnt vmcnt(1)
	v_lshlrev_b32_e32 v23, 16, v1
	s_waitcnt vmcnt(0)
	v_lshlrev_b32_e32 v15, 16, v3
	s_or_b32 exec_lo, exec_lo, s25
	s_and_saveexec_b32 s25, s3
	s_cbranch_execnz .LBB201_38
	s_branch .LBB201_39
.LBB201_49:
                                        ; implicit-def: $vgpr3
	s_load_b64 s[24:25], s[0:1], 0x30
	s_branch .LBB201_51
.LBB201_50:
	s_load_b64 s[24:25], s[0:1], 0x30
	s_cbranch_execnz .LBB201_83
.LBB201_51:
	v_mov_b32_e32 v3, 0
	s_and_not1_b32 vcc_lo, exec_lo, s33
	s_cbranch_vccnz .LBB201_83
; %bb.52:
	v_bfe_u32 v57, v0, 10, 10
	v_mov_b32_e32 v2, 0
	s_add_u32 s26, s0, 64
	s_addc_u32 s27, s1, 0
	s_lshl_b64 s[6:7], s[34:35], 1
	v_lshlrev_b32_e32 v3, 4, v57
	s_load_b32 s3, s[0:1], 0x44
	v_dual_mov_b32 v93, 0 :: v_dual_and_b32 v58, 0x3ff, v0
	v_mov_b32_e32 v60, v2
	s_delay_alu instid0(VALU_DEP_3) | instskip(NEXT) | instid1(VALU_DEP_1)
	v_add_co_u32 v3, s5, v3, s6
	v_add_co_ci_u32_e64 v4, null, 0, s7, s5
	s_delay_alu instid0(VALU_DEP_4) | instskip(NEXT) | instid1(VALU_DEP_3)
	v_add_nc_u32_e32 v1, s15, v58
	v_add_co_u32 v7, vcc_lo, v3, 2
	s_delay_alu instid0(VALU_DEP_3) | instskip(NEXT) | instid1(VALU_DEP_3)
	v_add_co_ci_u32_e32 v5, vcc_lo, 0, v4, vcc_lo
	v_lshlrev_b64 v[27:28], 1, v[1:2]
	v_add_co_u32 v1, vcc_lo, v3, 4
	s_delay_alu instid0(VALU_DEP_3) | instskip(SKIP_3) | instid1(VALU_DEP_3)
	v_mul_lo_u32 v8, s18, v5
	v_add_co_ci_u32_e32 v5, vcc_lo, 0, v4, vcc_lo
	v_add_co_u32 v11, vcc_lo, v3, 6
	v_lshlrev_b32_e32 v59, 3, v57
	v_mul_lo_u32 v10, s18, v5
	v_add_co_ci_u32_e32 v5, vcc_lo, 0, v4, vcc_lo
	v_add_co_u32 v13, vcc_lo, v3, 8
	s_waitcnt lgkmcnt(0)
	s_lshl_b32 s15, s3, 3
	v_add_co_ci_u32_e32 v6, vcc_lo, 0, v4, vcc_lo
	v_add_co_u32 v17, vcc_lo, v3, 10
	s_mul_i32 s3, s19, s15
	s_mul_hi_u32 s5, s18, s15
	v_mul_lo_u32 v14, s18, v5
	v_add_co_ci_u32_e32 v5, vcc_lo, 0, v4, vcc_lo
	s_add_i32 s7, s5, s3
	v_add_co_u32 v19, vcc_lo, v3, 12
	v_add_co_u32 v24, s3, v59, s34
	v_mul_lo_u32 v16, s18, v6
	v_add_co_ci_u32_e32 v6, vcc_lo, 0, v4, vcc_lo
	v_add_co_ci_u32_e64 v55, null, 0, 0, s3
	v_add_co_u32 v56, vcc_lo, v3, 14
	v_mul_lo_u32 v20, s18, v5
	s_delay_alu instid0(VALU_DEP_4) | instskip(SKIP_4) | instid1(VALU_DEP_4)
	v_mul_lo_u32 v22, s18, v6
	v_add_co_ci_u32_e32 v5, vcc_lo, 0, v4, vcc_lo
	v_mul_lo_u32 v6, s19, v24
	v_mul_lo_u32 v41, s18, v55
	v_mad_u64_u32 v[3:4], null, s18, v24, 0
	v_mul_lo_u32 v63, s18, v5
	v_mad_u64_u32 v[25:26], null, s18, v7, s[20:21]
	;; [unrolled: 2-line block ×3, first 2 shown]
	v_add3_u32 v4, v4, v41, v6
	v_mul_lo_u32 v12, s19, v1
	v_mad_u64_u32 v[41:42], null, s18, v7, s[22:23]
	v_mad_u64_u32 v[43:44], null, s18, v1, s[22:23]
	s_delay_alu instid0(VALU_DEP_4) | instskip(SKIP_3) | instid1(VALU_DEP_4)
	v_lshlrev_b64 v[5:6], 1, v[3:4]
	v_mad_u64_u32 v[31:32], null, s18, v11, s[20:21]
	v_mul_lo_u32 v15, s19, v11
	v_mad_u64_u32 v[45:46], null, s18, v11, s[22:23]
	v_add_co_u32 v61, vcc_lo, s20, v5
	v_add_co_ci_u32_e32 v62, vcc_lo, s21, v6, vcc_lo
	v_add_co_u32 v1, vcc_lo, v24, 7
	v_add_co_ci_u32_e32 v7, vcc_lo, 0, v55, vcc_lo
	v_mad_u64_u32 v[33:34], null, s18, v13, s[20:21]
	v_mul_lo_u32 v18, s19, v13
	v_mad_u64_u32 v[47:48], null, s18, v13, s[22:23]
	v_add_co_u32 v13, vcc_lo, v24, 6
	v_add3_u32 v26, v9, v26, v8
	v_add3_u32 v30, v12, v30, v10
	;; [unrolled: 1-line block ×4, first 2 shown]
	v_mul_lo_u32 v11, s19, v1
	v_mul_lo_u32 v12, s18, v7
	v_mad_u64_u32 v[7:8], null, s18, v1, 0
	v_add_co_ci_u32_e32 v9, vcc_lo, 0, v55, vcc_lo
	v_mad_u64_u32 v[39:40], null, s18, v56, s[20:21]
	v_mul_lo_u32 v64, s19, v56
	v_mad_u64_u32 v[53:54], null, s18, v56, s[22:23]
	v_add3_u32 v32, v15, v32, v14
	v_add3_u32 v46, v15, v46, v14
	v_mul_lo_u32 v1, s19, v13
	v_mul_lo_u32 v14, s18, v9
	v_mad_u64_u32 v[9:10], null, s18, v13, 0
	v_add3_u32 v8, v8, v12, v11
	v_add3_u32 v40, v64, v40, v63
	;; [unrolled: 1-line block ×3, first 2 shown]
	v_add_co_u32 v63, vcc_lo, s22, v5
	v_add_co_ci_u32_e32 v64, vcc_lo, s23, v6, vcc_lo
	v_lshlrev_b64 v[5:6], 1, v[7:8]
	v_add3_u32 v10, v10, v14, v1
	v_add_co_u32 v1, vcc_lo, v24, 5
	v_add_co_ci_u32_e32 v11, vcc_lo, 0, v55, vcc_lo
	s_delay_alu instid0(VALU_DEP_4) | instskip(NEXT) | instid1(VALU_DEP_4)
	v_add_co_u32 v65, vcc_lo, s20, v5
	v_lshlrev_b64 v[7:8], 1, v[9:10]
	v_add_co_ci_u32_e32 v66, vcc_lo, s21, v6, vcc_lo
	v_mul_lo_u32 v12, s19, v1
	v_mul_lo_u32 v11, s18, v11
	v_mad_u64_u32 v[9:10], null, s18, v1, 0
	v_add_co_u32 v67, vcc_lo, s22, v5
	v_add_co_ci_u32_e32 v68, vcc_lo, s23, v6, vcc_lo
	v_add_co_u32 v69, vcc_lo, s20, v7
	v_add_co_ci_u32_e32 v70, vcc_lo, s21, v8, vcc_lo
	v_add_co_u32 v1, vcc_lo, v24, 4
	v_add3_u32 v10, v10, v11, v12
	v_add_co_u32 v71, s3, s22, v7
	v_add_co_ci_u32_e32 v7, vcc_lo, 0, v55, vcc_lo
	v_add_co_u32 v12, vcc_lo, v24, 3
	s_delay_alu instid0(VALU_DEP_4)
	v_lshlrev_b64 v[5:6], 1, v[9:10]
	v_add_co_ci_u32_e32 v9, vcc_lo, 0, v55, vcc_lo
	v_add_co_ci_u32_e64 v72, s3, s23, v8, s3
	v_mul_lo_u32 v11, s19, v1
	v_mul_lo_u32 v13, s18, v7
	v_mad_u64_u32 v[7:8], null, s18, v1, 0
	v_mul_lo_u32 v1, s19, v12
	v_mul_lo_u32 v14, s18, v9
	v_mad_u64_u32 v[9:10], null, s18, v12, 0
	v_add_co_u32 v73, vcc_lo, s20, v5
	v_add_co_ci_u32_e32 v74, vcc_lo, s21, v6, vcc_lo
	v_add3_u32 v8, v8, v13, v11
	v_add_co_u32 v75, vcc_lo, s22, v5
	v_add_co_ci_u32_e32 v76, vcc_lo, s23, v6, vcc_lo
	v_add3_u32 v10, v10, v14, v1
	v_add_co_u32 v1, vcc_lo, v24, 2
	v_lshlrev_b64 v[5:6], 1, v[7:8]
	v_add_co_ci_u32_e32 v11, vcc_lo, 0, v55, vcc_lo
	s_delay_alu instid0(VALU_DEP_4) | instskip(NEXT) | instid1(VALU_DEP_4)
	v_lshlrev_b64 v[7:8], 1, v[9:10]
	v_mul_lo_u32 v12, s19, v1
	v_mad_u64_u32 v[9:10], null, s18, v1, 0
	v_add_co_u32 v77, vcc_lo, s20, v5
	v_mul_lo_u32 v11, s18, v11
	v_add_co_ci_u32_e32 v78, vcc_lo, s21, v6, vcc_lo
	v_add_co_u32 v79, vcc_lo, s22, v5
	v_add_co_ci_u32_e32 v80, vcc_lo, s23, v6, vcc_lo
	v_add_co_u32 v81, vcc_lo, s20, v7
	v_add_co_ci_u32_e32 v82, vcc_lo, s21, v8, vcc_lo
	v_add3_u32 v10, v10, v11, v12
	v_add_co_u32 v83, vcc_lo, s22, v7
	v_add_co_ci_u32_e32 v84, vcc_lo, s23, v8, vcc_lo
	v_add_co_u32 v3, vcc_lo, v3, s18
	s_delay_alu instid0(VALU_DEP_4) | instskip(SKIP_3) | instid1(VALU_DEP_4)
	v_lshlrev_b64 v[5:6], 1, v[9:10]
	v_add_co_ci_u32_e32 v4, vcc_lo, s19, v4, vcc_lo
	v_mad_u64_u32 v[35:36], null, s18, v17, s[20:21]
	v_mul_lo_u32 v21, s19, v17
	v_add_co_u32 v85, vcc_lo, s20, v5
	s_delay_alu instid0(VALU_DEP_4)
	v_lshlrev_b64 v[3:4], 1, v[3:4]
	v_add_co_ci_u32_e32 v86, vcc_lo, s21, v6, vcc_lo
	v_mad_u64_u32 v[37:38], null, s18, v19, s[20:21]
	v_mul_lo_u32 v23, s19, v19
	v_mad_u64_u32 v[49:50], null, s18, v17, s[22:23]
	v_mad_u64_u32 v[51:52], null, s18, v19, s[22:23]
	v_add_co_u32 v87, vcc_lo, s22, v5
	v_add_co_ci_u32_e32 v88, vcc_lo, s23, v6, vcc_lo
	v_add_co_u32 v89, vcc_lo, s20, v3
	v_add_co_ci_u32_e32 v90, vcc_lo, s21, v4, vcc_lo
	v_add_co_u32 v91, vcc_lo, s22, v3
	v_add3_u32 v34, v18, v34, v16
	v_add3_u32 v36, v21, v36, v20
	;; [unrolled: 1-line block ×6, first 2 shown]
	v_add_co_ci_u32_e32 v92, vcc_lo, s23, v4, vcc_lo
	s_mul_i32 s6, s18, s15
	s_mov_b32 s4, 0
	s_lshl_b64 s[20:21], s[6:7], 1
	s_mov_b64 s[22:23], 7
	s_mov_b64 s[28:29], s[34:35]
.LBB201_53:                             ; =>This Inner Loop Header: Depth=1
	s_add_u32 s6, s34, s22
	s_addc_u32 s7, 0, s23
	v_add_co_u32 v55, vcc_lo, s34, v59
	v_cmp_ge_i64_e64 s3, s[6:7], s[16:17]
	v_add_co_ci_u32_e32 v56, vcc_lo, 0, v60, vcc_lo
	s_delay_alu instid0(VALU_DEP_2)
	s_and_b32 vcc_lo, exec_lo, s3
	s_cbranch_vccz .LBB201_75
; %bb.54:                               ;   in Loop: Header=BB201_53 Depth=1
	s_load_b32 s3, s[26:27], 0xc
	v_mov_b32_e32 v94, 0
	s_waitcnt lgkmcnt(0)
	s_and_b32 s3, s3, 0xffff
	s_delay_alu instid0(SALU_CYCLE_1) | instskip(SKIP_1) | instid1(VALU_DEP_1)
	v_mad_u32_u24 v1, v57, s3, v58
	s_mov_b32 s3, exec_lo
	v_and_b32_e32 v1, 31, v1
	s_delay_alu instid0(VALU_DEP_1)
	v_cmpx_gt_u32_e32 8, v1
	s_cbranch_execz .LBB201_58
; %bb.55:                               ;   in Loop: Header=BB201_53 Depth=1
	v_add_co_u32 v3, vcc_lo, v55, v1
	v_add_co_ci_u32_e32 v4, vcc_lo, 0, v56, vcc_lo
	v_mov_b32_e32 v94, 0
	s_mov_b32 s5, exec_lo
	s_delay_alu instid0(VALU_DEP_2)
	v_cmpx_gt_i64_e64 s[16:17], v[3:4]
	s_cbranch_execz .LBB201_57
; %bb.56:                               ;   in Loop: Header=BB201_53 Depth=1
	v_lshlrev_b64 v[3:4], 2, v[3:4]
	s_delay_alu instid0(VALU_DEP_1) | instskip(NEXT) | instid1(VALU_DEP_2)
	v_add_co_u32 v3, vcc_lo, s12, v3
	v_add_co_ci_u32_e32 v4, vcc_lo, s13, v4, vcc_lo
	global_load_b32 v94, v[3:4], off
.LBB201_57:                             ;   in Loop: Header=BB201_53 Depth=1
	s_or_b32 exec_lo, exec_lo, s5
.LBB201_58:                             ;   in Loop: Header=BB201_53 Depth=1
	s_delay_alu instid0(SALU_CYCLE_1)
	s_or_b32 exec_lo, exec_lo, s3
	s_mov_b32 s11, s4
	s_mov_b32 s5, s4
	;; [unrolled: 1-line block ×7, first 2 shown]
	s_delay_alu instid0(SALU_CYCLE_1) | instskip(SKIP_3) | instid1(VALU_DEP_4)
	v_dual_mov_b32 v16, s11 :: v_dual_mov_b32 v15, s10
	v_dual_mov_b32 v14, s9 :: v_dual_mov_b32 v13, s8
	;; [unrolled: 1-line block ×5, first 2 shown]
	s_delay_alu instid0(VALU_DEP_4) | instskip(NEXT) | instid1(VALU_DEP_4)
	v_dual_mov_b32 v22, v14 :: v_dual_mov_b32 v21, v13
	v_dual_mov_b32 v20, v12 :: v_dual_mov_b32 v19, v11
	s_delay_alu instid0(VALU_DEP_4)
	v_dual_mov_b32 v18, v10 :: v_dual_mov_b32 v17, v9
	s_mov_b32 s3, exec_lo
	v_cmpx_gt_i64_e64 s[16:17], v[55:56]
	s_cbranch_execz .LBB201_60
; %bb.59:                               ;   in Loop: Header=BB201_53 Depth=1
	v_add_co_u32 v3, vcc_lo, v61, v27
	v_add_co_ci_u32_e32 v4, vcc_lo, v62, v28, vcc_lo
	v_add_co_u32 v5, vcc_lo, v63, v27
	v_add_co_ci_u32_e32 v6, vcc_lo, v64, v28, vcc_lo
	v_mov_b32_e32 v8, v2
	global_load_u16 v1, v[3:4], off
	global_load_u16 v9, v[5:6], off
	v_mov_b32_e32 v3, v2
	v_mov_b32_e32 v4, v2
	;; [unrolled: 1-line block ×6, first 2 shown]
	s_waitcnt vmcnt(1)
	v_lshlrev_b32_e32 v1, 16, v1
	s_waitcnt vmcnt(0)
	v_lshlrev_b32_e32 v9, 16, v9
	v_dual_mov_b32 v11, v2 :: v_dual_mov_b32 v24, v8
	v_dual_mov_b32 v10, v2 :: v_dual_mov_b32 v23, v7
	;; [unrolled: 1-line block ×6, first 2 shown]
	v_mov_b32_e32 v22, v6
	v_mov_b32_e32 v18, v2
.LBB201_60:                             ;   in Loop: Header=BB201_53 Depth=1
	s_or_b32 exec_lo, exec_lo, s3
	v_add_co_u32 v3, vcc_lo, v55, 1
	v_add_co_ci_u32_e32 v4, vcc_lo, 0, v56, vcc_lo
	s_mov_b32 s3, exec_lo
	s_delay_alu instid0(VALU_DEP_1)
	v_cmpx_gt_i64_e64 s[16:17], v[3:4]
	s_cbranch_execz .LBB201_62
; %bb.61:                               ;   in Loop: Header=BB201_53 Depth=1
	v_add_co_u32 v3, vcc_lo, v89, v27
	v_add_co_ci_u32_e32 v4, vcc_lo, v90, v28, vcc_lo
	v_add_co_u32 v5, vcc_lo, v91, v27
	v_add_co_ci_u32_e32 v6, vcc_lo, v92, v28, vcc_lo
	global_load_u16 v1, v[3:4], off
	global_load_u16 v3, v[5:6], off
	s_waitcnt vmcnt(1)
	v_lshlrev_b32_e32 v18, 16, v1
	s_waitcnt vmcnt(0)
	v_lshlrev_b32_e32 v10, 16, v3
.LBB201_62:                             ;   in Loop: Header=BB201_53 Depth=1
	s_or_b32 exec_lo, exec_lo, s3
	v_add_co_u32 v3, vcc_lo, v55, 2
	v_add_co_ci_u32_e32 v4, vcc_lo, 0, v56, vcc_lo
	s_mov_b32 s3, exec_lo
	s_delay_alu instid0(VALU_DEP_1)
	v_cmpx_gt_i64_e64 s[16:17], v[3:4]
	s_cbranch_execz .LBB201_64
; %bb.63:                               ;   in Loop: Header=BB201_53 Depth=1
	v_add_co_u32 v3, vcc_lo, v85, v27
	v_add_co_ci_u32_e32 v4, vcc_lo, v86, v28, vcc_lo
	v_add_co_u32 v5, vcc_lo, v87, v27
	v_add_co_ci_u32_e32 v6, vcc_lo, v88, v28, vcc_lo
	global_load_u16 v1, v[3:4], off
	global_load_u16 v3, v[5:6], off
	s_waitcnt vmcnt(1)
	v_lshlrev_b32_e32 v19, 16, v1
	s_waitcnt vmcnt(0)
	v_lshlrev_b32_e32 v11, 16, v3
.LBB201_64:                             ;   in Loop: Header=BB201_53 Depth=1
	;; [unrolled: 19-line block ×7, first 2 shown]
	s_or_b32 exec_lo, exec_lo, s3
	s_waitcnt vmcnt(0)
	ds_bpermute_b32 v1, v2, v94
	ds_bpermute_b32 v4, v2, v94 offset:4
	ds_bpermute_b32 v5, v2, v94 offset:8
	v_mul_f32_e32 v3, v9, v17
	ds_bpermute_b32 v6, v2, v94 offset:12
	v_mul_f32_e32 v7, v10, v18
	ds_bpermute_b32 v8, v2, v94 offset:16
	ds_bpermute_b32 v9, v2, v94 offset:20
	s_waitcnt lgkmcnt(5)
	v_fma_f32 v3, v3, v1, v93
	v_mul_f32_e32 v1, v11, v19
	s_waitcnt lgkmcnt(4)
	s_delay_alu instid0(VALU_DEP_2)
	v_fmac_f32_e32 v3, v7, v4
	v_mul_f32_e32 v4, v12, v20
	ds_bpermute_b32 v7, v2, v94 offset:24
	s_waitcnt lgkmcnt(4)
	v_fmac_f32_e32 v3, v1, v5
	v_mul_f32_e32 v1, v13, v21
	v_mul_f32_e32 v5, v14, v22
	s_waitcnt lgkmcnt(3)
	s_delay_alu instid0(VALU_DEP_3)
	v_fmac_f32_e32 v3, v4, v6
	ds_bpermute_b32 v4, v2, v94 offset:28
	s_waitcnt lgkmcnt(3)
	v_fmac_f32_e32 v3, v1, v8
	v_mul_f32_e32 v1, v15, v23
	s_waitcnt lgkmcnt(2)
	s_delay_alu instid0(VALU_DEP_2) | instskip(SKIP_1) | instid1(VALU_DEP_1)
	v_fmac_f32_e32 v3, v5, v9
	s_waitcnt lgkmcnt(1)
	v_fmac_f32_e32 v3, v1, v7
	v_mul_f32_e32 v1, v16, v24
	s_waitcnt lgkmcnt(0)
	s_delay_alu instid0(VALU_DEP_1)
	v_fmac_f32_e32 v3, v1, v4
	s_branch .LBB201_81
.LBB201_75:                             ;   in Loop: Header=BB201_53 Depth=1
                                        ; implicit-def: $vgpr3
	s_cbranch_execz .LBB201_81
; %bb.76:                               ;   in Loop: Header=BB201_53 Depth=1
	s_load_b32 s3, s[26:27], 0x0
	s_waitcnt lgkmcnt(0)
	s_cmp_lt_u32 s14, s3
	s_cselect_b32 s3, 12, 18
	s_delay_alu instid0(SALU_CYCLE_1)
	s_add_u32 s6, s26, s3
	s_addc_u32 s7, s27, 0
	s_mov_b32 s3, exec_lo
	global_load_u16 v1, v2, s[6:7]
	s_waitcnt vmcnt(0)
	v_mad_u32_u24 v1, v57, v1, v58
	s_delay_alu instid0(VALU_DEP_1) | instskip(SKIP_1) | instid1(VALU_DEP_2)
	v_and_b32_e32 v3, 31, v1
	v_mov_b32_e32 v1, 0
	v_cmpx_gt_u32_e32 8, v3
	s_cbranch_execz .LBB201_80
; %bb.77:                               ;   in Loop: Header=BB201_53 Depth=1
	v_add_co_u32 v3, vcc_lo, v55, v3
	v_add_co_ci_u32_e32 v4, vcc_lo, 0, v56, vcc_lo
	v_mov_b32_e32 v1, 0
	s_mov_b32 s5, exec_lo
	s_delay_alu instid0(VALU_DEP_2)
	v_cmpx_gt_i64_e64 s[16:17], v[3:4]
	s_cbranch_execz .LBB201_79
; %bb.78:                               ;   in Loop: Header=BB201_53 Depth=1
	v_lshlrev_b64 v[3:4], 2, v[3:4]
	s_delay_alu instid0(VALU_DEP_1) | instskip(NEXT) | instid1(VALU_DEP_2)
	v_add_co_u32 v3, vcc_lo, s12, v3
	v_add_co_ci_u32_e32 v4, vcc_lo, s13, v4, vcc_lo
	global_load_b32 v1, v[3:4], off
.LBB201_79:                             ;   in Loop: Header=BB201_53 Depth=1
	s_or_b32 exec_lo, exec_lo, s5
.LBB201_80:                             ;   in Loop: Header=BB201_53 Depth=1
	s_delay_alu instid0(SALU_CYCLE_1)
	s_or_b32 exec_lo, exec_lo, s3
	v_add_co_u32 v3, vcc_lo, v61, v27
	v_add_co_ci_u32_e32 v4, vcc_lo, v62, v28, vcc_lo
	v_add_co_u32 v5, vcc_lo, v63, v27
	v_add_co_ci_u32_e32 v6, vcc_lo, v64, v28, vcc_lo
	;; [unrolled: 2-line block ×4, first 2 shown]
	global_load_u16 v13, v[3:4], off
	global_load_u16 v14, v[5:6], off
	;; [unrolled: 1-line block ×4, first 2 shown]
	v_add_co_u32 v3, vcc_lo, v29, v27
	v_add_co_ci_u32_e32 v4, vcc_lo, v30, v28, vcc_lo
	v_add_co_u32 v5, vcc_lo, v43, v27
	v_add_co_ci_u32_e32 v6, vcc_lo, v44, v28, vcc_lo
	global_load_u16 v17, v[3:4], off
	v_add_co_u32 v3, vcc_lo, v31, v27
	v_add_co_ci_u32_e32 v4, vcc_lo, v32, v28, vcc_lo
	v_add_co_u32 v7, vcc_lo, v45, v27
	v_add_co_ci_u32_e32 v8, vcc_lo, v46, v28, vcc_lo
	;; [unrolled: 2-line block ×4, first 2 shown]
	global_load_u16 v18, v[5:6], off
	global_load_u16 v19, v[3:4], off
	;; [unrolled: 1-line block ×5, first 2 shown]
	v_add_co_u32 v3, vcc_lo, v35, v27
	v_add_co_ci_u32_e32 v4, vcc_lo, v36, v28, vcc_lo
	v_add_co_u32 v5, vcc_lo, v49, v27
	v_add_co_ci_u32_e32 v6, vcc_lo, v50, v28, vcc_lo
	;; [unrolled: 2-line block ×4, first 2 shown]
	global_load_u16 v12, v[3:4], off
	global_load_u16 v22, v[5:6], off
	;; [unrolled: 1-line block ×4, first 2 shown]
	v_add_co_u32 v3, vcc_lo, v53, v27
	v_add_co_ci_u32_e32 v4, vcc_lo, v54, v28, vcc_lo
	v_add_co_u32 v5, vcc_lo, v39, v27
	v_add_co_ci_u32_e32 v6, vcc_lo, v40, v28, vcc_lo
	global_load_u16 v3, v[3:4], off
	global_load_u16 v4, v[5:6], off
	s_waitcnt vmcnt(16)
	ds_bpermute_b32 v5, v2, v1
	ds_bpermute_b32 v6, v2, v1 offset:4
	ds_bpermute_b32 v9, v2, v1 offset:8
	s_waitcnt vmcnt(13)
	v_lshlrev_b32_e32 v15, 16, v15
	s_waitcnt vmcnt(12)
	v_lshlrev_b32_e32 v16, 16, v16
	v_lshlrev_b32_e32 v10, 16, v14
	ds_bpermute_b32 v14, v2, v1 offset:12
	v_mul_f32_e32 v15, v15, v16
	s_waitcnt vmcnt(11)
	v_lshlrev_b32_e32 v17, 16, v17
	s_waitcnt vmcnt(9)
	v_lshlrev_b32_e32 v16, 16, v19
	v_lshlrev_b32_e32 v13, 16, v13
	s_waitcnt vmcnt(6)
	s_delay_alu instid0(VALU_DEP_1)
	v_dual_mul_f32 v10, v13, v10 :: v_dual_lshlrev_b32 v11, 16, v11
	ds_bpermute_b32 v13, v2, v1 offset:16
	s_waitcnt lgkmcnt(4)
	v_fmac_f32_e32 v93, v10, v5
	ds_bpermute_b32 v5, v2, v1 offset:20
	s_waitcnt lgkmcnt(4)
	v_fmac_f32_e32 v93, v15, v6
	v_lshlrev_b32_e32 v18, 16, v18
	v_lshlrev_b32_e32 v10, 16, v20
	ds_bpermute_b32 v6, v2, v1 offset:24
	v_lshlrev_b32_e32 v15, 16, v21
	s_waitcnt vmcnt(5)
	v_dual_mul_f32 v17, v17, v18 :: v_dual_lshlrev_b32 v12, 16, v12
	v_mul_f32_e32 v10, v16, v10
	ds_bpermute_b32 v1, v2, v1 offset:28
	s_waitcnt vmcnt(2)
	v_dual_mul_f32 v11, v15, v11 :: v_dual_lshlrev_b32 v8, 16, v8
	s_waitcnt lgkmcnt(5)
	v_fmac_f32_e32 v93, v17, v9
	v_lshlrev_b32_e32 v9, 16, v22
	v_lshlrev_b32_e32 v7, 16, v7
	s_waitcnt vmcnt(1)
	v_lshlrev_b32_e32 v3, 16, v3
	s_waitcnt vmcnt(0) lgkmcnt(4)
	v_dual_fmac_f32 v93, v10, v14 :: v_dual_lshlrev_b32 v4, 16, v4
	v_mul_f32_e32 v9, v12, v9
	v_mul_f32_e32 v7, v7, v8
	s_delay_alu instid0(VALU_DEP_3) | instskip(SKIP_3) | instid1(VALU_DEP_1)
	v_mul_f32_e32 v3, v4, v3
	s_waitcnt lgkmcnt(3)
	v_fmac_f32_e32 v93, v11, v13
	s_waitcnt lgkmcnt(2)
	v_fmac_f32_e32 v93, v9, v5
	s_waitcnt lgkmcnt(1)
	s_delay_alu instid0(VALU_DEP_1) | instskip(SKIP_1) | instid1(VALU_DEP_1)
	v_fmac_f32_e32 v93, v7, v6
	s_waitcnt lgkmcnt(0)
	v_fmac_f32_e32 v93, v3, v1
	s_delay_alu instid0(VALU_DEP_1)
	v_mov_b32_e32 v3, v93
.LBB201_81:                             ;   in Loop: Header=BB201_53 Depth=1
	v_add_co_u32 v59, vcc_lo, v59, s15
	v_add_co_ci_u32_e32 v60, vcc_lo, 0, v60, vcc_lo
	v_add_co_u32 v25, vcc_lo, v25, s20
	v_add_co_ci_u32_e32 v26, vcc_lo, s21, v26, vcc_lo
	;; [unrolled: 2-line block ×28, first 2 shown]
	v_add_co_u32 v87, vcc_lo, v87, s20
	s_add_u32 s28, s28, s15
	v_add_co_ci_u32_e32 v88, vcc_lo, s21, v88, vcc_lo
	s_addc_u32 s29, s29, 0
	v_add_co_u32 v89, vcc_lo, v89, s20
	v_add_co_ci_u32_e32 v90, vcc_lo, s21, v90, vcc_lo
	v_cmp_ge_i64_e64 s3, s[28:29], s[16:17]
	v_add_co_u32 v91, vcc_lo, v91, s20
	v_add_co_ci_u32_e32 v92, vcc_lo, s21, v92, vcc_lo
	s_add_u32 s22, s22, s15
	s_addc_u32 s23, s23, 0
	s_delay_alu instid0(VALU_DEP_3)
	s_and_b32 vcc_lo, exec_lo, s3
	s_cbranch_vccnz .LBB201_83
; %bb.82:                               ;   in Loop: Header=BB201_53 Depth=1
	v_mov_b32_e32 v93, v3
	s_branch .LBB201_53
.LBB201_83:
	s_mov_b32 s15, 0
	s_delay_alu instid0(SALU_CYCLE_1) | instskip(NEXT) | instid1(SALU_CYCLE_1)
	s_lshl_b64 s[4:5], s[14:15], 5
	v_dual_mov_b32 v2, s5 :: v_dual_and_b32 v1, 0x3ff, v0
	s_waitcnt lgkmcnt(0)
	s_cmp_lg_u64 s[24:25], 0
	s_cselect_b32 s3, -1, 0
	s_delay_alu instid0(VALU_DEP_1) | instskip(NEXT) | instid1(VALU_DEP_1)
	v_or_b32_e32 v1, s4, v1
	v_cmp_gt_i64_e32 vcc_lo, s[18:19], v[1:2]
	s_and_b32 s3, vcc_lo, s3
	s_delay_alu instid0(SALU_CYCLE_1)
	s_and_saveexec_b32 s4, s3
	s_cbranch_execz .LBB201_85
; %bb.84:
	s_load_b32 s0, s[0:1], 0x4c
	v_bfe_u32 v4, v0, 10, 10
	v_mov_b32_e32 v5, 0
	s_waitcnt lgkmcnt(0)
	s_lshr_b32 s0, s0, 16
	s_delay_alu instid0(VALU_DEP_1) | instid1(SALU_CYCLE_1)
	v_mad_u64_u32 v[6:7], null, s0, s2, v[4:5]
	s_delay_alu instid0(VALU_DEP_1) | instskip(NEXT) | instid1(VALU_DEP_2)
	v_mul_lo_u32 v0, v7, s18
	v_mul_lo_u32 v7, v6, s19
	v_mad_u64_u32 v[4:5], null, v6, s18, 0
	v_bfe_u32 v6, v3, 16, 1
	s_delay_alu instid0(VALU_DEP_1) | instskip(NEXT) | instid1(VALU_DEP_3)
	v_add3_u32 v6, v3, v6, 0x7fff
	v_add3_u32 v5, v5, v7, v0
	v_lshlrev_b64 v[0:1], 1, v[1:2]
	s_delay_alu instid0(VALU_DEP_3) | instskip(NEXT) | instid1(VALU_DEP_3)
	v_lshrrev_b32_e32 v2, 16, v6
	v_lshlrev_b64 v[4:5], 1, v[4:5]
	s_delay_alu instid0(VALU_DEP_1) | instskip(NEXT) | instid1(VALU_DEP_2)
	v_add_co_u32 v4, vcc_lo, s24, v4
	v_add_co_ci_u32_e32 v5, vcc_lo, s25, v5, vcc_lo
	v_cmp_o_f32_e32 vcc_lo, v3, v3
	v_cndmask_b32_e32 v2, 0x7fc0, v2, vcc_lo
	s_delay_alu instid0(VALU_DEP_4) | instskip(NEXT) | instid1(VALU_DEP_4)
	v_add_co_u32 v0, vcc_lo, v4, v0
	v_add_co_ci_u32_e32 v1, vcc_lo, v5, v1, vcc_lo
	global_store_b16 v[0:1], v2, off
.LBB201_85:
	s_nop 0
	s_sendmsg sendmsg(MSG_DEALLOC_VGPRS)
	s_endpgm
	.section	.rodata,"a",@progbits
	.p2align	6, 0x0
	.amdhsa_kernel _ZN2at6native12_GLOBAL__N_135GammaBetaBackwardCUDAKernelTemplateIN3c108BFloat16EfLj32ELj1ELj8ELb1ELb0ELb1EEEvllPKT_S7_PKT0_SA_PS5_SB_
		.amdhsa_group_segment_fixed_size 0
		.amdhsa_private_segment_fixed_size 0
		.amdhsa_kernarg_size 320
		.amdhsa_user_sgpr_count 14
		.amdhsa_user_sgpr_dispatch_ptr 0
		.amdhsa_user_sgpr_queue_ptr 0
		.amdhsa_user_sgpr_kernarg_segment_ptr 1
		.amdhsa_user_sgpr_dispatch_id 0
		.amdhsa_user_sgpr_private_segment_size 0
		.amdhsa_wavefront_size32 1
		.amdhsa_uses_dynamic_stack 0
		.amdhsa_enable_private_segment 0
		.amdhsa_system_sgpr_workgroup_id_x 1
		.amdhsa_system_sgpr_workgroup_id_y 1
		.amdhsa_system_sgpr_workgroup_id_z 0
		.amdhsa_system_sgpr_workgroup_info 0
		.amdhsa_system_vgpr_workitem_id 1
		.amdhsa_next_free_vgpr 95
		.amdhsa_next_free_sgpr 37
		.amdhsa_reserve_vcc 1
		.amdhsa_float_round_mode_32 0
		.amdhsa_float_round_mode_16_64 0
		.amdhsa_float_denorm_mode_32 3
		.amdhsa_float_denorm_mode_16_64 3
		.amdhsa_dx10_clamp 1
		.amdhsa_ieee_mode 1
		.amdhsa_fp16_overflow 0
		.amdhsa_workgroup_processor_mode 1
		.amdhsa_memory_ordered 1
		.amdhsa_forward_progress 0
		.amdhsa_shared_vgpr_count 0
		.amdhsa_exception_fp_ieee_invalid_op 0
		.amdhsa_exception_fp_denorm_src 0
		.amdhsa_exception_fp_ieee_div_zero 0
		.amdhsa_exception_fp_ieee_overflow 0
		.amdhsa_exception_fp_ieee_underflow 0
		.amdhsa_exception_fp_ieee_inexact 0
		.amdhsa_exception_int_div_zero 0
	.end_amdhsa_kernel
	.section	.text._ZN2at6native12_GLOBAL__N_135GammaBetaBackwardCUDAKernelTemplateIN3c108BFloat16EfLj32ELj1ELj8ELb1ELb0ELb1EEEvllPKT_S7_PKT0_SA_PS5_SB_,"axG",@progbits,_ZN2at6native12_GLOBAL__N_135GammaBetaBackwardCUDAKernelTemplateIN3c108BFloat16EfLj32ELj1ELj8ELb1ELb0ELb1EEEvllPKT_S7_PKT0_SA_PS5_SB_,comdat
.Lfunc_end201:
	.size	_ZN2at6native12_GLOBAL__N_135GammaBetaBackwardCUDAKernelTemplateIN3c108BFloat16EfLj32ELj1ELj8ELb1ELb0ELb1EEEvllPKT_S7_PKT0_SA_PS5_SB_, .Lfunc_end201-_ZN2at6native12_GLOBAL__N_135GammaBetaBackwardCUDAKernelTemplateIN3c108BFloat16EfLj32ELj1ELj8ELb1ELb0ELb1EEEvllPKT_S7_PKT0_SA_PS5_SB_
                                        ; -- End function
	.section	.AMDGPU.csdata,"",@progbits
; Kernel info:
; codeLenInByte = 7420
; NumSgprs: 39
; NumVgprs: 95
; ScratchSize: 0
; MemoryBound: 0
; FloatMode: 240
; IeeeMode: 1
; LDSByteSize: 0 bytes/workgroup (compile time only)
; SGPRBlocks: 4
; VGPRBlocks: 11
; NumSGPRsForWavesPerEU: 39
; NumVGPRsForWavesPerEU: 95
; Occupancy: 16
; WaveLimiterHint : 0
; COMPUTE_PGM_RSRC2:SCRATCH_EN: 0
; COMPUTE_PGM_RSRC2:USER_SGPR: 14
; COMPUTE_PGM_RSRC2:TRAP_HANDLER: 0
; COMPUTE_PGM_RSRC2:TGID_X_EN: 1
; COMPUTE_PGM_RSRC2:TGID_Y_EN: 1
; COMPUTE_PGM_RSRC2:TGID_Z_EN: 0
; COMPUTE_PGM_RSRC2:TIDIG_COMP_CNT: 1
	.section	.text._ZN2at6native12_GLOBAL__N_135GammaBetaBackwardCUDAKernelTemplateIN3c108BFloat16EfLj32ELj8ELj64ELb0ELb1ELb1EEEvllPKT_S7_PKT0_SA_PS5_SB_,"axG",@progbits,_ZN2at6native12_GLOBAL__N_135GammaBetaBackwardCUDAKernelTemplateIN3c108BFloat16EfLj32ELj8ELj64ELb0ELb1ELb1EEEvllPKT_S7_PKT0_SA_PS5_SB_,comdat
	.globl	_ZN2at6native12_GLOBAL__N_135GammaBetaBackwardCUDAKernelTemplateIN3c108BFloat16EfLj32ELj8ELj64ELb0ELb1ELb1EEEvllPKT_S7_PKT0_SA_PS5_SB_ ; -- Begin function _ZN2at6native12_GLOBAL__N_135GammaBetaBackwardCUDAKernelTemplateIN3c108BFloat16EfLj32ELj8ELj64ELb0ELb1ELb1EEEvllPKT_S7_PKT0_SA_PS5_SB_
	.p2align	8
	.type	_ZN2at6native12_GLOBAL__N_135GammaBetaBackwardCUDAKernelTemplateIN3c108BFloat16EfLj32ELj8ELj64ELb0ELb1ELb1EEEvllPKT_S7_PKT0_SA_PS5_SB_,@function
_ZN2at6native12_GLOBAL__N_135GammaBetaBackwardCUDAKernelTemplateIN3c108BFloat16EfLj32ELj8ELj64ELb0ELb1ELb1EEEvllPKT_S7_PKT0_SA_PS5_SB_: ; @_ZN2at6native12_GLOBAL__N_135GammaBetaBackwardCUDAKernelTemplateIN3c108BFloat16EfLj32ELj8ELj64ELb0ELb1ELb1EEEvllPKT_S7_PKT0_SA_PS5_SB_
; %bb.0:
	s_load_b128 s[4:7], s[0:1], 0x0
	s_mov_b32 s13, 0
	s_lshl_b32 s12, s15, 6
	v_bfe_u32 v7, v0, 10, 10
	s_waitcnt lgkmcnt(0)
	v_cmp_lt_i64_e64 s2, s[12:13], s[4:5]
	s_delay_alu instid0(VALU_DEP_1)
	s_and_b32 vcc_lo, exec_lo, s2
	s_cbranch_vccnz .LBB202_2
; %bb.1:
	v_bfe_u32 v1, v0, 10, 10
	s_mov_b32 s8, 0
	s_mov_b32 s9, s13
	s_branch .LBB202_3
.LBB202_2:
	s_mov_b32 s9, -1
                                        ; implicit-def: $sgpr8
                                        ; implicit-def: $vgpr1
.LBB202_3:
	s_load_b64 s[2:3], s[0:1], 0x30
	v_and_b32_e32 v6, 0x3ff, v0
	v_mov_b32_e32 v0, s8
	s_and_not1_b32 vcc_lo, exec_lo, s9
	s_cbranch_vccnz .LBB202_11
; %bb.4:
	s_clause 0x3
	s_load_b32 s15, s[0:1], 0x4c
	s_load_b32 s16, s[0:1], 0x44
	s_load_b128 s[8:11], s[0:1], 0x10
	s_load_b64 s[18:19], s[0:1], 0x28
	v_dual_mov_b32 v9, 4 :: v_dual_lshlrev_b32 v2, 3, v7
	v_dual_mov_b32 v8, 8 :: v_dual_mov_b32 v1, 0
	v_lshl_add_u32 v0, s14, 5, v6
	s_delay_alu instid0(VALU_DEP_3) | instskip(NEXT) | instid1(VALU_DEP_1)
	v_add_co_u32 v2, s1, v2, s12
	v_add_co_ci_u32_e64 v3, null, 0, 0, s1
	s_delay_alu instid0(VALU_DEP_3) | instskip(NEXT) | instid1(VALU_DEP_3)
	v_lshlrev_b64 v[15:16], 1, v[0:1]
	v_mul_lo_u32 v17, s7, v2
	v_dual_mov_b32 v10, 12 :: v_dual_mov_b32 v11, 16
	s_delay_alu instid0(VALU_DEP_4)
	v_mul_lo_u32 v18, s6, v3
	v_dual_mov_b32 v13, 24 :: v_dual_mov_b32 v14, 28
	s_waitcnt lgkmcnt(0)
	s_and_b32 s0, s15, 0xffff
	s_lshl_b32 s16, s16, 6
	v_mad_u32_u24 v4, v7, s0, v6
	v_mov_b32_e32 v12, 20
	s_mul_i32 s1, s7, s16
	s_mul_hi_u32 s15, s6, s16
	s_delay_alu instid0(VALU_DEP_2) | instskip(SKIP_3) | instid1(VALU_DEP_2)
	v_dual_mov_b32 v0, 0 :: v_dual_and_b32 v21, 31, v4
	v_mad_u64_u32 v[4:5], null, s6, v2, 0
	s_mov_b32 s17, 0
	s_add_i32 s21, s15, s1
	v_add_co_u32 v2, vcc_lo, v2, v21
	v_add_co_ci_u32_e32 v3, vcc_lo, 0, v3, vcc_lo
	s_delay_alu instid0(VALU_DEP_3) | instskip(SKIP_2) | instid1(VALU_DEP_3)
	v_add3_u32 v5, v5, v18, v17
	v_cmp_gt_u32_e64 s0, 8, v21
	s_mul_i32 s20, s6, s16
	v_lshlrev_b64 v[17:18], 2, v[2:3]
	s_lshl_b64 s[20:21], s[20:21], 1
	v_lshlrev_b64 v[19:20], 1, v[4:5]
	s_lshl_b64 s[6:7], s[6:7], 1
	s_delay_alu instid0(VALU_DEP_2) | instskip(NEXT) | instid1(VALU_DEP_3)
	v_add_co_u32 v4, vcc_lo, s18, v17
	v_add_co_ci_u32_e32 v5, vcc_lo, s19, v18, vcc_lo
	s_delay_alu instid0(VALU_DEP_3) | instskip(NEXT) | instid1(VALU_DEP_4)
	v_add_co_u32 v15, vcc_lo, v19, v15
	v_add_co_ci_u32_e32 v16, vcc_lo, v20, v16, vcc_lo
	s_lshl_b64 s[18:19], s[16:17], 2
	s_branch .LBB202_7
.LBB202_5:                              ;   in Loop: Header=BB202_7 Depth=1
	s_or_b32 exec_lo, exec_lo, s15
.LBB202_6:                              ;   in Loop: Header=BB202_7 Depth=1
	s_delay_alu instid0(SALU_CYCLE_1)
	s_or_b32 exec_lo, exec_lo, s1
	v_add_co_u32 v18, vcc_lo, s8, v15
	v_add_co_ci_u32_e32 v19, vcc_lo, s9, v16, vcc_lo
	v_add_co_u32 v20, vcc_lo, s10, v15
	v_add_co_ci_u32_e32 v21, vcc_lo, s11, v16, vcc_lo
	global_load_u16 v28, v[18:19], off
	v_add_co_u32 v18, vcc_lo, v18, s6
	v_add_co_ci_u32_e32 v19, vcc_lo, s7, v19, vcc_lo
	v_add_co_u32 v22, vcc_lo, v20, s6
	v_add_co_ci_u32_e32 v23, vcc_lo, s7, v21, vcc_lo
	s_delay_alu instid0(VALU_DEP_4) | instskip(NEXT) | instid1(VALU_DEP_4)
	v_add_co_u32 v24, vcc_lo, v18, s6
	v_add_co_ci_u32_e32 v25, vcc_lo, s7, v19, vcc_lo
	s_delay_alu instid0(VALU_DEP_4) | instskip(NEXT) | instid1(VALU_DEP_4)
	v_add_co_u32 v26, vcc_lo, v22, s6
	v_add_co_ci_u32_e32 v27, vcc_lo, s7, v23, vcc_lo
	global_load_u16 v29, v[20:21], off
	global_load_u16 v30, v[18:19], off
	;; [unrolled: 1-line block ×5, first 2 shown]
	v_add_co_u32 v18, vcc_lo, v24, s6
	v_add_co_ci_u32_e32 v19, vcc_lo, s7, v25, vcc_lo
	v_add_co_u32 v20, vcc_lo, v26, s6
	v_add_co_ci_u32_e32 v21, vcc_lo, s7, v27, vcc_lo
	global_load_u16 v34, v[18:19], off
	v_add_co_u32 v18, vcc_lo, v18, s6
	v_add_co_ci_u32_e32 v19, vcc_lo, s7, v19, vcc_lo
	v_add_co_u32 v22, vcc_lo, v20, s6
	v_add_co_ci_u32_e32 v23, vcc_lo, s7, v21, vcc_lo
	s_delay_alu instid0(VALU_DEP_4) | instskip(NEXT) | instid1(VALU_DEP_4)
	v_add_co_u32 v24, vcc_lo, v18, s6
	v_add_co_ci_u32_e32 v25, vcc_lo, s7, v19, vcc_lo
	s_delay_alu instid0(VALU_DEP_4) | instskip(NEXT) | instid1(VALU_DEP_4)
	v_add_co_u32 v26, vcc_lo, v22, s6
	v_add_co_ci_u32_e32 v27, vcc_lo, s7, v23, vcc_lo
	global_load_u16 v35, v[20:21], off
	global_load_u16 v36, v[18:19], off
	;; [unrolled: 1-line block ×5, first 2 shown]
	v_add_co_u32 v18, vcc_lo, v26, s6
	v_add_co_ci_u32_e32 v19, vcc_lo, s7, v27, vcc_lo
	v_add_co_u32 v20, vcc_lo, v24, s6
	v_add_co_ci_u32_e32 v21, vcc_lo, s7, v25, vcc_lo
	global_load_u16 v24, v[18:19], off
	v_add_co_u32 v18, vcc_lo, v18, s6
	v_add_co_ci_u32_e32 v19, vcc_lo, s7, v19, vcc_lo
	v_add_co_u32 v22, vcc_lo, v20, s6
	v_add_co_ci_u32_e32 v23, vcc_lo, s7, v21, vcc_lo
	global_load_u16 v20, v[20:21], off
	global_load_u16 v18, v[18:19], off
	;; [unrolled: 1-line block ×3, first 2 shown]
	s_waitcnt vmcnt(16)
	ds_bpermute_b32 v21, v1, v17
	ds_bpermute_b32 v22, v9, v17
	;; [unrolled: 1-line block ×3, first 2 shown]
	v_add_co_u32 v4, vcc_lo, v4, s18
	s_add_u32 s12, s12, s16
	v_add_co_ci_u32_e32 v5, vcc_lo, s19, v5, vcc_lo
	s_addc_u32 s13, s13, 0
	v_add_co_u32 v2, vcc_lo, v2, s16
	v_add_co_ci_u32_e32 v3, vcc_lo, 0, v3, vcc_lo
	v_cmp_lt_i64_e64 s1, s[12:13], s[4:5]
	v_add_co_u32 v15, vcc_lo, v15, s20
	v_add_co_ci_u32_e32 v16, vcc_lo, s21, v16, vcc_lo
	s_delay_alu instid0(VALU_DEP_3)
	s_and_b32 vcc_lo, exec_lo, s1
	s_waitcnt vmcnt(15)
	v_lshlrev_b32_e32 v25, 16, v28
	ds_bpermute_b32 v28, v10, v17
	s_waitcnt vmcnt(14)
	v_lshlrev_b32_e32 v23, 16, v29
	s_waitcnt vmcnt(12)
	v_lshlrev_b32_e32 v27, 16, v31
	s_delay_alu instid0(VALU_DEP_2) | instskip(SKIP_1) | instid1(VALU_DEP_1)
	v_mul_f32_e32 v23, v25, v23
	s_waitcnt lgkmcnt(3)
	v_dual_fmac_f32 v0, v23, v21 :: v_dual_lshlrev_b32 v25, 16, v30
	s_delay_alu instid0(VALU_DEP_1)
	v_mul_f32_e32 v21, v25, v27
	ds_bpermute_b32 v25, v11, v17
	s_waitcnt vmcnt(11)
	v_lshlrev_b32_e32 v23, 16, v32
	ds_bpermute_b32 v27, v12, v17
	s_waitcnt vmcnt(10) lgkmcnt(4)
	v_dual_fmac_f32 v0, v21, v22 :: v_dual_lshlrev_b32 v29, 16, v33
	s_waitcnt vmcnt(9)
	s_delay_alu instid0(VALU_DEP_1)
	v_dual_mul_f32 v21, v23, v29 :: v_dual_lshlrev_b32 v22, 16, v34
	ds_bpermute_b32 v23, v13, v17
	ds_bpermute_b32 v17, v14, v17
	s_waitcnt lgkmcnt(5)
	v_fmac_f32_e32 v0, v21, v26
	s_waitcnt vmcnt(8)
	v_lshlrev_b32_e32 v30, 16, v35
	s_waitcnt vmcnt(4)
	s_delay_alu instid0(VALU_DEP_1) | instskip(SKIP_2) | instid1(VALU_DEP_2)
	v_dual_mul_f32 v21, v22, v30 :: v_dual_lshlrev_b32 v26, 16, v39
	v_lshlrev_b32_e32 v22, 16, v36
	s_waitcnt lgkmcnt(4)
	v_fmac_f32_e32 v0, v21, v28
	s_waitcnt vmcnt(2)
	v_lshlrev_b32_e32 v20, 16, v20
	v_lshlrev_b32_e32 v29, 16, v37
	;; [unrolled: 1-line block ×3, first 2 shown]
	s_waitcnt vmcnt(1)
	s_delay_alu instid0(VALU_DEP_2) | instskip(SKIP_2) | instid1(VALU_DEP_2)
	v_dual_mul_f32 v21, v22, v29 :: v_dual_lshlrev_b32 v18, 16, v18
	v_lshlrev_b32_e32 v22, 16, v24
	s_waitcnt lgkmcnt(3)
	v_dual_fmac_f32 v0, v21, v25 :: v_dual_mul_f32 v21, v30, v26
	s_delay_alu instid0(VALU_DEP_2) | instskip(SKIP_1) | instid1(VALU_DEP_2)
	v_mul_f32_e32 v20, v20, v22
	s_waitcnt lgkmcnt(2)
	v_fmac_f32_e32 v0, v21, v27
	s_waitcnt lgkmcnt(1)
	s_delay_alu instid0(VALU_DEP_1) | instskip(SKIP_2) | instid1(VALU_DEP_1)
	v_fmac_f32_e32 v0, v20, v23
	s_waitcnt vmcnt(0)
	v_lshlrev_b32_e32 v19, 16, v19
	v_mul_f32_e32 v18, v19, v18
	s_waitcnt lgkmcnt(0)
	s_delay_alu instid0(VALU_DEP_1)
	v_fmac_f32_e32 v0, v18, v17
	s_cbranch_vccz .LBB202_10
.LBB202_7:                              ; =>This Inner Loop Header: Depth=1
	v_mov_b32_e32 v17, 0
	s_and_saveexec_b32 s1, s0
	s_cbranch_execz .LBB202_6
; %bb.8:                                ;   in Loop: Header=BB202_7 Depth=1
	v_mov_b32_e32 v17, 0
	s_mov_b32 s15, exec_lo
	v_cmpx_gt_i64_e64 s[4:5], v[2:3]
	s_cbranch_execz .LBB202_5
; %bb.9:                                ;   in Loop: Header=BB202_7 Depth=1
	global_load_b32 v17, v[4:5], off
	s_branch .LBB202_5
.LBB202_10:
	v_mov_b32_e32 v1, v7
.LBB202_11:
	s_delay_alu instid0(VALU_DEP_2) | instskip(NEXT) | instid1(VALU_DEP_2)
	v_lshrrev_b32_e32 v3, 5, v6
	v_mad_u32_u24 v2, v1, 33, v6
	s_mov_b32 s15, 0
	s_mov_b32 s0, exec_lo
	s_delay_alu instid0(VALU_DEP_2) | instskip(NEXT) | instid1(VALU_DEP_2)
	v_dual_mov_b32 v4, 0 :: v_dual_add_nc_u32 v7, v3, v1
	v_lshl_add_u32 v2, v2, 2, 0
	ds_store_b32 v2, v0
	ds_store_b32 v2, v4 offset:1056
	s_waitcnt lgkmcnt(0)
	s_barrier
	buffer_gl0_inv
	v_cmpx_gt_u32_e32 32, v7
	s_cbranch_execz .LBB202_18
; %bb.12:
	v_mbcnt_lo_u32_b32 v0, -1, 0
	v_cmp_eq_u32_e64 s0, 0, v6
	s_cmp_lg_u64 s[2:3], 0
	v_and_b32_e32 v2, 31, v6
	s_cselect_b32 s1, -1, 0
	v_xor_b32_e32 v4, 4, v0
	s_and_b32 s4, s0, s1
	v_xor_b32_e32 v5, 2, v0
	v_xor_b32_e32 v6, 1, v0
	v_cmp_gt_u32_e32 vcc_lo, 8, v2
	v_cmp_gt_i32_e64 s0, 32, v4
	v_mul_u32_u24_e32 v8, 0x84, v2
	s_delay_alu instid0(VALU_DEP_2) | instskip(SKIP_1) | instid1(VALU_DEP_2)
	v_cndmask_b32_e64 v4, v0, v4, s0
	v_cmp_gt_i32_e64 s0, 32, v5
	v_lshlrev_b32_e32 v2, 2, v4
	s_delay_alu instid0(VALU_DEP_2) | instskip(SKIP_1) | instid1(VALU_DEP_1)
	v_cndmask_b32_e64 v5, v0, v5, s0
	v_cmp_gt_i32_e64 s0, 32, v6
	v_cndmask_b32_e64 v4, v0, v6, s0
	v_add_co_u32 v0, s0, v3, v1
	s_delay_alu instid0(VALU_DEP_1) | instskip(SKIP_3) | instid1(VALU_DEP_2)
	v_add_co_ci_u32_e64 v1, null, 0, 0, s0
	s_lshl_b64 s[0:1], s[14:15], 6
	v_lshlrev_b32_e32 v6, 2, v7
	s_add_u32 s0, s2, s0
	v_lshlrev_b64 v[0:1], 1, v[0:1]
	s_addc_u32 s1, s3, s1
	v_lshlrev_b32_e32 v3, 2, v5
	v_lshlrev_b32_e32 v4, 2, v4
	v_add3_u32 v5, v8, v6, 0
	v_add_nc_u32_e32 v6, -8, v7
	v_add_co_u32 v0, s0, s0, v0
	s_delay_alu instid0(VALU_DEP_1)
	v_add_co_ci_u32_e64 v1, s0, s1, v1, s0
                                        ; implicit-def: $vgpr7
	s_set_inst_prefetch_distance 0x1
	s_branch .LBB202_14
	.p2align	6
.LBB202_13:                             ;   in Loop: Header=BB202_14 Depth=1
	s_or_b32 exec_lo, exec_lo, s1
	v_add_nc_u32_e32 v6, 8, v6
	v_add_co_u32 v0, s1, v0, 16
	v_add_nc_u32_e32 v5, 32, v5
	v_add_co_ci_u32_e64 v1, s1, 0, v1, s1
	s_delay_alu instid0(VALU_DEP_4) | instskip(NEXT) | instid1(VALU_DEP_1)
	v_cmp_lt_u32_e64 s0, 23, v6
	s_or_b32 s15, s0, s15
	s_delay_alu instid0(SALU_CYCLE_1)
	s_and_not1_b32 exec_lo, exec_lo, s15
	s_cbranch_execz .LBB202_18
.LBB202_14:                             ; =>This Inner Loop Header: Depth=1
	s_and_saveexec_b32 s0, vcc_lo
	s_cbranch_execz .LBB202_16
; %bb.15:                               ;   in Loop: Header=BB202_14 Depth=1
	ds_load_b32 v7, v5
.LBB202_16:                             ;   in Loop: Header=BB202_14 Depth=1
	s_or_b32 exec_lo, exec_lo, s0
	s_waitcnt lgkmcnt(0)
	ds_bpermute_b32 v8, v2, v7
	s_waitcnt lgkmcnt(0)
	v_add_f32_e32 v7, v7, v8
	ds_bpermute_b32 v8, v3, v7
	s_waitcnt lgkmcnt(0)
	v_add_f32_e32 v7, v7, v8
	;; [unrolled: 3-line block ×3, first 2 shown]
	s_and_saveexec_b32 s1, s4
	s_cbranch_execz .LBB202_13
; %bb.17:                               ;   in Loop: Header=BB202_14 Depth=1
	s_delay_alu instid0(VALU_DEP_1) | instskip(SKIP_1) | instid1(VALU_DEP_2)
	v_bfe_u32 v8, v7, 16, 1
	v_cmp_o_f32_e64 s0, v7, v7
	v_add3_u32 v8, v7, v8, 0x7fff
	s_delay_alu instid0(VALU_DEP_1) | instskip(NEXT) | instid1(VALU_DEP_1)
	v_lshrrev_b32_e32 v8, 16, v8
	v_cndmask_b32_e64 v8, 0x7fc0, v8, s0
	global_store_b16 v[0:1], v8, off
	s_branch .LBB202_13
.LBB202_18:
	s_set_inst_prefetch_distance 0x2
	s_nop 0
	s_sendmsg sendmsg(MSG_DEALLOC_VGPRS)
	s_endpgm
	.section	.rodata,"a",@progbits
	.p2align	6, 0x0
	.amdhsa_kernel _ZN2at6native12_GLOBAL__N_135GammaBetaBackwardCUDAKernelTemplateIN3c108BFloat16EfLj32ELj8ELj64ELb0ELb1ELb1EEEvllPKT_S7_PKT0_SA_PS5_SB_
		.amdhsa_group_segment_fixed_size 0
		.amdhsa_private_segment_fixed_size 0
		.amdhsa_kernarg_size 320
		.amdhsa_user_sgpr_count 14
		.amdhsa_user_sgpr_dispatch_ptr 0
		.amdhsa_user_sgpr_queue_ptr 0
		.amdhsa_user_sgpr_kernarg_segment_ptr 1
		.amdhsa_user_sgpr_dispatch_id 0
		.amdhsa_user_sgpr_private_segment_size 0
		.amdhsa_wavefront_size32 1
		.amdhsa_uses_dynamic_stack 0
		.amdhsa_enable_private_segment 0
		.amdhsa_system_sgpr_workgroup_id_x 1
		.amdhsa_system_sgpr_workgroup_id_y 1
		.amdhsa_system_sgpr_workgroup_id_z 0
		.amdhsa_system_sgpr_workgroup_info 0
		.amdhsa_system_vgpr_workitem_id 1
		.amdhsa_next_free_vgpr 40
		.amdhsa_next_free_sgpr 22
		.amdhsa_reserve_vcc 1
		.amdhsa_float_round_mode_32 0
		.amdhsa_float_round_mode_16_64 0
		.amdhsa_float_denorm_mode_32 3
		.amdhsa_float_denorm_mode_16_64 3
		.amdhsa_dx10_clamp 1
		.amdhsa_ieee_mode 1
		.amdhsa_fp16_overflow 0
		.amdhsa_workgroup_processor_mode 1
		.amdhsa_memory_ordered 1
		.amdhsa_forward_progress 0
		.amdhsa_shared_vgpr_count 0
		.amdhsa_exception_fp_ieee_invalid_op 0
		.amdhsa_exception_fp_denorm_src 0
		.amdhsa_exception_fp_ieee_div_zero 0
		.amdhsa_exception_fp_ieee_overflow 0
		.amdhsa_exception_fp_ieee_underflow 0
		.amdhsa_exception_fp_ieee_inexact 0
		.amdhsa_exception_int_div_zero 0
	.end_amdhsa_kernel
	.section	.text._ZN2at6native12_GLOBAL__N_135GammaBetaBackwardCUDAKernelTemplateIN3c108BFloat16EfLj32ELj8ELj64ELb0ELb1ELb1EEEvllPKT_S7_PKT0_SA_PS5_SB_,"axG",@progbits,_ZN2at6native12_GLOBAL__N_135GammaBetaBackwardCUDAKernelTemplateIN3c108BFloat16EfLj32ELj8ELj64ELb0ELb1ELb1EEEvllPKT_S7_PKT0_SA_PS5_SB_,comdat
.Lfunc_end202:
	.size	_ZN2at6native12_GLOBAL__N_135GammaBetaBackwardCUDAKernelTemplateIN3c108BFloat16EfLj32ELj8ELj64ELb0ELb1ELb1EEEvllPKT_S7_PKT0_SA_PS5_SB_, .Lfunc_end202-_ZN2at6native12_GLOBAL__N_135GammaBetaBackwardCUDAKernelTemplateIN3c108BFloat16EfLj32ELj8ELj64ELb0ELb1ELb1EEEvllPKT_S7_PKT0_SA_PS5_SB_
                                        ; -- End function
	.section	.AMDGPU.csdata,"",@progbits
; Kernel info:
; codeLenInByte = 1660
; NumSgprs: 24
; NumVgprs: 40
; ScratchSize: 0
; MemoryBound: 0
; FloatMode: 240
; IeeeMode: 1
; LDSByteSize: 0 bytes/workgroup (compile time only)
; SGPRBlocks: 2
; VGPRBlocks: 4
; NumSGPRsForWavesPerEU: 24
; NumVGPRsForWavesPerEU: 40
; Occupancy: 16
; WaveLimiterHint : 0
; COMPUTE_PGM_RSRC2:SCRATCH_EN: 0
; COMPUTE_PGM_RSRC2:USER_SGPR: 14
; COMPUTE_PGM_RSRC2:TRAP_HANDLER: 0
; COMPUTE_PGM_RSRC2:TGID_X_EN: 1
; COMPUTE_PGM_RSRC2:TGID_Y_EN: 1
; COMPUTE_PGM_RSRC2:TGID_Z_EN: 0
; COMPUTE_PGM_RSRC2:TIDIG_COMP_CNT: 1
	.section	.text._ZN2at6native12_GLOBAL__N_135GammaBetaBackwardCUDAKernelTemplateIN3c108BFloat16EfLj32ELj8ELj64ELb0ELb0ELb1EEEvllPKT_S7_PKT0_SA_PS5_SB_,"axG",@progbits,_ZN2at6native12_GLOBAL__N_135GammaBetaBackwardCUDAKernelTemplateIN3c108BFloat16EfLj32ELj8ELj64ELb0ELb0ELb1EEEvllPKT_S7_PKT0_SA_PS5_SB_,comdat
	.globl	_ZN2at6native12_GLOBAL__N_135GammaBetaBackwardCUDAKernelTemplateIN3c108BFloat16EfLj32ELj8ELj64ELb0ELb0ELb1EEEvllPKT_S7_PKT0_SA_PS5_SB_ ; -- Begin function _ZN2at6native12_GLOBAL__N_135GammaBetaBackwardCUDAKernelTemplateIN3c108BFloat16EfLj32ELj8ELj64ELb0ELb0ELb1EEEvllPKT_S7_PKT0_SA_PS5_SB_
	.p2align	8
	.type	_ZN2at6native12_GLOBAL__N_135GammaBetaBackwardCUDAKernelTemplateIN3c108BFloat16EfLj32ELj8ELj64ELb0ELb0ELb1EEEvllPKT_S7_PKT0_SA_PS5_SB_,@function
_ZN2at6native12_GLOBAL__N_135GammaBetaBackwardCUDAKernelTemplateIN3c108BFloat16EfLj32ELj8ELj64ELb0ELb0ELb1EEEvllPKT_S7_PKT0_SA_PS5_SB_: ; @_ZN2at6native12_GLOBAL__N_135GammaBetaBackwardCUDAKernelTemplateIN3c108BFloat16EfLj32ELj8ELj64ELb0ELb0ELb1EEEvllPKT_S7_PKT0_SA_PS5_SB_
; %bb.0:
	s_clause 0x1
	s_load_b256 s[4:11], s[0:1], 0x0
	s_load_b64 s[12:13], s[0:1], 0x28
	s_lshl_b32 s33, s14, 5
	s_mov_b32 s25, 0
	s_or_b32 s24, s33, 31
	s_waitcnt lgkmcnt(0)
	v_cmp_ge_i64_e64 s2, s[24:25], s[6:7]
	s_lshl_b32 s24, s15, 6
	s_delay_alu instid0(SALU_CYCLE_1) | instskip(NEXT) | instid1(VALU_DEP_2)
	v_cmp_lt_i64_e64 s15, s[24:25], s[4:5]
	s_and_b32 vcc_lo, exec_lo, s2
	s_delay_alu instid0(VALU_DEP_1) | instskip(NEXT) | instid1(VALU_DEP_1)
	v_cndmask_b32_e64 v1, 0, 1, s15
	v_cmp_ne_u32_e64 s2, 1, v1
	s_cbranch_vccz .LBB203_49
; %bb.1:
	v_mov_b32_e32 v1, 0
	s_delay_alu instid0(VALU_DEP_2)
	s_and_b32 vcc_lo, exec_lo, s2
	s_cbranch_vccnz .LBB203_50
; %bb.2:
	v_bfe_u32 v27, v0, 10, 10
	s_load_b32 s3, s[0:1], 0x44
	v_dual_mov_b32 v2, 0 :: v_dual_and_b32 v29, 0x3ff, v0
	s_add_u32 s26, s0, 64
	s_delay_alu instid0(VALU_DEP_2) | instskip(NEXT) | instid1(VALU_DEP_2)
	v_lshlrev_b32_e32 v28, 3, v27
	v_dual_mov_b32 v62, 0 :: v_dual_add_nc_u32 v1, s33, v29
	s_addc_u32 s27, s1, 0
	s_mov_b32 s16, 0
	s_delay_alu instid0(VALU_DEP_2) | instskip(NEXT) | instid1(VALU_DEP_1)
	v_add_co_u32 v9, s2, v28, s24
	v_add_co_ci_u32_e64 v10, null, 0, 0, s2
	v_cmp_gt_i64_e64 s2, s[6:7], v[1:2]
	s_delay_alu instid0(VALU_DEP_3) | instskip(NEXT) | instid1(VALU_DEP_3)
	v_add_co_u32 v5, vcc_lo, v9, 7
	v_add_co_ci_u32_e32 v3, vcc_lo, 0, v10, vcc_lo
	v_add_co_u32 v8, vcc_lo, v9, 6
	s_delay_alu instid0(VALU_DEP_3) | instskip(NEXT) | instid1(VALU_DEP_3)
	v_mul_lo_u32 v6, s7, v5
	v_mul_lo_u32 v7, s6, v3
	v_mad_u64_u32 v[3:4], null, s6, v5, 0
	v_add_co_ci_u32_e32 v5, vcc_lo, 0, v10, vcc_lo
	v_lshlrev_b64 v[25:26], 1, v[1:2]
	v_mul_lo_u32 v1, s7, v8
	s_waitcnt lgkmcnt(0)
	s_lshl_b32 s36, s3, 6
	s_mov_b64 s[34:35], s[24:25]
	s_delay_alu instid0(VALU_DEP_4) | instskip(SKIP_3) | instid1(VALU_DEP_3)
	v_add3_u32 v4, v4, v7, v6
	v_mul_lo_u32 v7, s6, v5
	v_mad_u64_u32 v[5:6], null, s6, v8, 0
	s_mul_i32 s3, s7, s36
	v_lshlrev_b64 v[3:4], 1, v[3:4]
	s_mul_hi_u32 s17, s6, s36
	s_mul_i32 s18, s6, s36
	s_add_i32 s19, s17, s3
	s_delay_alu instid0(VALU_DEP_2) | instskip(NEXT) | instid1(VALU_DEP_2)
	v_add3_u32 v6, v6, v7, v1
	v_add_co_u32 v30, vcc_lo, s8, v3
	v_add_co_ci_u32_e32 v31, vcc_lo, s9, v4, vcc_lo
	v_add_co_u32 v1, vcc_lo, v9, 5
	v_add_co_u32 v32, s3, s10, v3
	s_delay_alu instid0(VALU_DEP_1) | instskip(SKIP_4) | instid1(VALU_DEP_3)
	v_add_co_ci_u32_e64 v33, s3, s11, v4, s3
	v_lshlrev_b64 v[3:4], 1, v[5:6]
	v_add_co_ci_u32_e32 v5, vcc_lo, 0, v10, vcc_lo
	v_add_co_u32 v12, vcc_lo, v9, 4
	v_mul_lo_u32 v11, s7, v1
	v_mul_lo_u32 v13, s6, v5
	v_mad_u64_u32 v[5:6], null, s6, v1, 0
	v_add_co_ci_u32_e32 v7, vcc_lo, 0, v10, vcc_lo
	v_mul_lo_u32 v1, s7, v12
	v_add_co_u32 v34, vcc_lo, s8, v3
	s_delay_alu instid0(VALU_DEP_3)
	v_mul_lo_u32 v14, s6, v7
	v_mad_u64_u32 v[7:8], null, s6, v12, 0
	v_add3_u32 v6, v6, v13, v11
	v_add_co_ci_u32_e32 v35, vcc_lo, s9, v4, vcc_lo
	v_add_co_u32 v36, vcc_lo, s10, v3
	v_add_co_ci_u32_e32 v37, vcc_lo, s11, v4, vcc_lo
	s_delay_alu instid0(VALU_DEP_4) | instskip(SKIP_3) | instid1(VALU_DEP_4)
	v_lshlrev_b64 v[3:4], 1, v[5:6]
	v_add3_u32 v8, v8, v14, v1
	v_add_co_u32 v1, vcc_lo, v9, 3
	v_add_co_ci_u32_e32 v11, vcc_lo, 0, v10, vcc_lo
	v_add_co_u32 v38, vcc_lo, s8, v3
	s_delay_alu instid0(VALU_DEP_4)
	v_lshlrev_b64 v[5:6], 1, v[7:8]
	v_add_co_ci_u32_e32 v39, vcc_lo, s9, v4, vcc_lo
	v_mul_lo_u32 v12, s7, v1
	v_mul_lo_u32 v11, s6, v11
	v_mad_u64_u32 v[7:8], null, s6, v1, 0
	v_add_co_u32 v40, vcc_lo, s10, v3
	v_add_co_ci_u32_e32 v41, vcc_lo, s11, v4, vcc_lo
	v_add_co_u32 v42, vcc_lo, s8, v5
	v_add_co_ci_u32_e32 v43, vcc_lo, s9, v6, vcc_lo
	v_add_co_u32 v1, vcc_lo, v9, 2
	v_add3_u32 v8, v8, v11, v12
	v_add_co_ci_u32_e32 v11, vcc_lo, 0, v10, vcc_lo
	v_add_co_u32 v44, vcc_lo, s10, v5
	v_add_co_ci_u32_e32 v45, vcc_lo, s11, v6, vcc_lo
	v_mul_lo_u32 v12, s7, v1
	s_delay_alu instid0(VALU_DEP_4)
	v_mul_lo_u32 v11, s6, v11
	v_mad_u64_u32 v[5:6], null, s6, v1, 0
	v_lshlrev_b64 v[3:4], 1, v[7:8]
	v_mul_lo_u32 v1, s7, v9
	v_mul_lo_u32 v10, s6, v10
	v_mad_u64_u32 v[7:8], null, s6, v9, 0
	s_lshl_b64 s[28:29], s[18:19], 1
	s_delay_alu instid0(VALU_DEP_4)
	v_add_co_u32 v46, vcc_lo, s8, v3
	v_add3_u32 v6, v6, v11, v12
	v_add_co_ci_u32_e32 v47, vcc_lo, s9, v4, vcc_lo
	v_add_co_u32 v48, vcc_lo, s10, v3
	v_add3_u32 v8, v8, v10, v1
	v_add_co_ci_u32_e32 v49, vcc_lo, s11, v4, vcc_lo
	v_lshlrev_b64 v[3:4], 1, v[5:6]
	v_add_co_u32 v5, vcc_lo, v7, s6
	s_delay_alu instid0(VALU_DEP_4) | instskip(SKIP_1) | instid1(VALU_DEP_3)
	v_add_co_ci_u32_e32 v6, vcc_lo, s7, v8, vcc_lo
	s_add_u32 s30, s24, 63
	v_add_co_u32 v50, vcc_lo, s8, v3
	s_delay_alu instid0(VALU_DEP_2) | instskip(SKIP_3) | instid1(VALU_DEP_4)
	v_lshlrev_b64 v[5:6], 1, v[5:6]
	v_add_co_ci_u32_e32 v51, vcc_lo, s9, v4, vcc_lo
	v_add_co_u32 v52, vcc_lo, s10, v3
	v_add_co_ci_u32_e32 v53, vcc_lo, s11, v4, vcc_lo
	v_add_co_u32 v54, vcc_lo, s8, v5
	v_lshlrev_b64 v[3:4], 1, v[7:8]
	v_add_co_ci_u32_e32 v55, vcc_lo, s9, v6, vcc_lo
	v_add_co_u32 v56, vcc_lo, s10, v5
	v_add_co_ci_u32_e32 v57, vcc_lo, s11, v6, vcc_lo
	s_delay_alu instid0(VALU_DEP_4)
	v_add_co_u32 v58, vcc_lo, s8, v3
	v_add_co_ci_u32_e32 v59, vcc_lo, s9, v4, vcc_lo
	v_add_co_u32 v60, vcc_lo, s10, v3
	v_add_co_ci_u32_e32 v61, vcc_lo, s11, v4, vcc_lo
	s_addc_u32 s31, 0, 0
.LBB203_3:                              ; =>This Inner Loop Header: Depth=1
	s_delay_alu instid0(SALU_CYCLE_1) | instskip(SKIP_1) | instid1(VALU_DEP_1)
	v_cmp_ge_i64_e64 s3, s[30:31], s[4:5]
	v_add_co_u32 v63, s17, v28, s30
	v_add_co_ci_u32_e64 v64, null, 0, s31, s17
	s_delay_alu instid0(VALU_DEP_3)
	s_and_b32 vcc_lo, exec_lo, s3
	s_cbranch_vccz .LBB203_25
; %bb.4:                                ;   in Loop: Header=BB203_3 Depth=1
	s_load_b32 s3, s[26:27], 0xc
	v_mov_b32_e32 v65, 0
	s_waitcnt lgkmcnt(0)
	s_and_b32 s3, s3, 0xffff
	s_delay_alu instid0(SALU_CYCLE_1) | instskip(SKIP_1) | instid1(VALU_DEP_1)
	v_mad_u32_u24 v1, v27, s3, v29
	s_mov_b32 s3, exec_lo
	v_and_b32_e32 v1, 31, v1
	s_delay_alu instid0(VALU_DEP_1)
	v_cmpx_gt_u32_e32 8, v1
	s_cbranch_execz .LBB203_8
; %bb.5:                                ;   in Loop: Header=BB203_3 Depth=1
	v_add_co_u32 v1, vcc_lo, v63, v1
	v_add_co_ci_u32_e32 v4, vcc_lo, 0, v64, vcc_lo
	v_mov_b32_e32 v65, 0
	s_delay_alu instid0(VALU_DEP_3) | instskip(NEXT) | instid1(VALU_DEP_3)
	v_add_co_u32 v3, vcc_lo, 0xffffffc1, v1
	v_add_co_ci_u32_e32 v4, vcc_lo, -1, v4, vcc_lo
	s_mov_b32 s17, exec_lo
	s_delay_alu instid0(VALU_DEP_1)
	v_cmpx_gt_i64_e64 s[4:5], v[3:4]
	s_cbranch_execz .LBB203_7
; %bb.6:                                ;   in Loop: Header=BB203_3 Depth=1
	v_lshlrev_b64 v[3:4], 2, v[3:4]
	s_delay_alu instid0(VALU_DEP_1) | instskip(NEXT) | instid1(VALU_DEP_2)
	v_add_co_u32 v3, vcc_lo, s12, v3
	v_add_co_ci_u32_e32 v4, vcc_lo, s13, v4, vcc_lo
	global_load_b32 v65, v[3:4], off
.LBB203_7:                              ;   in Loop: Header=BB203_3 Depth=1
	s_or_b32 exec_lo, exec_lo, s17
.LBB203_8:                              ;   in Loop: Header=BB203_3 Depth=1
	s_delay_alu instid0(SALU_CYCLE_1)
	s_or_b32 exec_lo, exec_lo, s3
	v_add_co_u32 v3, vcc_lo, 0xffffffc1, v63
	v_add_co_ci_u32_e32 v4, vcc_lo, -1, v64, vcc_lo
	s_mov_b32 s22, s16
	s_mov_b32 s23, s16
	;; [unrolled: 1-line block ×7, first 2 shown]
	v_dual_mov_b32 v9, s16 :: v_dual_mov_b32 v10, s17
	v_dual_mov_b32 v15, s22 :: v_dual_mov_b32 v16, s23
	;; [unrolled: 1-line block ×4, first 2 shown]
	v_cmp_gt_i64_e32 vcc_lo, s[4:5], v[3:4]
	s_delay_alu instid0(VALU_DEP_4) | instskip(NEXT) | instid1(VALU_DEP_3)
	v_dual_mov_b32 v24, v16 :: v_dual_mov_b32 v23, v15
	v_dual_mov_b32 v21, v13 :: v_dual_mov_b32 v22, v14
	;; [unrolled: 1-line block ×4, first 2 shown]
	s_and_b32 s17, s2, vcc_lo
	s_delay_alu instid0(SALU_CYCLE_1)
	s_and_saveexec_b32 s3, s17
	s_cbranch_execz .LBB203_10
; %bb.9:                                ;   in Loop: Header=BB203_3 Depth=1
	v_add_co_u32 v3, vcc_lo, v58, v25
	v_add_co_ci_u32_e32 v4, vcc_lo, v59, v26, vcc_lo
	v_add_co_u32 v5, vcc_lo, v60, v25
	v_add_co_ci_u32_e32 v6, vcc_lo, v61, v26, vcc_lo
	v_mov_b32_e32 v8, v2
	global_load_u16 v1, v[3:4], off
	global_load_u16 v9, v[5:6], off
	v_mov_b32_e32 v3, v2
	v_mov_b32_e32 v4, v2
	;; [unrolled: 1-line block ×6, first 2 shown]
	s_waitcnt vmcnt(1)
	v_lshlrev_b32_e32 v1, 16, v1
	s_waitcnt vmcnt(0)
	v_lshlrev_b32_e32 v9, 16, v9
	v_dual_mov_b32 v11, v2 :: v_dual_mov_b32 v24, v8
	v_dual_mov_b32 v10, v2 :: v_dual_mov_b32 v23, v7
	v_dual_mov_b32 v12, v2 :: v_dual_mov_b32 v21, v5
	v_dual_mov_b32 v13, v2 :: v_dual_mov_b32 v20, v4
	v_dual_mov_b32 v14, v2 :: v_dual_mov_b32 v19, v3
	v_dual_mov_b32 v16, v2 :: v_dual_mov_b32 v17, v1
	v_mov_b32_e32 v22, v6
	v_mov_b32_e32 v18, v2
.LBB203_10:                             ;   in Loop: Header=BB203_3 Depth=1
	s_or_b32 exec_lo, exec_lo, s3
	v_add_co_u32 v3, vcc_lo, 0xffffffc2, v63
	v_add_co_ci_u32_e32 v4, vcc_lo, -1, v64, vcc_lo
	s_delay_alu instid0(VALU_DEP_1) | instskip(SKIP_1) | instid1(SALU_CYCLE_1)
	v_cmp_gt_i64_e32 vcc_lo, s[4:5], v[3:4]
	s_and_b32 s17, s2, vcc_lo
	s_and_saveexec_b32 s3, s17
	s_cbranch_execz .LBB203_12
; %bb.11:                               ;   in Loop: Header=BB203_3 Depth=1
	v_add_co_u32 v3, vcc_lo, v54, v25
	v_add_co_ci_u32_e32 v4, vcc_lo, v55, v26, vcc_lo
	v_add_co_u32 v5, vcc_lo, v56, v25
	v_add_co_ci_u32_e32 v6, vcc_lo, v57, v26, vcc_lo
	global_load_u16 v1, v[3:4], off
	global_load_u16 v3, v[5:6], off
	s_waitcnt vmcnt(1)
	v_lshlrev_b32_e32 v18, 16, v1
	s_waitcnt vmcnt(0)
	v_lshlrev_b32_e32 v10, 16, v3
.LBB203_12:                             ;   in Loop: Header=BB203_3 Depth=1
	s_or_b32 exec_lo, exec_lo, s3
	v_add_co_u32 v3, vcc_lo, 0xffffffc3, v63
	v_add_co_ci_u32_e32 v4, vcc_lo, -1, v64, vcc_lo
	s_delay_alu instid0(VALU_DEP_1) | instskip(SKIP_1) | instid1(SALU_CYCLE_1)
	v_cmp_gt_i64_e32 vcc_lo, s[4:5], v[3:4]
	s_and_b32 s17, s2, vcc_lo
	s_and_saveexec_b32 s3, s17
	s_cbranch_execz .LBB203_14
; %bb.13:                               ;   in Loop: Header=BB203_3 Depth=1
	v_add_co_u32 v3, vcc_lo, v50, v25
	v_add_co_ci_u32_e32 v4, vcc_lo, v51, v26, vcc_lo
	v_add_co_u32 v5, vcc_lo, v52, v25
	v_add_co_ci_u32_e32 v6, vcc_lo, v53, v26, vcc_lo
	global_load_u16 v1, v[3:4], off
	global_load_u16 v3, v[5:6], off
	s_waitcnt vmcnt(1)
	v_lshlrev_b32_e32 v19, 16, v1
	s_waitcnt vmcnt(0)
	v_lshlrev_b32_e32 v11, 16, v3
.LBB203_14:                             ;   in Loop: Header=BB203_3 Depth=1
	;; [unrolled: 20-line block ×7, first 2 shown]
	s_or_b32 exec_lo, exec_lo, s3
	s_waitcnt vmcnt(0)
	ds_bpermute_b32 v1, v2, v65
	ds_bpermute_b32 v3, v2, v65 offset:4
	ds_bpermute_b32 v4, v2, v65 offset:8
	v_mul_f32_e32 v5, v9, v17
	ds_bpermute_b32 v6, v2, v65 offset:12
	v_mul_f32_e32 v7, v10, v18
	ds_bpermute_b32 v8, v2, v65 offset:16
	ds_bpermute_b32 v9, v2, v65 offset:20
	s_waitcnt lgkmcnt(5)
	v_fma_f32 v1, v5, v1, v62
	v_mul_f32_e32 v5, v11, v19
	s_waitcnt lgkmcnt(4)
	s_delay_alu instid0(VALU_DEP_2) | instskip(SKIP_2) | instid1(VALU_DEP_2)
	v_fmac_f32_e32 v1, v7, v3
	v_mul_f32_e32 v3, v12, v20
	s_waitcnt lgkmcnt(3)
	v_fmac_f32_e32 v1, v5, v4
	ds_bpermute_b32 v4, v2, v65 offset:24
	v_mul_f32_e32 v5, v13, v21
	s_waitcnt lgkmcnt(3)
	v_fmac_f32_e32 v1, v3, v6
	v_mul_f32_e32 v6, v14, v22
	ds_bpermute_b32 v3, v2, v65 offset:28
	s_waitcnt lgkmcnt(3)
	v_fmac_f32_e32 v1, v5, v8
	v_mul_f32_e32 v5, v15, v23
	s_waitcnt lgkmcnt(2)
	s_delay_alu instid0(VALU_DEP_2) | instskip(SKIP_1) | instid1(VALU_DEP_1)
	v_fmac_f32_e32 v1, v6, v9
	s_waitcnt lgkmcnt(1)
	v_fmac_f32_e32 v1, v5, v4
	s_branch .LBB203_40
.LBB203_25:                             ;   in Loop: Header=BB203_3 Depth=1
                                        ; implicit-def: $vgpr1
                                        ; implicit-def: $vgpr9_vgpr10_vgpr11_vgpr12_vgpr13_vgpr14_vgpr15_vgpr16
                                        ; implicit-def: $vgpr17_vgpr18_vgpr19_vgpr20_vgpr21_vgpr22_vgpr23_vgpr24
                                        ; implicit-def: $vgpr3
	s_cbranch_execz .LBB203_40
; %bb.26:                               ;   in Loop: Header=BB203_3 Depth=1
	s_load_b32 s3, s[26:27], 0x0
	v_mov_b32_e32 v65, 0
	s_waitcnt lgkmcnt(0)
	s_cmp_lt_u32 s14, s3
	s_cselect_b32 s3, 12, 18
	s_delay_alu instid0(SALU_CYCLE_1)
	s_add_u32 s18, s26, s3
	s_addc_u32 s19, s27, 0
	s_mov_b32 s3, exec_lo
	global_load_u16 v1, v2, s[18:19]
	s_waitcnt vmcnt(0)
	v_mad_u32_u24 v1, v27, v1, v29
	s_delay_alu instid0(VALU_DEP_1) | instskip(NEXT) | instid1(VALU_DEP_1)
	v_and_b32_e32 v1, 31, v1
	v_cmpx_gt_u32_e32 8, v1
	s_cbranch_execz .LBB203_30
; %bb.27:                               ;   in Loop: Header=BB203_3 Depth=1
	v_add_co_u32 v1, vcc_lo, v63, v1
	v_add_co_ci_u32_e32 v4, vcc_lo, 0, v64, vcc_lo
	v_mov_b32_e32 v65, 0
	s_delay_alu instid0(VALU_DEP_3) | instskip(NEXT) | instid1(VALU_DEP_3)
	v_add_co_u32 v3, vcc_lo, 0xffffffc1, v1
	v_add_co_ci_u32_e32 v4, vcc_lo, -1, v4, vcc_lo
	s_mov_b32 s17, exec_lo
	s_delay_alu instid0(VALU_DEP_1)
	v_cmpx_gt_i64_e64 s[4:5], v[3:4]
	s_cbranch_execz .LBB203_29
; %bb.28:                               ;   in Loop: Header=BB203_3 Depth=1
	v_lshlrev_b64 v[3:4], 2, v[3:4]
	s_delay_alu instid0(VALU_DEP_1) | instskip(NEXT) | instid1(VALU_DEP_2)
	v_add_co_u32 v3, vcc_lo, s12, v3
	v_add_co_ci_u32_e32 v4, vcc_lo, s13, v4, vcc_lo
	global_load_b32 v65, v[3:4], off
.LBB203_29:                             ;   in Loop: Header=BB203_3 Depth=1
	s_or_b32 exec_lo, exec_lo, s17
.LBB203_30:                             ;   in Loop: Header=BB203_3 Depth=1
	s_delay_alu instid0(SALU_CYCLE_1)
	s_or_b32 exec_lo, exec_lo, s3
	s_mov_b32 s22, s16
	s_mov_b32 s23, s16
	;; [unrolled: 1-line block ×7, first 2 shown]
	v_dual_mov_b32 v9, s16 :: v_dual_mov_b32 v10, s17
	v_dual_mov_b32 v15, s22 :: v_dual_mov_b32 v16, s23
	;; [unrolled: 1-line block ×4, first 2 shown]
	s_delay_alu instid0(VALU_DEP_3) | instskip(NEXT) | instid1(VALU_DEP_3)
	v_dual_mov_b32 v24, v16 :: v_dual_mov_b32 v23, v15
	v_dual_mov_b32 v20, v12 :: v_dual_mov_b32 v19, v11
	s_delay_alu instid0(VALU_DEP_3)
	v_dual_mov_b32 v22, v14 :: v_dual_mov_b32 v21, v13
	v_dual_mov_b32 v18, v10 :: v_dual_mov_b32 v17, v9
	s_and_saveexec_b32 s3, s2
	s_cbranch_execnz .LBB203_42
; %bb.31:                               ;   in Loop: Header=BB203_3 Depth=1
	s_or_b32 exec_lo, exec_lo, s3
	s_and_saveexec_b32 s3, s2
	s_cbranch_execnz .LBB203_43
.LBB203_32:                             ;   in Loop: Header=BB203_3 Depth=1
	s_or_b32 exec_lo, exec_lo, s3
	s_and_saveexec_b32 s3, s2
	s_cbranch_execnz .LBB203_44
.LBB203_33:                             ;   in Loop: Header=BB203_3 Depth=1
	s_or_b32 exec_lo, exec_lo, s3
	s_and_saveexec_b32 s3, s2
	s_cbranch_execnz .LBB203_45
.LBB203_34:                             ;   in Loop: Header=BB203_3 Depth=1
	s_or_b32 exec_lo, exec_lo, s3
	s_and_saveexec_b32 s3, s2
	s_cbranch_execnz .LBB203_46
.LBB203_35:                             ;   in Loop: Header=BB203_3 Depth=1
	s_or_b32 exec_lo, exec_lo, s3
	s_and_saveexec_b32 s3, s2
	s_cbranch_execnz .LBB203_47
.LBB203_36:                             ;   in Loop: Header=BB203_3 Depth=1
	s_or_b32 exec_lo, exec_lo, s3
	s_and_saveexec_b32 s3, s2
	s_cbranch_execnz .LBB203_48
.LBB203_37:                             ;   in Loop: Header=BB203_3 Depth=1
	s_or_b32 exec_lo, exec_lo, s3
	s_and_saveexec_b32 s3, s2
	s_cbranch_execz .LBB203_39
.LBB203_38:                             ;   in Loop: Header=BB203_3 Depth=1
	v_add_co_u32 v3, vcc_lo, v30, v25
	v_add_co_ci_u32_e32 v4, vcc_lo, v31, v26, vcc_lo
	v_add_co_u32 v5, vcc_lo, v32, v25
	v_add_co_ci_u32_e32 v6, vcc_lo, v33, v26, vcc_lo
	global_load_u16 v1, v[3:4], off
	global_load_u16 v3, v[5:6], off
	s_waitcnt vmcnt(1)
	v_lshlrev_b32_e32 v24, 16, v1
	s_waitcnt vmcnt(0)
	v_lshlrev_b32_e32 v16, 16, v3
.LBB203_39:                             ;   in Loop: Header=BB203_3 Depth=1
	s_or_b32 exec_lo, exec_lo, s3
	s_waitcnt vmcnt(0)
	ds_bpermute_b32 v1, v2, v65
	ds_bpermute_b32 v3, v2, v65 offset:4
	ds_bpermute_b32 v4, v2, v65 offset:8
	;; [unrolled: 1-line block ×3, first 2 shown]
	v_mul_f32_e32 v7, v10, v18
	v_mul_f32_e32 v5, v9, v17
	ds_bpermute_b32 v8, v2, v65 offset:16
	s_waitcnt lgkmcnt(4)
	v_dual_fmac_f32 v62, v5, v1 :: v_dual_mul_f32 v1, v11, v19
	ds_bpermute_b32 v5, v2, v65 offset:20
	s_waitcnt lgkmcnt(4)
	v_dual_fmac_f32 v62, v7, v3 :: v_dual_mul_f32 v3, v12, v20
	s_waitcnt lgkmcnt(3)
	s_delay_alu instid0(VALU_DEP_1)
	v_fmac_f32_e32 v62, v1, v4
	ds_bpermute_b32 v1, v2, v65 offset:24
	v_mul_f32_e32 v4, v13, v21
	s_waitcnt lgkmcnt(3)
	v_fmac_f32_e32 v62, v3, v6
	v_mul_f32_e32 v6, v14, v22
	ds_bpermute_b32 v3, v2, v65 offset:28
	s_waitcnt lgkmcnt(3)
	v_fmac_f32_e32 v62, v4, v8
	v_mul_f32_e32 v4, v15, v23
	s_waitcnt lgkmcnt(2)
	s_delay_alu instid0(VALU_DEP_2) | instskip(SKIP_1) | instid1(VALU_DEP_1)
	v_fmac_f32_e32 v62, v6, v5
	s_waitcnt lgkmcnt(1)
	v_fmac_f32_e32 v62, v4, v1
	s_delay_alu instid0(VALU_DEP_1)
	v_mov_b32_e32 v1, v62
.LBB203_40:                             ;   in Loop: Header=BB203_3 Depth=1
	v_add_co_u32 v30, vcc_lo, v30, s28
	v_add_co_ci_u32_e32 v31, vcc_lo, s29, v31, vcc_lo
	v_add_co_u32 v32, vcc_lo, v32, s28
	v_add_co_ci_u32_e32 v33, vcc_lo, s29, v33, vcc_lo
	;; [unrolled: 2-line block ×13, first 2 shown]
	v_add_co_u32 v56, vcc_lo, v56, s28
	s_add_u32 s34, s34, s36
	v_add_co_ci_u32_e32 v57, vcc_lo, s29, v57, vcc_lo
	v_mul_f32_e32 v4, v24, v16
	s_addc_u32 s35, s35, 0
	v_add_co_u32 v58, vcc_lo, v58, s28
	v_cmp_lt_i64_e64 s3, s[34:35], s[4:5]
	v_add_co_ci_u32_e32 v59, vcc_lo, s29, v59, vcc_lo
	v_add_co_u32 v60, vcc_lo, v60, s28
	s_waitcnt lgkmcnt(0)
	v_fmac_f32_e32 v1, v4, v3
	v_add_co_ci_u32_e32 v61, vcc_lo, s29, v61, vcc_lo
	s_add_u32 s30, s30, s36
	s_addc_u32 s31, s31, 0
	s_and_b32 vcc_lo, exec_lo, s3
	s_cbranch_vccz .LBB203_50
; %bb.41:                               ;   in Loop: Header=BB203_3 Depth=1
	v_mov_b32_e32 v62, v1
	s_branch .LBB203_3
.LBB203_42:                             ;   in Loop: Header=BB203_3 Depth=1
	v_add_co_u32 v3, vcc_lo, v58, v25
	v_add_co_ci_u32_e32 v4, vcc_lo, v59, v26, vcc_lo
	v_add_co_u32 v5, vcc_lo, v60, v25
	v_add_co_ci_u32_e32 v6, vcc_lo, v61, v26, vcc_lo
	v_mov_b32_e32 v8, v2
	global_load_u16 v1, v[3:4], off
	global_load_u16 v9, v[5:6], off
	v_mov_b32_e32 v3, v2
	v_mov_b32_e32 v4, v2
	v_mov_b32_e32 v5, v2
	v_mov_b32_e32 v6, v2
	v_mov_b32_e32 v7, v2
	v_mov_b32_e32 v15, v2
	s_waitcnt vmcnt(1)
	v_lshlrev_b32_e32 v1, 16, v1
	s_waitcnt vmcnt(0)
	v_lshlrev_b32_e32 v9, 16, v9
	v_dual_mov_b32 v11, v2 :: v_dual_mov_b32 v24, v8
	v_dual_mov_b32 v10, v2 :: v_dual_mov_b32 v23, v7
	;; [unrolled: 1-line block ×6, first 2 shown]
	v_mov_b32_e32 v22, v6
	v_mov_b32_e32 v18, v2
	s_or_b32 exec_lo, exec_lo, s3
	s_and_saveexec_b32 s3, s2
	s_cbranch_execz .LBB203_32
.LBB203_43:                             ;   in Loop: Header=BB203_3 Depth=1
	v_add_co_u32 v3, vcc_lo, v54, v25
	v_add_co_ci_u32_e32 v4, vcc_lo, v55, v26, vcc_lo
	v_add_co_u32 v5, vcc_lo, v56, v25
	v_add_co_ci_u32_e32 v6, vcc_lo, v57, v26, vcc_lo
	global_load_u16 v1, v[3:4], off
	global_load_u16 v3, v[5:6], off
	s_waitcnt vmcnt(1)
	v_lshlrev_b32_e32 v18, 16, v1
	s_waitcnt vmcnt(0)
	v_lshlrev_b32_e32 v10, 16, v3
	s_or_b32 exec_lo, exec_lo, s3
	s_and_saveexec_b32 s3, s2
	s_cbranch_execz .LBB203_33
.LBB203_44:                             ;   in Loop: Header=BB203_3 Depth=1
	v_add_co_u32 v3, vcc_lo, v50, v25
	v_add_co_ci_u32_e32 v4, vcc_lo, v51, v26, vcc_lo
	v_add_co_u32 v5, vcc_lo, v52, v25
	v_add_co_ci_u32_e32 v6, vcc_lo, v53, v26, vcc_lo
	global_load_u16 v1, v[3:4], off
	global_load_u16 v3, v[5:6], off
	s_waitcnt vmcnt(1)
	v_lshlrev_b32_e32 v19, 16, v1
	s_waitcnt vmcnt(0)
	v_lshlrev_b32_e32 v11, 16, v3
	s_or_b32 exec_lo, exec_lo, s3
	s_and_saveexec_b32 s3, s2
	s_cbranch_execz .LBB203_34
.LBB203_45:                             ;   in Loop: Header=BB203_3 Depth=1
	v_add_co_u32 v3, vcc_lo, v46, v25
	v_add_co_ci_u32_e32 v4, vcc_lo, v47, v26, vcc_lo
	v_add_co_u32 v5, vcc_lo, v48, v25
	v_add_co_ci_u32_e32 v6, vcc_lo, v49, v26, vcc_lo
	global_load_u16 v1, v[3:4], off
	global_load_u16 v3, v[5:6], off
	s_waitcnt vmcnt(1)
	v_lshlrev_b32_e32 v20, 16, v1
	s_waitcnt vmcnt(0)
	v_lshlrev_b32_e32 v12, 16, v3
	s_or_b32 exec_lo, exec_lo, s3
	s_and_saveexec_b32 s3, s2
	s_cbranch_execz .LBB203_35
.LBB203_46:                             ;   in Loop: Header=BB203_3 Depth=1
	v_add_co_u32 v3, vcc_lo, v42, v25
	v_add_co_ci_u32_e32 v4, vcc_lo, v43, v26, vcc_lo
	v_add_co_u32 v5, vcc_lo, v44, v25
	v_add_co_ci_u32_e32 v6, vcc_lo, v45, v26, vcc_lo
	global_load_u16 v1, v[3:4], off
	global_load_u16 v3, v[5:6], off
	s_waitcnt vmcnt(1)
	v_lshlrev_b32_e32 v21, 16, v1
	s_waitcnt vmcnt(0)
	v_lshlrev_b32_e32 v13, 16, v3
	s_or_b32 exec_lo, exec_lo, s3
	s_and_saveexec_b32 s3, s2
	s_cbranch_execz .LBB203_36
.LBB203_47:                             ;   in Loop: Header=BB203_3 Depth=1
	v_add_co_u32 v3, vcc_lo, v38, v25
	v_add_co_ci_u32_e32 v4, vcc_lo, v39, v26, vcc_lo
	v_add_co_u32 v5, vcc_lo, v40, v25
	v_add_co_ci_u32_e32 v6, vcc_lo, v41, v26, vcc_lo
	global_load_u16 v1, v[3:4], off
	global_load_u16 v3, v[5:6], off
	s_waitcnt vmcnt(1)
	v_lshlrev_b32_e32 v22, 16, v1
	s_waitcnt vmcnt(0)
	v_lshlrev_b32_e32 v14, 16, v3
	s_or_b32 exec_lo, exec_lo, s3
	s_and_saveexec_b32 s3, s2
	s_cbranch_execz .LBB203_37
.LBB203_48:                             ;   in Loop: Header=BB203_3 Depth=1
	v_add_co_u32 v3, vcc_lo, v34, v25
	v_add_co_ci_u32_e32 v4, vcc_lo, v35, v26, vcc_lo
	v_add_co_u32 v5, vcc_lo, v36, v25
	v_add_co_ci_u32_e32 v6, vcc_lo, v37, v26, vcc_lo
	global_load_u16 v1, v[3:4], off
	global_load_u16 v3, v[5:6], off
	s_waitcnt vmcnt(1)
	v_lshlrev_b32_e32 v23, 16, v1
	s_waitcnt vmcnt(0)
	v_lshlrev_b32_e32 v15, 16, v3
	s_or_b32 exec_lo, exec_lo, s3
	s_and_saveexec_b32 s3, s2
	s_cbranch_execnz .LBB203_38
	s_branch .LBB203_39
.LBB203_49:
                                        ; implicit-def: $vgpr1
	s_branch .LBB203_51
.LBB203_50:
	s_cbranch_execnz .LBB203_83
.LBB203_51:
	v_mov_b32_e32 v1, 0
	s_and_not1_b32 vcc_lo, exec_lo, s15
	s_cbranch_vccnz .LBB203_83
; %bb.52:
	s_load_b32 s2, s[0:1], 0x44
	v_dual_mov_b32 v2, 0 :: v_dual_and_b32 v55, 0x3ff, v0
	v_bfe_u32 v56, v0, 10, 10
	s_add_u32 s26, s0, 64
	s_addc_u32 s27, s1, 0
	s_delay_alu instid0(VALU_DEP_2) | instskip(NEXT) | instid1(VALU_DEP_2)
	v_dual_mov_b32 v90, 0 :: v_dual_add_nc_u32 v1, s33, v55
	v_lshlrev_b32_e32 v3, 4, v56
	v_lshlrev_b32_e32 v57, 3, v56
	s_delay_alu instid0(VALU_DEP_3)
	v_lshlrev_b64 v[25:26], 1, v[1:2]
	s_waitcnt lgkmcnt(0)
	s_lshl_b32 s15, s2, 6
	s_add_u32 s28, s24, 63
	s_addc_u32 s29, 0, 0
	s_lshl_b64 s[2:3], s[24:25], 1
	s_mul_i32 s16, s7, s15
	v_add_co_u32 v1, s2, v3, s2
	s_delay_alu instid0(VALU_DEP_1) | instskip(SKIP_1) | instid1(VALU_DEP_3)
	v_add_co_ci_u32_e64 v3, null, 0, s3, s2
	v_add_co_u32 v74, s3, v57, s24
	v_add_co_u32 v7, vcc_lo, v1, 2
	s_delay_alu instid0(VALU_DEP_3) | instskip(SKIP_3) | instid1(VALU_DEP_4)
	v_add_co_ci_u32_e32 v4, vcc_lo, 0, v3, vcc_lo
	v_add_co_u32 v8, vcc_lo, v1, 4
	v_add_co_ci_u32_e32 v5, vcc_lo, 0, v3, vcc_lo
	v_add_co_u32 v11, vcc_lo, v1, 6
	v_mul_lo_u32 v9, s6, v4
	v_add_co_ci_u32_e32 v4, vcc_lo, 0, v3, vcc_lo
	v_add_co_u32 v14, vcc_lo, v1, 8
	v_mul_lo_u32 v12, s6, v5
	;; [unrolled: 3-line block ×4, first 2 shown]
	v_add_co_ci_u32_e32 v5, vcc_lo, 0, v3, vcc_lo
	v_add_co_ci_u32_e64 v75, null, 0, 0, s3
	v_add_co_u32 v1, vcc_lo, v1, 14
	v_mul_lo_u32 v21, s6, v4
	s_delay_alu instid0(VALU_DEP_4) | instskip(SKIP_4) | instid1(VALU_DEP_4)
	v_mul_lo_u32 v23, s6, v5
	v_add_co_ci_u32_e32 v5, vcc_lo, 0, v3, vcc_lo
	v_mul_lo_u32 v6, s7, v74
	v_mul_lo_u32 v41, s6, v75
	v_mad_u64_u32 v[3:4], null, s6, v74, 0
	v_mul_lo_u32 v60, s6, v5
	v_mad_u64_u32 v[27:28], null, s6, v7, s[8:9]
	;; [unrolled: 2-line block ×3, first 2 shown]
	v_add3_u32 v4, v4, v41, v6
	v_mad_u64_u32 v[41:42], null, s6, v7, s[10:11]
	v_mul_lo_u32 v13, s7, v8
	v_mad_u64_u32 v[43:44], null, s6, v8, s[10:11]
	s_delay_alu instid0(VALU_DEP_4)
	v_lshlrev_b64 v[5:6], 1, v[3:4]
	v_add3_u32 v28, v10, v28, v9
	v_mad_u64_u32 v[31:32], null, s6, v11, s[8:9]
	v_add3_u32 v42, v10, v42, v9
	v_add3_u32 v30, v13, v30, v12
	v_add_co_u32 v58, vcc_lo, s8, v5
	v_add_co_ci_u32_e32 v59, vcc_lo, s9, v6, vcc_lo
	v_add_co_u32 v9, vcc_lo, v74, 7
	v_add_co_ci_u32_e32 v7, vcc_lo, 0, v75, vcc_lo
	v_add3_u32 v44, v13, v44, v12
	v_add_co_u32 v12, vcc_lo, v74, 6
	v_mul_lo_u32 v16, s7, v11
	v_mad_u64_u32 v[39:40], null, s6, v1, s[8:9]
	v_mul_lo_u32 v61, s7, v1
	v_mad_u64_u32 v[45:46], null, s6, v11, s[10:11]
	v_mad_u64_u32 v[53:54], null, s6, v1, s[10:11]
	v_mul_lo_u32 v1, s7, v9
	v_mul_lo_u32 v11, s6, v7
	v_mad_u64_u32 v[7:8], null, s6, v9, 0
	v_add_co_ci_u32_e32 v10, vcc_lo, 0, v75, vcc_lo
	v_mad_u64_u32 v[33:34], null, s6, v14, s[8:9]
	v_mul_lo_u32 v19, s7, v14
	v_mad_u64_u32 v[47:48], null, s6, v14, s[10:11]
	v_mul_lo_u32 v13, s7, v12
	v_mul_lo_u32 v14, s6, v10
	v_mad_u64_u32 v[9:10], null, s6, v12, 0
	v_add3_u32 v8, v8, v11, v1
	v_add3_u32 v40, v61, v40, v60
	;; [unrolled: 1-line block ×3, first 2 shown]
	v_add_co_u32 v60, vcc_lo, s10, v5
	v_add_co_ci_u32_e32 v61, vcc_lo, s11, v6, vcc_lo
	v_lshlrev_b64 v[5:6], 1, v[7:8]
	v_add3_u32 v10, v10, v14, v13
	v_add_co_u32 v1, vcc_lo, v74, 5
	v_add_co_ci_u32_e32 v11, vcc_lo, 0, v75, vcc_lo
	s_delay_alu instid0(VALU_DEP_4) | instskip(NEXT) | instid1(VALU_DEP_4)
	v_add_co_u32 v62, vcc_lo, s8, v5
	v_lshlrev_b64 v[7:8], 1, v[9:10]
	v_add_co_ci_u32_e32 v63, vcc_lo, s9, v6, vcc_lo
	v_mul_lo_u32 v12, s7, v1
	v_mul_lo_u32 v11, s6, v11
	v_mad_u64_u32 v[9:10], null, s6, v1, 0
	v_add_co_u32 v64, vcc_lo, s10, v5
	v_add_co_ci_u32_e32 v65, vcc_lo, s11, v6, vcc_lo
	v_add_co_u32 v66, vcc_lo, s8, v7
	v_add_co_ci_u32_e32 v67, vcc_lo, s9, v8, vcc_lo
	s_mul_hi_u32 s2, s6, s15
	v_add_co_u32 v1, vcc_lo, v74, 4
	v_add3_u32 v10, v10, v11, v12
	s_add_i32 s3, s2, s16
	v_add_co_u32 v68, s2, s10, v7
	v_add_co_ci_u32_e32 v7, vcc_lo, 0, v75, vcc_lo
	v_add_co_u32 v12, vcc_lo, v74, 3
	v_lshlrev_b64 v[5:6], 1, v[9:10]
	v_add_co_ci_u32_e32 v9, vcc_lo, 0, v75, vcc_lo
	v_add_co_ci_u32_e64 v69, s2, s11, v8, s2
	v_mul_lo_u32 v11, s7, v1
	v_mul_lo_u32 v13, s6, v7
	v_mad_u64_u32 v[7:8], null, s6, v1, 0
	v_mul_lo_u32 v1, s7, v12
	v_mul_lo_u32 v14, s6, v9
	v_mad_u64_u32 v[9:10], null, s6, v12, 0
	v_add_co_u32 v70, vcc_lo, s8, v5
	v_add_co_ci_u32_e32 v71, vcc_lo, s9, v6, vcc_lo
	v_add3_u32 v8, v8, v13, v11
	v_add_co_u32 v72, vcc_lo, s10, v5
	v_add_co_ci_u32_e32 v73, vcc_lo, s11, v6, vcc_lo
	v_add3_u32 v10, v10, v14, v1
	v_add_co_u32 v1, vcc_lo, v74, 2
	v_lshlrev_b64 v[5:6], 1, v[7:8]
	v_add_co_ci_u32_e32 v11, vcc_lo, 0, v75, vcc_lo
	s_delay_alu instid0(VALU_DEP_4) | instskip(NEXT) | instid1(VALU_DEP_4)
	v_lshlrev_b64 v[7:8], 1, v[9:10]
	v_mul_lo_u32 v12, s7, v1
	v_mad_u64_u32 v[9:10], null, s6, v1, 0
	v_add_co_u32 v74, vcc_lo, s8, v5
	v_mul_lo_u32 v11, s6, v11
	v_add_co_ci_u32_e32 v75, vcc_lo, s9, v6, vcc_lo
	v_add_co_u32 v76, vcc_lo, s10, v5
	v_add_co_ci_u32_e32 v77, vcc_lo, s11, v6, vcc_lo
	v_add_co_u32 v78, vcc_lo, s8, v7
	v_add_co_ci_u32_e32 v79, vcc_lo, s9, v8, vcc_lo
	v_add3_u32 v10, v10, v11, v12
	v_add_co_u32 v80, vcc_lo, s10, v7
	v_add_co_ci_u32_e32 v81, vcc_lo, s11, v8, vcc_lo
	v_add_co_u32 v3, vcc_lo, v3, s6
	s_delay_alu instid0(VALU_DEP_4) | instskip(SKIP_3) | instid1(VALU_DEP_4)
	v_lshlrev_b64 v[5:6], 1, v[9:10]
	v_add_co_ci_u32_e32 v4, vcc_lo, s7, v4, vcc_lo
	v_mad_u64_u32 v[35:36], null, s6, v18, s[8:9]
	v_mul_lo_u32 v22, s7, v18
	v_add_co_u32 v82, vcc_lo, s8, v5
	s_delay_alu instid0(VALU_DEP_4)
	v_lshlrev_b64 v[3:4], 1, v[3:4]
	v_add_co_ci_u32_e32 v83, vcc_lo, s9, v6, vcc_lo
	v_mad_u64_u32 v[37:38], null, s6, v20, s[8:9]
	v_mul_lo_u32 v24, s7, v20
	v_mad_u64_u32 v[49:50], null, s6, v18, s[10:11]
	v_mad_u64_u32 v[51:52], null, s6, v20, s[10:11]
	v_add_co_u32 v84, vcc_lo, s10, v5
	v_add_co_ci_u32_e32 v85, vcc_lo, s11, v6, vcc_lo
	v_add_co_u32 v86, vcc_lo, s8, v3
	v_add_co_ci_u32_e32 v87, vcc_lo, s9, v4, vcc_lo
	v_add_co_u32 v88, vcc_lo, s10, v3
	v_add3_u32 v32, v16, v32, v15
	v_add3_u32 v34, v19, v34, v17
	;; [unrolled: 1-line block ×8, first 2 shown]
	v_add_co_ci_u32_e32 v89, vcc_lo, s11, v4, vcc_lo
	s_mul_i32 s2, s6, s15
	s_mov_b32 s16, 0
	s_lshl_b64 s[2:3], s[2:3], 1
.LBB203_53:                             ; =>This Inner Loop Header: Depth=1
	v_cmp_ge_i64_e64 s8, s[28:29], s[4:5]
	v_add_co_u32 v91, s9, v57, s28
	s_delay_alu instid0(VALU_DEP_1) | instskip(NEXT) | instid1(VALU_DEP_3)
	v_add_co_ci_u32_e64 v92, null, 0, s29, s9
	s_and_b32 vcc_lo, exec_lo, s8
	s_cbranch_vccz .LBB203_75
; %bb.54:                               ;   in Loop: Header=BB203_53 Depth=1
	s_load_b32 s8, s[26:27], 0xc
	v_mov_b32_e32 v93, 0
	s_waitcnt lgkmcnt(0)
	s_and_b32 s8, s8, 0xffff
	s_delay_alu instid0(SALU_CYCLE_1) | instskip(SKIP_1) | instid1(VALU_DEP_1)
	v_mad_u32_u24 v1, v56, s8, v55
	s_mov_b32 s8, exec_lo
	v_and_b32_e32 v1, 31, v1
	s_delay_alu instid0(VALU_DEP_1)
	v_cmpx_gt_u32_e32 8, v1
	s_cbranch_execz .LBB203_58
; %bb.55:                               ;   in Loop: Header=BB203_53 Depth=1
	v_add_co_u32 v1, vcc_lo, v91, v1
	v_add_co_ci_u32_e32 v4, vcc_lo, 0, v92, vcc_lo
	v_mov_b32_e32 v93, 0
	s_delay_alu instid0(VALU_DEP_3) | instskip(NEXT) | instid1(VALU_DEP_3)
	v_add_co_u32 v3, vcc_lo, 0xffffffc1, v1
	v_add_co_ci_u32_e32 v4, vcc_lo, -1, v4, vcc_lo
	s_mov_b32 s9, exec_lo
	s_delay_alu instid0(VALU_DEP_1)
	v_cmpx_gt_i64_e64 s[4:5], v[3:4]
	s_cbranch_execz .LBB203_57
; %bb.56:                               ;   in Loop: Header=BB203_53 Depth=1
	v_lshlrev_b64 v[3:4], 2, v[3:4]
	s_delay_alu instid0(VALU_DEP_1) | instskip(NEXT) | instid1(VALU_DEP_2)
	v_add_co_u32 v3, vcc_lo, s12, v3
	v_add_co_ci_u32_e32 v4, vcc_lo, s13, v4, vcc_lo
	global_load_b32 v93, v[3:4], off
.LBB203_57:                             ;   in Loop: Header=BB203_53 Depth=1
	s_or_b32 exec_lo, exec_lo, s9
.LBB203_58:                             ;   in Loop: Header=BB203_53 Depth=1
	s_delay_alu instid0(SALU_CYCLE_1)
	s_or_b32 exec_lo, exec_lo, s8
	s_mov_b32 s22, s16
	s_mov_b32 s23, s16
	;; [unrolled: 1-line block ×7, first 2 shown]
	v_dual_mov_b32 v9, s16 :: v_dual_mov_b32 v10, s17
	v_dual_mov_b32 v15, s22 :: v_dual_mov_b32 v16, s23
	;; [unrolled: 1-line block ×4, first 2 shown]
	v_add_co_u32 v3, vcc_lo, 0xffffffc1, v91
	s_delay_alu instid0(VALU_DEP_4) | instskip(SKIP_1) | instid1(VALU_DEP_4)
	v_dual_mov_b32 v24, v16 :: v_dual_mov_b32 v23, v15
	v_add_co_ci_u32_e32 v4, vcc_lo, -1, v92, vcc_lo
	v_dual_mov_b32 v22, v14 :: v_dual_mov_b32 v21, v13
	v_dual_mov_b32 v20, v12 :: v_dual_mov_b32 v19, v11
	;; [unrolled: 1-line block ×3, first 2 shown]
	s_mov_b32 s8, exec_lo
	v_cmpx_gt_i64_e64 s[4:5], v[3:4]
	s_cbranch_execz .LBB203_60
; %bb.59:                               ;   in Loop: Header=BB203_53 Depth=1
	v_add_co_u32 v3, vcc_lo, v58, v25
	v_add_co_ci_u32_e32 v4, vcc_lo, v59, v26, vcc_lo
	v_add_co_u32 v5, vcc_lo, v60, v25
	v_add_co_ci_u32_e32 v6, vcc_lo, v61, v26, vcc_lo
	v_mov_b32_e32 v8, v2
	global_load_u16 v1, v[3:4], off
	global_load_u16 v9, v[5:6], off
	v_mov_b32_e32 v3, v2
	v_mov_b32_e32 v4, v2
	;; [unrolled: 1-line block ×6, first 2 shown]
	s_waitcnt vmcnt(1)
	v_lshlrev_b32_e32 v1, 16, v1
	s_waitcnt vmcnt(0)
	v_lshlrev_b32_e32 v9, 16, v9
	v_dual_mov_b32 v11, v2 :: v_dual_mov_b32 v24, v8
	v_dual_mov_b32 v10, v2 :: v_dual_mov_b32 v23, v7
	;; [unrolled: 1-line block ×6, first 2 shown]
	v_mov_b32_e32 v22, v6
	v_mov_b32_e32 v18, v2
.LBB203_60:                             ;   in Loop: Header=BB203_53 Depth=1
	s_or_b32 exec_lo, exec_lo, s8
	v_add_co_u32 v3, vcc_lo, 0xffffffc2, v91
	v_add_co_ci_u32_e32 v4, vcc_lo, -1, v92, vcc_lo
	s_mov_b32 s8, exec_lo
	s_delay_alu instid0(VALU_DEP_1)
	v_cmpx_gt_i64_e64 s[4:5], v[3:4]
	s_cbranch_execz .LBB203_62
; %bb.61:                               ;   in Loop: Header=BB203_53 Depth=1
	v_add_co_u32 v3, vcc_lo, v86, v25
	v_add_co_ci_u32_e32 v4, vcc_lo, v87, v26, vcc_lo
	v_add_co_u32 v5, vcc_lo, v88, v25
	v_add_co_ci_u32_e32 v6, vcc_lo, v89, v26, vcc_lo
	global_load_u16 v1, v[3:4], off
	global_load_u16 v3, v[5:6], off
	s_waitcnt vmcnt(1)
	v_lshlrev_b32_e32 v18, 16, v1
	s_waitcnt vmcnt(0)
	v_lshlrev_b32_e32 v10, 16, v3
.LBB203_62:                             ;   in Loop: Header=BB203_53 Depth=1
	s_or_b32 exec_lo, exec_lo, s8
	v_add_co_u32 v3, vcc_lo, 0xffffffc3, v91
	v_add_co_ci_u32_e32 v4, vcc_lo, -1, v92, vcc_lo
	s_mov_b32 s8, exec_lo
	s_delay_alu instid0(VALU_DEP_1)
	v_cmpx_gt_i64_e64 s[4:5], v[3:4]
	s_cbranch_execz .LBB203_64
; %bb.63:                               ;   in Loop: Header=BB203_53 Depth=1
	v_add_co_u32 v3, vcc_lo, v82, v25
	v_add_co_ci_u32_e32 v4, vcc_lo, v83, v26, vcc_lo
	v_add_co_u32 v5, vcc_lo, v84, v25
	v_add_co_ci_u32_e32 v6, vcc_lo, v85, v26, vcc_lo
	global_load_u16 v1, v[3:4], off
	global_load_u16 v3, v[5:6], off
	s_waitcnt vmcnt(1)
	v_lshlrev_b32_e32 v19, 16, v1
	s_waitcnt vmcnt(0)
	v_lshlrev_b32_e32 v11, 16, v3
.LBB203_64:                             ;   in Loop: Header=BB203_53 Depth=1
	;; [unrolled: 19-line block ×7, first 2 shown]
	s_or_b32 exec_lo, exec_lo, s8
	s_waitcnt vmcnt(0)
	ds_bpermute_b32 v1, v2, v93
	ds_bpermute_b32 v3, v2, v93 offset:4
	ds_bpermute_b32 v4, v2, v93 offset:8
	v_mul_f32_e32 v5, v9, v17
	ds_bpermute_b32 v6, v2, v93 offset:12
	v_mul_f32_e32 v7, v10, v18
	ds_bpermute_b32 v8, v2, v93 offset:16
	ds_bpermute_b32 v9, v2, v93 offset:20
	s_waitcnt lgkmcnt(5)
	v_fma_f32 v1, v5, v1, v90
	v_mul_f32_e32 v5, v11, v19
	s_waitcnt lgkmcnt(4)
	s_delay_alu instid0(VALU_DEP_2)
	v_fmac_f32_e32 v1, v7, v3
	v_mul_f32_e32 v3, v12, v20
	ds_bpermute_b32 v7, v2, v93 offset:24
	s_waitcnt lgkmcnt(4)
	v_fmac_f32_e32 v1, v5, v4
	v_dual_mul_f32 v4, v13, v21 :: v_dual_mul_f32 v5, v14, v22
	s_waitcnt lgkmcnt(3)
	s_delay_alu instid0(VALU_DEP_2) | instskip(SKIP_4) | instid1(VALU_DEP_1)
	v_fmac_f32_e32 v1, v3, v6
	ds_bpermute_b32 v3, v2, v93 offset:28
	s_waitcnt lgkmcnt(3)
	v_dual_fmac_f32 v1, v4, v8 :: v_dual_mul_f32 v4, v15, v23
	s_waitcnt lgkmcnt(2)
	v_fmac_f32_e32 v1, v5, v9
	s_waitcnt lgkmcnt(1)
	s_delay_alu instid0(VALU_DEP_1) | instskip(SKIP_2) | instid1(VALU_DEP_1)
	v_fmac_f32_e32 v1, v4, v7
	v_mul_f32_e32 v4, v16, v24
	s_waitcnt lgkmcnt(0)
	v_fmac_f32_e32 v1, v4, v3
	s_branch .LBB203_81
.LBB203_75:                             ;   in Loop: Header=BB203_53 Depth=1
                                        ; implicit-def: $vgpr1
	s_cbranch_execz .LBB203_81
; %bb.76:                               ;   in Loop: Header=BB203_53 Depth=1
	s_load_b32 s8, s[26:27], 0x0
	s_waitcnt lgkmcnt(0)
	s_cmp_lt_u32 s14, s8
	s_cselect_b32 s8, 12, 18
	s_delay_alu instid0(SALU_CYCLE_1)
	s_add_u32 s8, s26, s8
	s_addc_u32 s9, s27, 0
	global_load_u16 v1, v2, s[8:9]
	s_mov_b32 s8, exec_lo
	s_waitcnt vmcnt(0)
	v_mad_u32_u24 v1, v56, v1, v55
	s_delay_alu instid0(VALU_DEP_1) | instskip(SKIP_1) | instid1(VALU_DEP_2)
	v_and_b32_e32 v3, 31, v1
	v_mov_b32_e32 v1, 0
	v_cmpx_gt_u32_e32 8, v3
	s_cbranch_execz .LBB203_80
; %bb.77:                               ;   in Loop: Header=BB203_53 Depth=1
	v_add_co_u32 v1, vcc_lo, v91, v3
	v_add_co_ci_u32_e32 v4, vcc_lo, 0, v92, vcc_lo
	s_mov_b32 s9, exec_lo
	s_delay_alu instid0(VALU_DEP_2) | instskip(NEXT) | instid1(VALU_DEP_2)
	v_add_co_u32 v3, vcc_lo, 0xffffffc1, v1
	v_add_co_ci_u32_e32 v4, vcc_lo, -1, v4, vcc_lo
	v_mov_b32_e32 v1, 0
	s_delay_alu instid0(VALU_DEP_2)
	v_cmpx_gt_i64_e64 s[4:5], v[3:4]
	s_cbranch_execz .LBB203_79
; %bb.78:                               ;   in Loop: Header=BB203_53 Depth=1
	v_lshlrev_b64 v[3:4], 2, v[3:4]
	s_delay_alu instid0(VALU_DEP_1) | instskip(NEXT) | instid1(VALU_DEP_2)
	v_add_co_u32 v3, vcc_lo, s12, v3
	v_add_co_ci_u32_e32 v4, vcc_lo, s13, v4, vcc_lo
	global_load_b32 v1, v[3:4], off
.LBB203_79:                             ;   in Loop: Header=BB203_53 Depth=1
	s_or_b32 exec_lo, exec_lo, s9
.LBB203_80:                             ;   in Loop: Header=BB203_53 Depth=1
	s_delay_alu instid0(SALU_CYCLE_1)
	s_or_b32 exec_lo, exec_lo, s8
	v_add_co_u32 v3, vcc_lo, v58, v25
	v_add_co_ci_u32_e32 v4, vcc_lo, v59, v26, vcc_lo
	v_add_co_u32 v5, vcc_lo, v60, v25
	v_add_co_ci_u32_e32 v6, vcc_lo, v61, v26, vcc_lo
	v_add_co_u32 v7, vcc_lo, v27, v25
	v_add_co_ci_u32_e32 v8, vcc_lo, v28, v26, vcc_lo
	v_add_co_u32 v9, vcc_lo, v41, v25
	v_add_co_ci_u32_e32 v10, vcc_lo, v42, v26, vcc_lo
	global_load_u16 v13, v[3:4], off
	global_load_u16 v14, v[5:6], off
	global_load_u16 v15, v[7:8], off
	global_load_u16 v16, v[9:10], off
	v_add_co_u32 v3, vcc_lo, v29, v25
	v_add_co_ci_u32_e32 v4, vcc_lo, v30, v26, vcc_lo
	v_add_co_u32 v5, vcc_lo, v43, v25
	v_add_co_ci_u32_e32 v6, vcc_lo, v44, v26, vcc_lo
	global_load_u16 v17, v[3:4], off
	v_add_co_u32 v3, vcc_lo, v31, v25
	v_add_co_ci_u32_e32 v4, vcc_lo, v32, v26, vcc_lo
	v_add_co_u32 v7, vcc_lo, v45, v25
	v_add_co_ci_u32_e32 v8, vcc_lo, v46, v26, vcc_lo
	;; [unrolled: 2-line block ×4, first 2 shown]
	global_load_u16 v18, v[5:6], off
	global_load_u16 v19, v[3:4], off
	;; [unrolled: 1-line block ×5, first 2 shown]
	v_add_co_u32 v3, vcc_lo, v35, v25
	v_add_co_ci_u32_e32 v4, vcc_lo, v36, v26, vcc_lo
	v_add_co_u32 v5, vcc_lo, v49, v25
	v_add_co_ci_u32_e32 v6, vcc_lo, v50, v26, vcc_lo
	v_add_co_u32 v7, vcc_lo, v37, v25
	v_add_co_ci_u32_e32 v8, vcc_lo, v38, v26, vcc_lo
	v_add_co_u32 v9, vcc_lo, v51, v25
	v_add_co_ci_u32_e32 v10, vcc_lo, v52, v26, vcc_lo
	global_load_u16 v12, v[3:4], off
	global_load_u16 v22, v[5:6], off
	;; [unrolled: 1-line block ×4, first 2 shown]
	v_add_co_u32 v3, vcc_lo, v53, v25
	v_add_co_ci_u32_e32 v4, vcc_lo, v54, v26, vcc_lo
	v_add_co_u32 v5, vcc_lo, v39, v25
	v_add_co_ci_u32_e32 v6, vcc_lo, v40, v26, vcc_lo
	global_load_u16 v3, v[3:4], off
	global_load_u16 v4, v[5:6], off
	s_waitcnt vmcnt(16)
	ds_bpermute_b32 v5, v2, v1
	ds_bpermute_b32 v6, v2, v1 offset:4
	ds_bpermute_b32 v9, v2, v1 offset:8
	s_waitcnt vmcnt(13)
	v_lshlrev_b32_e32 v15, 16, v15
	s_waitcnt vmcnt(11)
	v_lshlrev_b32_e32 v17, 16, v17
	;; [unrolled: 2-line block ×3, first 2 shown]
	v_lshlrev_b32_e32 v18, 16, v18
	s_delay_alu instid0(VALU_DEP_1) | instskip(NEXT) | instid1(VALU_DEP_1)
	v_dual_mul_f32 v17, v17, v18 :: v_dual_lshlrev_b32 v16, 16, v16
	v_dual_mul_f32 v15, v15, v16 :: v_dual_lshlrev_b32 v10, 16, v14
	v_lshlrev_b32_e32 v13, 16, v13
	ds_bpermute_b32 v14, v2, v1 offset:12
	v_mul_f32_e32 v10, v13, v10
	ds_bpermute_b32 v13, v2, v1 offset:16
	s_waitcnt vmcnt(3)
	v_lshlrev_b32_e32 v7, 16, v7
	s_waitcnt vmcnt(2)
	v_lshlrev_b32_e32 v8, 16, v8
	v_lshlrev_b32_e32 v16, 16, v19
	s_waitcnt lgkmcnt(4)
	v_fmac_f32_e32 v90, v10, v5
	ds_bpermute_b32 v5, v2, v1 offset:20
	v_mul_f32_e32 v7, v7, v8
	s_waitcnt lgkmcnt(4)
	v_fmac_f32_e32 v90, v15, v6
	ds_bpermute_b32 v6, v2, v1 offset:24
	ds_bpermute_b32 v1, v2, v1 offset:28
	s_waitcnt vmcnt(1)
	v_lshlrev_b32_e32 v3, 16, v3
	s_waitcnt vmcnt(0)
	v_lshlrev_b32_e32 v4, 16, v4
	s_waitcnt lgkmcnt(5)
	v_dual_fmac_f32 v90, v17, v9 :: v_dual_lshlrev_b32 v9, 16, v22
	s_delay_alu instid0(VALU_DEP_2) | instskip(NEXT) | instid1(VALU_DEP_1)
	v_dual_mul_f32 v3, v4, v3 :: v_dual_lshlrev_b32 v12, 16, v12
	v_dual_mul_f32 v9, v12, v9 :: v_dual_lshlrev_b32 v10, 16, v20
	s_delay_alu instid0(VALU_DEP_1) | instskip(SKIP_1) | instid1(VALU_DEP_1)
	v_dual_mul_f32 v10, v16, v10 :: v_dual_lshlrev_b32 v15, 16, v21
	s_waitcnt lgkmcnt(4)
	v_dual_fmac_f32 v90, v10, v14 :: v_dual_mul_f32 v11, v15, v11
	s_waitcnt lgkmcnt(3)
	s_delay_alu instid0(VALU_DEP_1) | instskip(SKIP_1) | instid1(VALU_DEP_1)
	v_fmac_f32_e32 v90, v11, v13
	s_waitcnt lgkmcnt(2)
	v_fmac_f32_e32 v90, v9, v5
	s_waitcnt lgkmcnt(1)
	s_delay_alu instid0(VALU_DEP_1) | instskip(SKIP_1) | instid1(VALU_DEP_1)
	v_fmac_f32_e32 v90, v7, v6
	s_waitcnt lgkmcnt(0)
	v_fmac_f32_e32 v90, v3, v1
	s_delay_alu instid0(VALU_DEP_1)
	v_mov_b32_e32 v1, v90
.LBB203_81:                             ;   in Loop: Header=BB203_53 Depth=1
	v_add_co_u32 v27, vcc_lo, v27, s2
	v_add_co_ci_u32_e32 v28, vcc_lo, s3, v28, vcc_lo
	v_add_co_u32 v29, vcc_lo, v29, s2
	v_add_co_ci_u32_e32 v30, vcc_lo, s3, v30, vcc_lo
	;; [unrolled: 2-line block ×27, first 2 shown]
	v_add_co_u32 v84, vcc_lo, v84, s2
	s_add_u32 s24, s24, s15
	v_add_co_ci_u32_e32 v85, vcc_lo, s3, v85, vcc_lo
	s_addc_u32 s25, s25, 0
	v_add_co_u32 v86, vcc_lo, v86, s2
	v_cmp_ge_i64_e64 s8, s[24:25], s[4:5]
	v_add_co_ci_u32_e32 v87, vcc_lo, s3, v87, vcc_lo
	v_add_co_u32 v88, vcc_lo, v88, s2
	v_add_co_ci_u32_e32 v89, vcc_lo, s3, v89, vcc_lo
	s_add_u32 s28, s28, s15
	s_addc_u32 s29, s29, 0
	s_and_b32 vcc_lo, exec_lo, s8
	s_cbranch_vccnz .LBB203_83
; %bb.82:                               ;   in Loop: Header=BB203_53 Depth=1
	v_mov_b32_e32 v90, v1
	s_branch .LBB203_53
.LBB203_83:
	v_dual_mov_b32 v6, 0 :: v_dual_and_b32 v3, 0x3ff, v0
	v_bfe_u32 v0, v0, 10, 10
	s_mov_b32 s15, 0
	s_mov_b32 s2, exec_lo
	s_delay_alu instid0(VALU_DEP_2) | instskip(NEXT) | instid1(VALU_DEP_2)
	v_lshrrev_b32_e32 v2, 5, v3
	v_mad_u32_u24 v5, v0, 33, v3
	s_delay_alu instid0(VALU_DEP_2) | instskip(NEXT) | instid1(VALU_DEP_2)
	v_add_nc_u32_e32 v4, v2, v0
	v_lshl_add_u32 v5, v5, 2, 0
	ds_store_b32 v5, v1
	ds_store_b32 v5, v6 offset:1056
	s_waitcnt lgkmcnt(0)
	s_barrier
	buffer_gl0_inv
	v_cmpx_gt_u32_e32 32, v4
	s_cbranch_execz .LBB203_90
; %bb.84:
	v_mbcnt_lo_u32_b32 v5, -1, 0
	s_load_b64 s[2:3], s[0:1], 0x30
	v_and_b32_e32 v1, 31, v3
	v_cmp_ne_u32_e32 vcc_lo, 0, v3
	s_lshl_b64 s[4:5], s[14:15], 5
	v_xor_b32_e32 v6, 4, v5
	v_xor_b32_e32 v8, 2, v5
	v_cmp_gt_u32_e64 s0, 8, v1
	v_mul_u32_u24_e32 v7, 0x84, v1
	v_xor_b32_e32 v9, 1, v5
	v_cmp_gt_i32_e64 s1, 32, v6
	v_lshlrev_b32_e32 v10, 2, v4
	s_delay_alu instid0(VALU_DEP_2) | instskip(SKIP_1) | instid1(VALU_DEP_1)
	v_cndmask_b32_e64 v6, v5, v6, s1
	v_add_co_u32 v2, s1, v2, v0
	v_add_co_ci_u32_e64 v3, null, 0, 0, s1
	s_delay_alu instid0(VALU_DEP_3) | instskip(NEXT) | instid1(VALU_DEP_3)
	v_lshlrev_b32_e32 v4, 2, v6
	v_add_co_u32 v0, s1, v2, s4
	s_delay_alu instid0(VALU_DEP_1)
	v_add_co_ci_u32_e64 v1, s1, s5, v3, s1
	v_cmp_gt_i32_e64 s1, 32, v8
	v_add3_u32 v7, v7, v10, 0
	s_waitcnt lgkmcnt(0)
	s_cmp_eq_u64 s[2:3], 0
	v_lshlrev_b64 v[0:1], 1, v[0:1]
	v_cndmask_b32_e64 v8, v5, v8, s1
	v_cmp_gt_i32_e64 s1, 32, v9
	s_delay_alu instid0(VALU_DEP_1) | instskip(NEXT) | instid1(VALU_DEP_4)
	v_cndmask_b32_e64 v9, v5, v9, s1
	v_add_co_u32 v0, s1, s2, v0
	s_delay_alu instid0(VALU_DEP_4) | instskip(SKIP_1) | instid1(VALU_DEP_4)
	v_lshlrev_b32_e32 v5, 2, v8
	v_add_co_ci_u32_e64 v1, s1, s3, v1, s1
	v_lshlrev_b32_e32 v6, 2, v9
	s_cselect_b32 s3, -1, 0
                                        ; implicit-def: $vgpr8
	s_branch .LBB203_86
.LBB203_85:                             ;   in Loop: Header=BB203_86 Depth=1
	s_or_b32 exec_lo, exec_lo, s2
	v_add_co_u32 v2, s1, v2, 8
	s_delay_alu instid0(VALU_DEP_1) | instskip(SKIP_1) | instid1(VALU_DEP_3)
	v_add_co_ci_u32_e64 v3, s1, 0, v3, s1
	v_add_co_u32 v0, s2, v0, 16
	v_add_nc_u32_e32 v9, -8, v2
	v_add_nc_u32_e32 v7, 32, v7
	v_add_co_ci_u32_e64 v1, s2, 0, v1, s2
	s_delay_alu instid0(VALU_DEP_3) | instskip(NEXT) | instid1(VALU_DEP_1)
	v_cmp_lt_u32_e64 s1, 23, v9
	s_or_b32 s15, s1, s15
	s_delay_alu instid0(SALU_CYCLE_1)
	s_and_not1_b32 exec_lo, exec_lo, s15
	s_cbranch_execz .LBB203_90
.LBB203_86:                             ; =>This Inner Loop Header: Depth=1
	s_and_saveexec_b32 s1, s0
	s_cbranch_execz .LBB203_88
; %bb.87:                               ;   in Loop: Header=BB203_86 Depth=1
	ds_load_b32 v8, v7
.LBB203_88:                             ;   in Loop: Header=BB203_86 Depth=1
	s_or_b32 exec_lo, exec_lo, s1
	s_waitcnt lgkmcnt(0)
	ds_bpermute_b32 v9, v4, v8
	s_waitcnt lgkmcnt(0)
	v_add_f32_e32 v8, v8, v9
	ds_bpermute_b32 v9, v5, v8
	s_waitcnt lgkmcnt(0)
	v_add_f32_e32 v10, v8, v9
	v_add_co_u32 v8, s1, s4, v2
	s_delay_alu instid0(VALU_DEP_1) | instskip(SKIP_2) | instid1(VALU_DEP_1)
	v_add_co_ci_u32_e64 v9, s1, s5, v3, s1
	ds_bpermute_b32 v11, v6, v10
	v_cmp_le_i64_e64 s1, s[6:7], v[8:9]
	s_or_b32 s1, vcc_lo, s1
	s_delay_alu instid0(SALU_CYCLE_1) | instskip(NEXT) | instid1(SALU_CYCLE_1)
	s_or_b32 s1, s3, s1
	s_xor_b32 s1, s1, -1
	s_waitcnt lgkmcnt(0)
	v_add_f32_e32 v8, v10, v11
	s_and_saveexec_b32 s2, s1
	s_cbranch_execz .LBB203_85
; %bb.89:                               ;   in Loop: Header=BB203_86 Depth=1
	s_delay_alu instid0(VALU_DEP_1) | instskip(SKIP_1) | instid1(VALU_DEP_2)
	v_bfe_u32 v9, v8, 16, 1
	v_cmp_o_f32_e64 s1, v8, v8
	v_add3_u32 v9, v8, v9, 0x7fff
	s_delay_alu instid0(VALU_DEP_1) | instskip(NEXT) | instid1(VALU_DEP_1)
	v_lshrrev_b32_e32 v9, 16, v9
	v_cndmask_b32_e64 v9, 0x7fc0, v9, s1
	global_store_b16 v[0:1], v9, off
	s_branch .LBB203_85
.LBB203_90:
	s_nop 0
	s_sendmsg sendmsg(MSG_DEALLOC_VGPRS)
	s_endpgm
	.section	.rodata,"a",@progbits
	.p2align	6, 0x0
	.amdhsa_kernel _ZN2at6native12_GLOBAL__N_135GammaBetaBackwardCUDAKernelTemplateIN3c108BFloat16EfLj32ELj8ELj64ELb0ELb0ELb1EEEvllPKT_S7_PKT0_SA_PS5_SB_
		.amdhsa_group_segment_fixed_size 0
		.amdhsa_private_segment_fixed_size 0
		.amdhsa_kernarg_size 320
		.amdhsa_user_sgpr_count 14
		.amdhsa_user_sgpr_dispatch_ptr 0
		.amdhsa_user_sgpr_queue_ptr 0
		.amdhsa_user_sgpr_kernarg_segment_ptr 1
		.amdhsa_user_sgpr_dispatch_id 0
		.amdhsa_user_sgpr_private_segment_size 0
		.amdhsa_wavefront_size32 1
		.amdhsa_uses_dynamic_stack 0
		.amdhsa_enable_private_segment 0
		.amdhsa_system_sgpr_workgroup_id_x 1
		.amdhsa_system_sgpr_workgroup_id_y 1
		.amdhsa_system_sgpr_workgroup_id_z 0
		.amdhsa_system_sgpr_workgroup_info 0
		.amdhsa_system_vgpr_workitem_id 1
		.amdhsa_next_free_vgpr 94
		.amdhsa_next_free_sgpr 37
		.amdhsa_reserve_vcc 1
		.amdhsa_float_round_mode_32 0
		.amdhsa_float_round_mode_16_64 0
		.amdhsa_float_denorm_mode_32 3
		.amdhsa_float_denorm_mode_16_64 3
		.amdhsa_dx10_clamp 1
		.amdhsa_ieee_mode 1
		.amdhsa_fp16_overflow 0
		.amdhsa_workgroup_processor_mode 1
		.amdhsa_memory_ordered 1
		.amdhsa_forward_progress 0
		.amdhsa_shared_vgpr_count 0
		.amdhsa_exception_fp_ieee_invalid_op 0
		.amdhsa_exception_fp_denorm_src 0
		.amdhsa_exception_fp_ieee_div_zero 0
		.amdhsa_exception_fp_ieee_overflow 0
		.amdhsa_exception_fp_ieee_underflow 0
		.amdhsa_exception_fp_ieee_inexact 0
		.amdhsa_exception_int_div_zero 0
	.end_amdhsa_kernel
	.section	.text._ZN2at6native12_GLOBAL__N_135GammaBetaBackwardCUDAKernelTemplateIN3c108BFloat16EfLj32ELj8ELj64ELb0ELb0ELb1EEEvllPKT_S7_PKT0_SA_PS5_SB_,"axG",@progbits,_ZN2at6native12_GLOBAL__N_135GammaBetaBackwardCUDAKernelTemplateIN3c108BFloat16EfLj32ELj8ELj64ELb0ELb0ELb1EEEvllPKT_S7_PKT0_SA_PS5_SB_,comdat
.Lfunc_end203:
	.size	_ZN2at6native12_GLOBAL__N_135GammaBetaBackwardCUDAKernelTemplateIN3c108BFloat16EfLj32ELj8ELj64ELb0ELb0ELb1EEEvllPKT_S7_PKT0_SA_PS5_SB_, .Lfunc_end203-_ZN2at6native12_GLOBAL__N_135GammaBetaBackwardCUDAKernelTemplateIN3c108BFloat16EfLj32ELj8ELj64ELb0ELb0ELb1EEEvllPKT_S7_PKT0_SA_PS5_SB_
                                        ; -- End function
	.section	.AMDGPU.csdata,"",@progbits
; Kernel info:
; codeLenInByte = 7860
; NumSgprs: 39
; NumVgprs: 94
; ScratchSize: 0
; MemoryBound: 0
; FloatMode: 240
; IeeeMode: 1
; LDSByteSize: 0 bytes/workgroup (compile time only)
; SGPRBlocks: 4
; VGPRBlocks: 11
; NumSGPRsForWavesPerEU: 39
; NumVGPRsForWavesPerEU: 94
; Occupancy: 16
; WaveLimiterHint : 0
; COMPUTE_PGM_RSRC2:SCRATCH_EN: 0
; COMPUTE_PGM_RSRC2:USER_SGPR: 14
; COMPUTE_PGM_RSRC2:TRAP_HANDLER: 0
; COMPUTE_PGM_RSRC2:TGID_X_EN: 1
; COMPUTE_PGM_RSRC2:TGID_Y_EN: 1
; COMPUTE_PGM_RSRC2:TGID_Z_EN: 0
; COMPUTE_PGM_RSRC2:TIDIG_COMP_CNT: 1
	.section	.text._ZN2at6native12_GLOBAL__N_135GammaBetaBackwardCUDAKernelTemplateIN3c108BFloat16EfLj32ELj16ELj128ELb0ELb1ELb1EEEvllPKT_S7_PKT0_SA_PS5_SB_,"axG",@progbits,_ZN2at6native12_GLOBAL__N_135GammaBetaBackwardCUDAKernelTemplateIN3c108BFloat16EfLj32ELj16ELj128ELb0ELb1ELb1EEEvllPKT_S7_PKT0_SA_PS5_SB_,comdat
	.globl	_ZN2at6native12_GLOBAL__N_135GammaBetaBackwardCUDAKernelTemplateIN3c108BFloat16EfLj32ELj16ELj128ELb0ELb1ELb1EEEvllPKT_S7_PKT0_SA_PS5_SB_ ; -- Begin function _ZN2at6native12_GLOBAL__N_135GammaBetaBackwardCUDAKernelTemplateIN3c108BFloat16EfLj32ELj16ELj128ELb0ELb1ELb1EEEvllPKT_S7_PKT0_SA_PS5_SB_
	.p2align	8
	.type	_ZN2at6native12_GLOBAL__N_135GammaBetaBackwardCUDAKernelTemplateIN3c108BFloat16EfLj32ELj16ELj128ELb0ELb1ELb1EEEvllPKT_S7_PKT0_SA_PS5_SB_,@function
_ZN2at6native12_GLOBAL__N_135GammaBetaBackwardCUDAKernelTemplateIN3c108BFloat16EfLj32ELj16ELj128ELb0ELb1ELb1EEEvllPKT_S7_PKT0_SA_PS5_SB_: ; @_ZN2at6native12_GLOBAL__N_135GammaBetaBackwardCUDAKernelTemplateIN3c108BFloat16EfLj32ELj16ELj128ELb0ELb1ELb1EEEvllPKT_S7_PKT0_SA_PS5_SB_
; %bb.0:
	s_load_b128 s[4:7], s[0:1], 0x0
	s_mov_b32 s13, 0
	s_lshl_b32 s12, s15, 7
	v_bfe_u32 v7, v0, 10, 10
	s_waitcnt lgkmcnt(0)
	v_cmp_lt_i64_e64 s2, s[12:13], s[4:5]
	s_delay_alu instid0(VALU_DEP_1)
	s_and_b32 vcc_lo, exec_lo, s2
	s_cbranch_vccnz .LBB204_2
; %bb.1:
	v_bfe_u32 v1, v0, 10, 10
	s_mov_b32 s8, 0
	s_mov_b32 s9, s13
	s_branch .LBB204_3
.LBB204_2:
	s_mov_b32 s9, -1
                                        ; implicit-def: $sgpr8
                                        ; implicit-def: $vgpr1
.LBB204_3:
	s_load_b64 s[2:3], s[0:1], 0x30
	v_and_b32_e32 v6, 0x3ff, v0
	v_mov_b32_e32 v0, s8
	s_and_not1_b32 vcc_lo, exec_lo, s9
	s_cbranch_vccnz .LBB204_11
; %bb.4:
	s_clause 0x3
	s_load_b32 s15, s[0:1], 0x4c
	s_load_b32 s16, s[0:1], 0x44
	s_load_b128 s[8:11], s[0:1], 0x10
	s_load_b64 s[18:19], s[0:1], 0x28
	v_dual_mov_b32 v9, 4 :: v_dual_lshlrev_b32 v2, 3, v7
	v_dual_mov_b32 v8, 8 :: v_dual_mov_b32 v1, 0
	v_lshl_add_u32 v0, s14, 5, v6
	s_delay_alu instid0(VALU_DEP_3) | instskip(NEXT) | instid1(VALU_DEP_1)
	v_add_co_u32 v2, s1, v2, s12
	v_add_co_ci_u32_e64 v3, null, 0, 0, s1
	s_delay_alu instid0(VALU_DEP_3) | instskip(NEXT) | instid1(VALU_DEP_3)
	v_lshlrev_b64 v[15:16], 1, v[0:1]
	v_mul_lo_u32 v17, s7, v2
	v_dual_mov_b32 v10, 12 :: v_dual_mov_b32 v11, 16
	s_delay_alu instid0(VALU_DEP_4)
	v_mul_lo_u32 v18, s6, v3
	v_dual_mov_b32 v13, 24 :: v_dual_mov_b32 v14, 28
	s_waitcnt lgkmcnt(0)
	s_and_b32 s0, s15, 0xffff
	s_lshl_b32 s16, s16, 7
	v_mad_u32_u24 v4, v7, s0, v6
	v_mov_b32_e32 v12, 20
	s_mul_i32 s1, s7, s16
	s_mul_hi_u32 s15, s6, s16
	s_delay_alu instid0(VALU_DEP_2) | instskip(SKIP_3) | instid1(VALU_DEP_2)
	v_dual_mov_b32 v0, 0 :: v_dual_and_b32 v21, 31, v4
	v_mad_u64_u32 v[4:5], null, s6, v2, 0
	s_mov_b32 s17, 0
	s_add_i32 s21, s15, s1
	v_add_co_u32 v2, vcc_lo, v2, v21
	v_add_co_ci_u32_e32 v3, vcc_lo, 0, v3, vcc_lo
	s_delay_alu instid0(VALU_DEP_3) | instskip(SKIP_2) | instid1(VALU_DEP_3)
	v_add3_u32 v5, v5, v18, v17
	v_cmp_gt_u32_e64 s0, 8, v21
	s_mul_i32 s20, s6, s16
	v_lshlrev_b64 v[17:18], 2, v[2:3]
	s_lshl_b64 s[20:21], s[20:21], 1
	v_lshlrev_b64 v[19:20], 1, v[4:5]
	s_lshl_b64 s[6:7], s[6:7], 1
	s_delay_alu instid0(VALU_DEP_2) | instskip(NEXT) | instid1(VALU_DEP_3)
	v_add_co_u32 v4, vcc_lo, s18, v17
	v_add_co_ci_u32_e32 v5, vcc_lo, s19, v18, vcc_lo
	s_delay_alu instid0(VALU_DEP_3) | instskip(NEXT) | instid1(VALU_DEP_4)
	v_add_co_u32 v15, vcc_lo, v19, v15
	v_add_co_ci_u32_e32 v16, vcc_lo, v20, v16, vcc_lo
	s_lshl_b64 s[18:19], s[16:17], 2
	s_branch .LBB204_7
.LBB204_5:                              ;   in Loop: Header=BB204_7 Depth=1
	s_or_b32 exec_lo, exec_lo, s15
.LBB204_6:                              ;   in Loop: Header=BB204_7 Depth=1
	s_delay_alu instid0(SALU_CYCLE_1)
	s_or_b32 exec_lo, exec_lo, s1
	v_add_co_u32 v18, vcc_lo, s8, v15
	v_add_co_ci_u32_e32 v19, vcc_lo, s9, v16, vcc_lo
	v_add_co_u32 v20, vcc_lo, s10, v15
	v_add_co_ci_u32_e32 v21, vcc_lo, s11, v16, vcc_lo
	global_load_u16 v28, v[18:19], off
	v_add_co_u32 v18, vcc_lo, v18, s6
	v_add_co_ci_u32_e32 v19, vcc_lo, s7, v19, vcc_lo
	v_add_co_u32 v22, vcc_lo, v20, s6
	v_add_co_ci_u32_e32 v23, vcc_lo, s7, v21, vcc_lo
	s_delay_alu instid0(VALU_DEP_4) | instskip(NEXT) | instid1(VALU_DEP_4)
	v_add_co_u32 v24, vcc_lo, v18, s6
	v_add_co_ci_u32_e32 v25, vcc_lo, s7, v19, vcc_lo
	s_delay_alu instid0(VALU_DEP_4) | instskip(NEXT) | instid1(VALU_DEP_4)
	v_add_co_u32 v26, vcc_lo, v22, s6
	v_add_co_ci_u32_e32 v27, vcc_lo, s7, v23, vcc_lo
	global_load_u16 v29, v[20:21], off
	global_load_u16 v30, v[18:19], off
	;; [unrolled: 1-line block ×5, first 2 shown]
	v_add_co_u32 v18, vcc_lo, v24, s6
	v_add_co_ci_u32_e32 v19, vcc_lo, s7, v25, vcc_lo
	v_add_co_u32 v20, vcc_lo, v26, s6
	v_add_co_ci_u32_e32 v21, vcc_lo, s7, v27, vcc_lo
	global_load_u16 v34, v[18:19], off
	v_add_co_u32 v18, vcc_lo, v18, s6
	v_add_co_ci_u32_e32 v19, vcc_lo, s7, v19, vcc_lo
	v_add_co_u32 v22, vcc_lo, v20, s6
	v_add_co_ci_u32_e32 v23, vcc_lo, s7, v21, vcc_lo
	s_delay_alu instid0(VALU_DEP_4) | instskip(NEXT) | instid1(VALU_DEP_4)
	v_add_co_u32 v24, vcc_lo, v18, s6
	v_add_co_ci_u32_e32 v25, vcc_lo, s7, v19, vcc_lo
	s_delay_alu instid0(VALU_DEP_4) | instskip(NEXT) | instid1(VALU_DEP_4)
	v_add_co_u32 v26, vcc_lo, v22, s6
	v_add_co_ci_u32_e32 v27, vcc_lo, s7, v23, vcc_lo
	global_load_u16 v35, v[20:21], off
	global_load_u16 v36, v[18:19], off
	;; [unrolled: 1-line block ×5, first 2 shown]
	v_add_co_u32 v18, vcc_lo, v26, s6
	v_add_co_ci_u32_e32 v19, vcc_lo, s7, v27, vcc_lo
	v_add_co_u32 v20, vcc_lo, v24, s6
	v_add_co_ci_u32_e32 v21, vcc_lo, s7, v25, vcc_lo
	global_load_u16 v24, v[18:19], off
	v_add_co_u32 v18, vcc_lo, v18, s6
	v_add_co_ci_u32_e32 v19, vcc_lo, s7, v19, vcc_lo
	v_add_co_u32 v22, vcc_lo, v20, s6
	v_add_co_ci_u32_e32 v23, vcc_lo, s7, v21, vcc_lo
	global_load_u16 v20, v[20:21], off
	global_load_u16 v18, v[18:19], off
	;; [unrolled: 1-line block ×3, first 2 shown]
	s_waitcnt vmcnt(16)
	ds_bpermute_b32 v21, v1, v17
	ds_bpermute_b32 v22, v9, v17
	;; [unrolled: 1-line block ×3, first 2 shown]
	v_add_co_u32 v4, vcc_lo, v4, s18
	s_add_u32 s12, s12, s16
	v_add_co_ci_u32_e32 v5, vcc_lo, s19, v5, vcc_lo
	s_addc_u32 s13, s13, 0
	v_add_co_u32 v2, vcc_lo, v2, s16
	v_add_co_ci_u32_e32 v3, vcc_lo, 0, v3, vcc_lo
	v_cmp_lt_i64_e64 s1, s[12:13], s[4:5]
	v_add_co_u32 v15, vcc_lo, v15, s20
	v_add_co_ci_u32_e32 v16, vcc_lo, s21, v16, vcc_lo
	s_delay_alu instid0(VALU_DEP_3)
	s_and_b32 vcc_lo, exec_lo, s1
	s_waitcnt vmcnt(15)
	v_lshlrev_b32_e32 v25, 16, v28
	ds_bpermute_b32 v28, v10, v17
	s_waitcnt vmcnt(14)
	v_lshlrev_b32_e32 v23, 16, v29
	s_waitcnt vmcnt(12)
	v_lshlrev_b32_e32 v27, 16, v31
	s_delay_alu instid0(VALU_DEP_2) | instskip(SKIP_1) | instid1(VALU_DEP_1)
	v_mul_f32_e32 v23, v25, v23
	s_waitcnt lgkmcnt(3)
	v_dual_fmac_f32 v0, v23, v21 :: v_dual_lshlrev_b32 v25, 16, v30
	s_delay_alu instid0(VALU_DEP_1)
	v_mul_f32_e32 v21, v25, v27
	ds_bpermute_b32 v25, v11, v17
	s_waitcnt vmcnt(11)
	v_lshlrev_b32_e32 v23, 16, v32
	ds_bpermute_b32 v27, v12, v17
	s_waitcnt vmcnt(10) lgkmcnt(4)
	v_dual_fmac_f32 v0, v21, v22 :: v_dual_lshlrev_b32 v29, 16, v33
	s_waitcnt vmcnt(9)
	s_delay_alu instid0(VALU_DEP_1)
	v_dual_mul_f32 v21, v23, v29 :: v_dual_lshlrev_b32 v22, 16, v34
	ds_bpermute_b32 v23, v13, v17
	ds_bpermute_b32 v17, v14, v17
	s_waitcnt lgkmcnt(5)
	v_fmac_f32_e32 v0, v21, v26
	s_waitcnt vmcnt(8)
	v_lshlrev_b32_e32 v30, 16, v35
	s_waitcnt vmcnt(4)
	s_delay_alu instid0(VALU_DEP_1) | instskip(SKIP_2) | instid1(VALU_DEP_2)
	v_dual_mul_f32 v21, v22, v30 :: v_dual_lshlrev_b32 v26, 16, v39
	v_lshlrev_b32_e32 v22, 16, v36
	s_waitcnt lgkmcnt(4)
	v_fmac_f32_e32 v0, v21, v28
	s_waitcnt vmcnt(2)
	v_lshlrev_b32_e32 v20, 16, v20
	v_lshlrev_b32_e32 v29, 16, v37
	;; [unrolled: 1-line block ×3, first 2 shown]
	s_waitcnt vmcnt(1)
	s_delay_alu instid0(VALU_DEP_2) | instskip(SKIP_2) | instid1(VALU_DEP_2)
	v_dual_mul_f32 v21, v22, v29 :: v_dual_lshlrev_b32 v18, 16, v18
	v_lshlrev_b32_e32 v22, 16, v24
	s_waitcnt lgkmcnt(3)
	v_dual_fmac_f32 v0, v21, v25 :: v_dual_mul_f32 v21, v30, v26
	s_delay_alu instid0(VALU_DEP_2) | instskip(SKIP_1) | instid1(VALU_DEP_2)
	v_mul_f32_e32 v20, v20, v22
	s_waitcnt lgkmcnt(2)
	v_fmac_f32_e32 v0, v21, v27
	s_waitcnt lgkmcnt(1)
	s_delay_alu instid0(VALU_DEP_1) | instskip(SKIP_2) | instid1(VALU_DEP_1)
	v_fmac_f32_e32 v0, v20, v23
	s_waitcnt vmcnt(0)
	v_lshlrev_b32_e32 v19, 16, v19
	v_mul_f32_e32 v18, v19, v18
	s_waitcnt lgkmcnt(0)
	s_delay_alu instid0(VALU_DEP_1)
	v_fmac_f32_e32 v0, v18, v17
	s_cbranch_vccz .LBB204_10
.LBB204_7:                              ; =>This Inner Loop Header: Depth=1
	v_mov_b32_e32 v17, 0
	s_and_saveexec_b32 s1, s0
	s_cbranch_execz .LBB204_6
; %bb.8:                                ;   in Loop: Header=BB204_7 Depth=1
	v_mov_b32_e32 v17, 0
	s_mov_b32 s15, exec_lo
	v_cmpx_gt_i64_e64 s[4:5], v[2:3]
	s_cbranch_execz .LBB204_5
; %bb.9:                                ;   in Loop: Header=BB204_7 Depth=1
	global_load_b32 v17, v[4:5], off
	s_branch .LBB204_5
.LBB204_10:
	v_mov_b32_e32 v1, v7
.LBB204_11:
	s_delay_alu instid0(VALU_DEP_2) | instskip(NEXT) | instid1(VALU_DEP_2)
	v_lshrrev_b32_e32 v4, 5, v6
	v_mad_u32_u24 v2, v1, 33, v6
	v_mov_b32_e32 v3, 0
	s_mov_b32 s15, 0
	s_mov_b32 s0, exec_lo
	v_add_nc_u32_e32 v7, v4, v1
	v_lshl_add_u32 v2, v2, 2, 0
	ds_store_b32 v2, v0
	ds_store_b32 v2, v3 offset:2112
	s_waitcnt lgkmcnt(0)
	s_barrier
	buffer_gl0_inv
	v_cmpx_gt_u32_e32 32, v7
	s_cbranch_execz .LBB204_18
; %bb.12:
	v_mbcnt_lo_u32_b32 v0, -1, 0
	v_cmp_eq_u32_e64 s0, 0, v6
	s_cmp_lg_u64 s[2:3], 0
	v_and_b32_e32 v2, 31, v6
	s_cselect_b32 s1, -1, 0
	v_xor_b32_e32 v3, 8, v0
	v_xor_b32_e32 v5, 4, v0
	s_and_b32 s1, s0, s1
	v_xor_b32_e32 v6, 2, v0
	v_xor_b32_e32 v9, 1, v0
	v_cmp_gt_i32_e64 s0, 32, v3
	v_cmp_gt_u32_e32 vcc_lo, 16, v2
	v_mul_u32_u24_e32 v8, 0x84, v2
	s_lshl_b64 s[4:5], s[14:15], 6
	s_delay_alu instid0(VALU_DEP_3) | instskip(SKIP_1) | instid1(VALU_DEP_2)
	v_cndmask_b32_e64 v3, v0, v3, s0
	v_cmp_gt_i32_e64 s0, 32, v5
	v_lshlrev_b32_e32 v2, 2, v3
	s_delay_alu instid0(VALU_DEP_2) | instskip(SKIP_1) | instid1(VALU_DEP_2)
	v_cndmask_b32_e64 v5, v0, v5, s0
	v_cmp_gt_i32_e64 s0, 32, v6
	v_lshlrev_b32_e32 v3, 2, v5
	s_delay_alu instid0(VALU_DEP_2) | instskip(SKIP_1) | instid1(VALU_DEP_1)
	v_cndmask_b32_e64 v5, v0, v6, s0
	v_cmp_gt_i32_e64 s0, 32, v9
	v_cndmask_b32_e64 v6, v0, v9, s0
	v_add_co_u32 v0, s0, v4, v1
	s_delay_alu instid0(VALU_DEP_1) | instskip(SKIP_3) | instid1(VALU_DEP_2)
	v_add_co_ci_u32_e64 v1, null, 0, 0, s0
	v_lshlrev_b32_e32 v9, 2, v7
	s_add_u32 s0, s2, s4
	s_addc_u32 s2, s3, s5
	v_lshlrev_b64 v[0:1], 1, v[0:1]
	v_lshlrev_b32_e32 v4, 2, v5
	v_lshlrev_b32_e32 v5, 2, v6
	v_add3_u32 v6, v8, v9, 0
	v_add_nc_u32_e32 v7, -16, v7
                                        ; implicit-def: $vgpr8
	v_add_co_u32 v0, s0, s0, v0
	s_delay_alu instid0(VALU_DEP_1)
	v_add_co_ci_u32_e64 v1, s0, s2, v1, s0
	s_set_inst_prefetch_distance 0x1
	s_branch .LBB204_14
	.p2align	6
.LBB204_13:                             ;   in Loop: Header=BB204_14 Depth=1
	s_or_b32 exec_lo, exec_lo, s2
	v_add_co_u32 v7, s0, v7, 16
	s_delay_alu instid0(VALU_DEP_1) | instskip(SKIP_4) | instid1(SALU_CYCLE_1)
	s_xor_b32 s2, s0, -1
	v_add_co_u32 v0, s0, v0, 32
	v_add_nc_u32_e32 v6, 64, v6
	v_add_co_ci_u32_e64 v1, s0, 0, v1, s0
	s_and_b32 s0, exec_lo, s2
	s_or_b32 s15, s0, s15
	s_delay_alu instid0(SALU_CYCLE_1)
	s_and_not1_b32 exec_lo, exec_lo, s15
	s_cbranch_execz .LBB204_18
.LBB204_14:                             ; =>This Inner Loop Header: Depth=1
	s_and_saveexec_b32 s0, vcc_lo
	s_cbranch_execz .LBB204_16
; %bb.15:                               ;   in Loop: Header=BB204_14 Depth=1
	ds_load_b32 v8, v6
.LBB204_16:                             ;   in Loop: Header=BB204_14 Depth=1
	s_or_b32 exec_lo, exec_lo, s0
	s_waitcnt lgkmcnt(0)
	ds_bpermute_b32 v9, v2, v8
	s_waitcnt lgkmcnt(0)
	v_add_f32_e32 v8, v8, v9
	ds_bpermute_b32 v9, v3, v8
	s_waitcnt lgkmcnt(0)
	v_add_f32_e32 v8, v8, v9
	;; [unrolled: 3-line block ×4, first 2 shown]
	s_and_saveexec_b32 s2, s1
	s_cbranch_execz .LBB204_13
; %bb.17:                               ;   in Loop: Header=BB204_14 Depth=1
	s_delay_alu instid0(VALU_DEP_1) | instskip(SKIP_1) | instid1(VALU_DEP_2)
	v_bfe_u32 v9, v8, 16, 1
	v_cmp_o_f32_e64 s0, v8, v8
	v_add3_u32 v9, v8, v9, 0x7fff
	s_delay_alu instid0(VALU_DEP_1) | instskip(NEXT) | instid1(VALU_DEP_1)
	v_lshrrev_b32_e32 v9, 16, v9
	v_cndmask_b32_e64 v9, 0x7fc0, v9, s0
	global_store_b16 v[0:1], v9, off
	s_branch .LBB204_13
.LBB204_18:
	s_set_inst_prefetch_distance 0x2
	s_nop 0
	s_sendmsg sendmsg(MSG_DEALLOC_VGPRS)
	s_endpgm
	.section	.rodata,"a",@progbits
	.p2align	6, 0x0
	.amdhsa_kernel _ZN2at6native12_GLOBAL__N_135GammaBetaBackwardCUDAKernelTemplateIN3c108BFloat16EfLj32ELj16ELj128ELb0ELb1ELb1EEEvllPKT_S7_PKT0_SA_PS5_SB_
		.amdhsa_group_segment_fixed_size 0
		.amdhsa_private_segment_fixed_size 0
		.amdhsa_kernarg_size 320
		.amdhsa_user_sgpr_count 14
		.amdhsa_user_sgpr_dispatch_ptr 0
		.amdhsa_user_sgpr_queue_ptr 0
		.amdhsa_user_sgpr_kernarg_segment_ptr 1
		.amdhsa_user_sgpr_dispatch_id 0
		.amdhsa_user_sgpr_private_segment_size 0
		.amdhsa_wavefront_size32 1
		.amdhsa_uses_dynamic_stack 0
		.amdhsa_enable_private_segment 0
		.amdhsa_system_sgpr_workgroup_id_x 1
		.amdhsa_system_sgpr_workgroup_id_y 1
		.amdhsa_system_sgpr_workgroup_id_z 0
		.amdhsa_system_sgpr_workgroup_info 0
		.amdhsa_system_vgpr_workitem_id 1
		.amdhsa_next_free_vgpr 40
		.amdhsa_next_free_sgpr 22
		.amdhsa_reserve_vcc 1
		.amdhsa_float_round_mode_32 0
		.amdhsa_float_round_mode_16_64 0
		.amdhsa_float_denorm_mode_32 3
		.amdhsa_float_denorm_mode_16_64 3
		.amdhsa_dx10_clamp 1
		.amdhsa_ieee_mode 1
		.amdhsa_fp16_overflow 0
		.amdhsa_workgroup_processor_mode 1
		.amdhsa_memory_ordered 1
		.amdhsa_forward_progress 0
		.amdhsa_shared_vgpr_count 0
		.amdhsa_exception_fp_ieee_invalid_op 0
		.amdhsa_exception_fp_denorm_src 0
		.amdhsa_exception_fp_ieee_div_zero 0
		.amdhsa_exception_fp_ieee_overflow 0
		.amdhsa_exception_fp_ieee_underflow 0
		.amdhsa_exception_fp_ieee_inexact 0
		.amdhsa_exception_int_div_zero 0
	.end_amdhsa_kernel
	.section	.text._ZN2at6native12_GLOBAL__N_135GammaBetaBackwardCUDAKernelTemplateIN3c108BFloat16EfLj32ELj16ELj128ELb0ELb1ELb1EEEvllPKT_S7_PKT0_SA_PS5_SB_,"axG",@progbits,_ZN2at6native12_GLOBAL__N_135GammaBetaBackwardCUDAKernelTemplateIN3c108BFloat16EfLj32ELj16ELj128ELb0ELb1ELb1EEEvllPKT_S7_PKT0_SA_PS5_SB_,comdat
.Lfunc_end204:
	.size	_ZN2at6native12_GLOBAL__N_135GammaBetaBackwardCUDAKernelTemplateIN3c108BFloat16EfLj32ELj16ELj128ELb0ELb1ELb1EEEvllPKT_S7_PKT0_SA_PS5_SB_, .Lfunc_end204-_ZN2at6native12_GLOBAL__N_135GammaBetaBackwardCUDAKernelTemplateIN3c108BFloat16EfLj32ELj16ELj128ELb0ELb1ELb1EEEvllPKT_S7_PKT0_SA_PS5_SB_
                                        ; -- End function
	.section	.AMDGPU.csdata,"",@progbits
; Kernel info:
; codeLenInByte = 1704
; NumSgprs: 24
; NumVgprs: 40
; ScratchSize: 0
; MemoryBound: 0
; FloatMode: 240
; IeeeMode: 1
; LDSByteSize: 0 bytes/workgroup (compile time only)
; SGPRBlocks: 2
; VGPRBlocks: 4
; NumSGPRsForWavesPerEU: 24
; NumVGPRsForWavesPerEU: 40
; Occupancy: 16
; WaveLimiterHint : 0
; COMPUTE_PGM_RSRC2:SCRATCH_EN: 0
; COMPUTE_PGM_RSRC2:USER_SGPR: 14
; COMPUTE_PGM_RSRC2:TRAP_HANDLER: 0
; COMPUTE_PGM_RSRC2:TGID_X_EN: 1
; COMPUTE_PGM_RSRC2:TGID_Y_EN: 1
; COMPUTE_PGM_RSRC2:TGID_Z_EN: 0
; COMPUTE_PGM_RSRC2:TIDIG_COMP_CNT: 1
	.section	.text._ZN2at6native12_GLOBAL__N_135GammaBetaBackwardCUDAKernelTemplateIN3c108BFloat16EfLj32ELj16ELj128ELb0ELb0ELb1EEEvllPKT_S7_PKT0_SA_PS5_SB_,"axG",@progbits,_ZN2at6native12_GLOBAL__N_135GammaBetaBackwardCUDAKernelTemplateIN3c108BFloat16EfLj32ELj16ELj128ELb0ELb0ELb1EEEvllPKT_S7_PKT0_SA_PS5_SB_,comdat
	.globl	_ZN2at6native12_GLOBAL__N_135GammaBetaBackwardCUDAKernelTemplateIN3c108BFloat16EfLj32ELj16ELj128ELb0ELb0ELb1EEEvllPKT_S7_PKT0_SA_PS5_SB_ ; -- Begin function _ZN2at6native12_GLOBAL__N_135GammaBetaBackwardCUDAKernelTemplateIN3c108BFloat16EfLj32ELj16ELj128ELb0ELb0ELb1EEEvllPKT_S7_PKT0_SA_PS5_SB_
	.p2align	8
	.type	_ZN2at6native12_GLOBAL__N_135GammaBetaBackwardCUDAKernelTemplateIN3c108BFloat16EfLj32ELj16ELj128ELb0ELb0ELb1EEEvllPKT_S7_PKT0_SA_PS5_SB_,@function
_ZN2at6native12_GLOBAL__N_135GammaBetaBackwardCUDAKernelTemplateIN3c108BFloat16EfLj32ELj16ELj128ELb0ELb0ELb1EEEvllPKT_S7_PKT0_SA_PS5_SB_: ; @_ZN2at6native12_GLOBAL__N_135GammaBetaBackwardCUDAKernelTemplateIN3c108BFloat16EfLj32ELj16ELj128ELb0ELb0ELb1EEEvllPKT_S7_PKT0_SA_PS5_SB_
; %bb.0:
	s_clause 0x1
	s_load_b256 s[4:11], s[0:1], 0x0
	s_load_b64 s[12:13], s[0:1], 0x28
	s_lshl_b32 s33, s14, 5
	s_mov_b32 s25, 0
	s_or_b32 s24, s33, 31
	s_waitcnt lgkmcnt(0)
	v_cmp_ge_i64_e64 s2, s[24:25], s[6:7]
	s_lshl_b32 s24, s15, 7
	s_delay_alu instid0(SALU_CYCLE_1) | instskip(NEXT) | instid1(VALU_DEP_2)
	v_cmp_lt_i64_e64 s15, s[24:25], s[4:5]
	s_and_b32 vcc_lo, exec_lo, s2
	s_delay_alu instid0(VALU_DEP_1) | instskip(NEXT) | instid1(VALU_DEP_1)
	v_cndmask_b32_e64 v1, 0, 1, s15
	v_cmp_ne_u32_e64 s2, 1, v1
	s_cbranch_vccz .LBB205_49
; %bb.1:
	v_mov_b32_e32 v1, 0
	s_delay_alu instid0(VALU_DEP_2)
	s_and_b32 vcc_lo, exec_lo, s2
	s_cbranch_vccnz .LBB205_50
; %bb.2:
	v_bfe_u32 v27, v0, 10, 10
	s_load_b32 s3, s[0:1], 0x44
	v_dual_mov_b32 v2, 0 :: v_dual_and_b32 v29, 0x3ff, v0
	s_add_u32 s26, s0, 64
	s_delay_alu instid0(VALU_DEP_2) | instskip(NEXT) | instid1(VALU_DEP_2)
	v_lshlrev_b32_e32 v28, 3, v27
	v_dual_mov_b32 v62, 0 :: v_dual_add_nc_u32 v1, s33, v29
	s_addc_u32 s27, s1, 0
	s_mov_b32 s16, 0
	s_delay_alu instid0(VALU_DEP_2) | instskip(NEXT) | instid1(VALU_DEP_1)
	v_add_co_u32 v9, s2, v28, s24
	v_add_co_ci_u32_e64 v10, null, 0, 0, s2
	v_cmp_gt_i64_e64 s2, s[6:7], v[1:2]
	s_delay_alu instid0(VALU_DEP_3) | instskip(NEXT) | instid1(VALU_DEP_3)
	v_add_co_u32 v5, vcc_lo, v9, 7
	v_add_co_ci_u32_e32 v3, vcc_lo, 0, v10, vcc_lo
	v_add_co_u32 v8, vcc_lo, v9, 6
	s_delay_alu instid0(VALU_DEP_3) | instskip(NEXT) | instid1(VALU_DEP_3)
	v_mul_lo_u32 v6, s7, v5
	v_mul_lo_u32 v7, s6, v3
	v_mad_u64_u32 v[3:4], null, s6, v5, 0
	v_add_co_ci_u32_e32 v5, vcc_lo, 0, v10, vcc_lo
	v_lshlrev_b64 v[25:26], 1, v[1:2]
	v_mul_lo_u32 v1, s7, v8
	s_waitcnt lgkmcnt(0)
	s_lshl_b32 s36, s3, 7
	s_mov_b64 s[34:35], s[24:25]
	s_delay_alu instid0(VALU_DEP_4) | instskip(SKIP_3) | instid1(VALU_DEP_3)
	v_add3_u32 v4, v4, v7, v6
	v_mul_lo_u32 v7, s6, v5
	v_mad_u64_u32 v[5:6], null, s6, v8, 0
	s_mul_i32 s3, s7, s36
	v_lshlrev_b64 v[3:4], 1, v[3:4]
	s_mul_hi_u32 s17, s6, s36
	s_mul_i32 s18, s6, s36
	s_add_i32 s19, s17, s3
	s_delay_alu instid0(VALU_DEP_2) | instskip(NEXT) | instid1(VALU_DEP_2)
	v_add3_u32 v6, v6, v7, v1
	v_add_co_u32 v30, vcc_lo, s8, v3
	v_add_co_ci_u32_e32 v31, vcc_lo, s9, v4, vcc_lo
	v_add_co_u32 v1, vcc_lo, v9, 5
	v_add_co_u32 v32, s3, s10, v3
	s_delay_alu instid0(VALU_DEP_1) | instskip(SKIP_4) | instid1(VALU_DEP_3)
	v_add_co_ci_u32_e64 v33, s3, s11, v4, s3
	v_lshlrev_b64 v[3:4], 1, v[5:6]
	v_add_co_ci_u32_e32 v5, vcc_lo, 0, v10, vcc_lo
	v_add_co_u32 v12, vcc_lo, v9, 4
	v_mul_lo_u32 v11, s7, v1
	v_mul_lo_u32 v13, s6, v5
	v_mad_u64_u32 v[5:6], null, s6, v1, 0
	v_add_co_ci_u32_e32 v7, vcc_lo, 0, v10, vcc_lo
	v_mul_lo_u32 v1, s7, v12
	v_add_co_u32 v34, vcc_lo, s8, v3
	s_delay_alu instid0(VALU_DEP_3)
	v_mul_lo_u32 v14, s6, v7
	v_mad_u64_u32 v[7:8], null, s6, v12, 0
	v_add3_u32 v6, v6, v13, v11
	v_add_co_ci_u32_e32 v35, vcc_lo, s9, v4, vcc_lo
	v_add_co_u32 v36, vcc_lo, s10, v3
	v_add_co_ci_u32_e32 v37, vcc_lo, s11, v4, vcc_lo
	s_delay_alu instid0(VALU_DEP_4) | instskip(SKIP_3) | instid1(VALU_DEP_4)
	v_lshlrev_b64 v[3:4], 1, v[5:6]
	v_add3_u32 v8, v8, v14, v1
	v_add_co_u32 v1, vcc_lo, v9, 3
	v_add_co_ci_u32_e32 v11, vcc_lo, 0, v10, vcc_lo
	v_add_co_u32 v38, vcc_lo, s8, v3
	s_delay_alu instid0(VALU_DEP_4)
	v_lshlrev_b64 v[5:6], 1, v[7:8]
	v_add_co_ci_u32_e32 v39, vcc_lo, s9, v4, vcc_lo
	v_mul_lo_u32 v12, s7, v1
	v_mul_lo_u32 v11, s6, v11
	v_mad_u64_u32 v[7:8], null, s6, v1, 0
	v_add_co_u32 v40, vcc_lo, s10, v3
	v_add_co_ci_u32_e32 v41, vcc_lo, s11, v4, vcc_lo
	v_add_co_u32 v42, vcc_lo, s8, v5
	v_add_co_ci_u32_e32 v43, vcc_lo, s9, v6, vcc_lo
	v_add_co_u32 v1, vcc_lo, v9, 2
	v_add3_u32 v8, v8, v11, v12
	v_add_co_ci_u32_e32 v11, vcc_lo, 0, v10, vcc_lo
	v_add_co_u32 v44, vcc_lo, s10, v5
	v_add_co_ci_u32_e32 v45, vcc_lo, s11, v6, vcc_lo
	v_mul_lo_u32 v12, s7, v1
	s_delay_alu instid0(VALU_DEP_4)
	v_mul_lo_u32 v11, s6, v11
	v_mad_u64_u32 v[5:6], null, s6, v1, 0
	v_lshlrev_b64 v[3:4], 1, v[7:8]
	v_mul_lo_u32 v1, s7, v9
	v_mul_lo_u32 v10, s6, v10
	v_mad_u64_u32 v[7:8], null, s6, v9, 0
	s_lshl_b64 s[28:29], s[18:19], 1
	s_delay_alu instid0(VALU_DEP_4)
	v_add_co_u32 v46, vcc_lo, s8, v3
	v_add3_u32 v6, v6, v11, v12
	v_add_co_ci_u32_e32 v47, vcc_lo, s9, v4, vcc_lo
	v_add_co_u32 v48, vcc_lo, s10, v3
	v_add3_u32 v8, v8, v10, v1
	v_add_co_ci_u32_e32 v49, vcc_lo, s11, v4, vcc_lo
	v_lshlrev_b64 v[3:4], 1, v[5:6]
	v_add_co_u32 v5, vcc_lo, v7, s6
	s_delay_alu instid0(VALU_DEP_4) | instskip(SKIP_1) | instid1(VALU_DEP_3)
	v_add_co_ci_u32_e32 v6, vcc_lo, s7, v8, vcc_lo
	s_add_u32 s30, s24, 0x7f
	v_add_co_u32 v50, vcc_lo, s8, v3
	s_delay_alu instid0(VALU_DEP_2) | instskip(SKIP_3) | instid1(VALU_DEP_4)
	v_lshlrev_b64 v[5:6], 1, v[5:6]
	v_add_co_ci_u32_e32 v51, vcc_lo, s9, v4, vcc_lo
	v_add_co_u32 v52, vcc_lo, s10, v3
	v_add_co_ci_u32_e32 v53, vcc_lo, s11, v4, vcc_lo
	v_add_co_u32 v54, vcc_lo, s8, v5
	v_lshlrev_b64 v[3:4], 1, v[7:8]
	v_add_co_ci_u32_e32 v55, vcc_lo, s9, v6, vcc_lo
	v_add_co_u32 v56, vcc_lo, s10, v5
	v_add_co_ci_u32_e32 v57, vcc_lo, s11, v6, vcc_lo
	s_delay_alu instid0(VALU_DEP_4)
	v_add_co_u32 v58, vcc_lo, s8, v3
	v_add_co_ci_u32_e32 v59, vcc_lo, s9, v4, vcc_lo
	v_add_co_u32 v60, vcc_lo, s10, v3
	v_add_co_ci_u32_e32 v61, vcc_lo, s11, v4, vcc_lo
	s_addc_u32 s31, 0, 0
.LBB205_3:                              ; =>This Inner Loop Header: Depth=1
	s_delay_alu instid0(SALU_CYCLE_1) | instskip(SKIP_1) | instid1(VALU_DEP_1)
	v_cmp_ge_i64_e64 s3, s[30:31], s[4:5]
	v_add_co_u32 v63, s17, v28, s30
	v_add_co_ci_u32_e64 v64, null, 0, s31, s17
	s_delay_alu instid0(VALU_DEP_3)
	s_and_b32 vcc_lo, exec_lo, s3
	s_cbranch_vccz .LBB205_25
; %bb.4:                                ;   in Loop: Header=BB205_3 Depth=1
	s_load_b32 s3, s[26:27], 0xc
	v_mov_b32_e32 v65, 0
	s_waitcnt lgkmcnt(0)
	s_and_b32 s3, s3, 0xffff
	s_delay_alu instid0(SALU_CYCLE_1) | instskip(SKIP_1) | instid1(VALU_DEP_1)
	v_mad_u32_u24 v1, v27, s3, v29
	s_mov_b32 s3, exec_lo
	v_and_b32_e32 v1, 31, v1
	s_delay_alu instid0(VALU_DEP_1)
	v_cmpx_gt_u32_e32 8, v1
	s_cbranch_execz .LBB205_8
; %bb.5:                                ;   in Loop: Header=BB205_3 Depth=1
	v_add_co_u32 v1, vcc_lo, v63, v1
	v_add_co_ci_u32_e32 v4, vcc_lo, 0, v64, vcc_lo
	v_mov_b32_e32 v65, 0
	s_delay_alu instid0(VALU_DEP_3) | instskip(NEXT) | instid1(VALU_DEP_3)
	v_add_co_u32 v3, vcc_lo, 0xffffff81, v1
	v_add_co_ci_u32_e32 v4, vcc_lo, -1, v4, vcc_lo
	s_mov_b32 s17, exec_lo
	s_delay_alu instid0(VALU_DEP_1)
	v_cmpx_gt_i64_e64 s[4:5], v[3:4]
	s_cbranch_execz .LBB205_7
; %bb.6:                                ;   in Loop: Header=BB205_3 Depth=1
	v_lshlrev_b64 v[3:4], 2, v[3:4]
	s_delay_alu instid0(VALU_DEP_1) | instskip(NEXT) | instid1(VALU_DEP_2)
	v_add_co_u32 v3, vcc_lo, s12, v3
	v_add_co_ci_u32_e32 v4, vcc_lo, s13, v4, vcc_lo
	global_load_b32 v65, v[3:4], off
.LBB205_7:                              ;   in Loop: Header=BB205_3 Depth=1
	s_or_b32 exec_lo, exec_lo, s17
.LBB205_8:                              ;   in Loop: Header=BB205_3 Depth=1
	s_delay_alu instid0(SALU_CYCLE_1)
	s_or_b32 exec_lo, exec_lo, s3
	v_add_co_u32 v3, vcc_lo, 0xffffff81, v63
	v_add_co_ci_u32_e32 v4, vcc_lo, -1, v64, vcc_lo
	s_mov_b32 s22, s16
	s_mov_b32 s23, s16
	;; [unrolled: 1-line block ×7, first 2 shown]
	v_dual_mov_b32 v9, s16 :: v_dual_mov_b32 v10, s17
	v_dual_mov_b32 v15, s22 :: v_dual_mov_b32 v16, s23
	;; [unrolled: 1-line block ×4, first 2 shown]
	v_cmp_gt_i64_e32 vcc_lo, s[4:5], v[3:4]
	s_delay_alu instid0(VALU_DEP_4) | instskip(NEXT) | instid1(VALU_DEP_3)
	v_dual_mov_b32 v24, v16 :: v_dual_mov_b32 v23, v15
	v_dual_mov_b32 v21, v13 :: v_dual_mov_b32 v22, v14
	;; [unrolled: 1-line block ×4, first 2 shown]
	s_and_b32 s17, s2, vcc_lo
	s_delay_alu instid0(SALU_CYCLE_1)
	s_and_saveexec_b32 s3, s17
	s_cbranch_execz .LBB205_10
; %bb.9:                                ;   in Loop: Header=BB205_3 Depth=1
	v_add_co_u32 v3, vcc_lo, v58, v25
	v_add_co_ci_u32_e32 v4, vcc_lo, v59, v26, vcc_lo
	v_add_co_u32 v5, vcc_lo, v60, v25
	v_add_co_ci_u32_e32 v6, vcc_lo, v61, v26, vcc_lo
	v_mov_b32_e32 v8, v2
	global_load_u16 v1, v[3:4], off
	global_load_u16 v9, v[5:6], off
	v_mov_b32_e32 v3, v2
	v_mov_b32_e32 v4, v2
	;; [unrolled: 1-line block ×6, first 2 shown]
	s_waitcnt vmcnt(1)
	v_lshlrev_b32_e32 v1, 16, v1
	s_waitcnt vmcnt(0)
	v_lshlrev_b32_e32 v9, 16, v9
	v_dual_mov_b32 v11, v2 :: v_dual_mov_b32 v24, v8
	v_dual_mov_b32 v10, v2 :: v_dual_mov_b32 v23, v7
	;; [unrolled: 1-line block ×6, first 2 shown]
	v_mov_b32_e32 v22, v6
	v_mov_b32_e32 v18, v2
.LBB205_10:                             ;   in Loop: Header=BB205_3 Depth=1
	s_or_b32 exec_lo, exec_lo, s3
	v_add_co_u32 v3, vcc_lo, 0xffffff82, v63
	v_add_co_ci_u32_e32 v4, vcc_lo, -1, v64, vcc_lo
	s_delay_alu instid0(VALU_DEP_1) | instskip(SKIP_1) | instid1(SALU_CYCLE_1)
	v_cmp_gt_i64_e32 vcc_lo, s[4:5], v[3:4]
	s_and_b32 s17, s2, vcc_lo
	s_and_saveexec_b32 s3, s17
	s_cbranch_execz .LBB205_12
; %bb.11:                               ;   in Loop: Header=BB205_3 Depth=1
	v_add_co_u32 v3, vcc_lo, v54, v25
	v_add_co_ci_u32_e32 v4, vcc_lo, v55, v26, vcc_lo
	v_add_co_u32 v5, vcc_lo, v56, v25
	v_add_co_ci_u32_e32 v6, vcc_lo, v57, v26, vcc_lo
	global_load_u16 v1, v[3:4], off
	global_load_u16 v3, v[5:6], off
	s_waitcnt vmcnt(1)
	v_lshlrev_b32_e32 v18, 16, v1
	s_waitcnt vmcnt(0)
	v_lshlrev_b32_e32 v10, 16, v3
.LBB205_12:                             ;   in Loop: Header=BB205_3 Depth=1
	s_or_b32 exec_lo, exec_lo, s3
	v_add_co_u32 v3, vcc_lo, 0xffffff83, v63
	v_add_co_ci_u32_e32 v4, vcc_lo, -1, v64, vcc_lo
	s_delay_alu instid0(VALU_DEP_1) | instskip(SKIP_1) | instid1(SALU_CYCLE_1)
	v_cmp_gt_i64_e32 vcc_lo, s[4:5], v[3:4]
	s_and_b32 s17, s2, vcc_lo
	s_and_saveexec_b32 s3, s17
	s_cbranch_execz .LBB205_14
; %bb.13:                               ;   in Loop: Header=BB205_3 Depth=1
	v_add_co_u32 v3, vcc_lo, v50, v25
	v_add_co_ci_u32_e32 v4, vcc_lo, v51, v26, vcc_lo
	v_add_co_u32 v5, vcc_lo, v52, v25
	v_add_co_ci_u32_e32 v6, vcc_lo, v53, v26, vcc_lo
	global_load_u16 v1, v[3:4], off
	global_load_u16 v3, v[5:6], off
	s_waitcnt vmcnt(1)
	v_lshlrev_b32_e32 v19, 16, v1
	s_waitcnt vmcnt(0)
	v_lshlrev_b32_e32 v11, 16, v3
.LBB205_14:                             ;   in Loop: Header=BB205_3 Depth=1
	s_or_b32 exec_lo, exec_lo, s3
	v_add_co_u32 v3, vcc_lo, 0xffffff84, v63
	v_add_co_ci_u32_e32 v4, vcc_lo, -1, v64, vcc_lo
	s_delay_alu instid0(VALU_DEP_1) | instskip(SKIP_1) | instid1(SALU_CYCLE_1)
	v_cmp_gt_i64_e32 vcc_lo, s[4:5], v[3:4]
	s_and_b32 s17, s2, vcc_lo
	s_and_saveexec_b32 s3, s17
	s_cbranch_execz .LBB205_16
; %bb.15:                               ;   in Loop: Header=BB205_3 Depth=1
	v_add_co_u32 v3, vcc_lo, v46, v25
	v_add_co_ci_u32_e32 v4, vcc_lo, v47, v26, vcc_lo
	v_add_co_u32 v5, vcc_lo, v48, v25
	v_add_co_ci_u32_e32 v6, vcc_lo, v49, v26, vcc_lo
	global_load_u16 v1, v[3:4], off
	global_load_u16 v3, v[5:6], off
	s_waitcnt vmcnt(1)
	v_lshlrev_b32_e32 v20, 16, v1
	s_waitcnt vmcnt(0)
	v_lshlrev_b32_e32 v12, 16, v3
.LBB205_16:                             ;   in Loop: Header=BB205_3 Depth=1
	s_or_b32 exec_lo, exec_lo, s3
	v_add_co_u32 v3, vcc_lo, 0xffffff85, v63
	v_add_co_ci_u32_e32 v4, vcc_lo, -1, v64, vcc_lo
	s_delay_alu instid0(VALU_DEP_1) | instskip(SKIP_1) | instid1(SALU_CYCLE_1)
	v_cmp_gt_i64_e32 vcc_lo, s[4:5], v[3:4]
	s_and_b32 s17, s2, vcc_lo
	s_and_saveexec_b32 s3, s17
	s_cbranch_execz .LBB205_18
; %bb.17:                               ;   in Loop: Header=BB205_3 Depth=1
	v_add_co_u32 v3, vcc_lo, v42, v25
	v_add_co_ci_u32_e32 v4, vcc_lo, v43, v26, vcc_lo
	v_add_co_u32 v5, vcc_lo, v44, v25
	v_add_co_ci_u32_e32 v6, vcc_lo, v45, v26, vcc_lo
	global_load_u16 v1, v[3:4], off
	global_load_u16 v3, v[5:6], off
	s_waitcnt vmcnt(1)
	v_lshlrev_b32_e32 v21, 16, v1
	s_waitcnt vmcnt(0)
	v_lshlrev_b32_e32 v13, 16, v3
.LBB205_18:                             ;   in Loop: Header=BB205_3 Depth=1
	s_or_b32 exec_lo, exec_lo, s3
	v_add_co_u32 v3, vcc_lo, 0xffffff86, v63
	v_add_co_ci_u32_e32 v4, vcc_lo, -1, v64, vcc_lo
	s_delay_alu instid0(VALU_DEP_1) | instskip(SKIP_1) | instid1(SALU_CYCLE_1)
	v_cmp_gt_i64_e32 vcc_lo, s[4:5], v[3:4]
	s_and_b32 s17, s2, vcc_lo
	s_and_saveexec_b32 s3, s17
	s_cbranch_execz .LBB205_20
; %bb.19:                               ;   in Loop: Header=BB205_3 Depth=1
	v_add_co_u32 v3, vcc_lo, v38, v25
	v_add_co_ci_u32_e32 v4, vcc_lo, v39, v26, vcc_lo
	v_add_co_u32 v5, vcc_lo, v40, v25
	v_add_co_ci_u32_e32 v6, vcc_lo, v41, v26, vcc_lo
	global_load_u16 v1, v[3:4], off
	global_load_u16 v3, v[5:6], off
	s_waitcnt vmcnt(1)
	v_lshlrev_b32_e32 v22, 16, v1
	s_waitcnt vmcnt(0)
	v_lshlrev_b32_e32 v14, 16, v3
.LBB205_20:                             ;   in Loop: Header=BB205_3 Depth=1
	s_or_b32 exec_lo, exec_lo, s3
	v_add_co_u32 v3, vcc_lo, 0xffffff87, v63
	v_add_co_ci_u32_e32 v4, vcc_lo, -1, v64, vcc_lo
	s_delay_alu instid0(VALU_DEP_1) | instskip(SKIP_1) | instid1(SALU_CYCLE_1)
	v_cmp_gt_i64_e32 vcc_lo, s[4:5], v[3:4]
	s_and_b32 s17, s2, vcc_lo
	s_and_saveexec_b32 s3, s17
	s_cbranch_execz .LBB205_22
; %bb.21:                               ;   in Loop: Header=BB205_3 Depth=1
	v_add_co_u32 v3, vcc_lo, v34, v25
	v_add_co_ci_u32_e32 v4, vcc_lo, v35, v26, vcc_lo
	v_add_co_u32 v5, vcc_lo, v36, v25
	v_add_co_ci_u32_e32 v6, vcc_lo, v37, v26, vcc_lo
	global_load_u16 v1, v[3:4], off
	global_load_u16 v3, v[5:6], off
	s_waitcnt vmcnt(1)
	v_lshlrev_b32_e32 v23, 16, v1
	s_waitcnt vmcnt(0)
	v_lshlrev_b32_e32 v15, 16, v3
.LBB205_22:                             ;   in Loop: Header=BB205_3 Depth=1
	s_or_b32 exec_lo, exec_lo, s3
	v_add_co_u32 v3, vcc_lo, 0xffffff88, v63
	v_add_co_ci_u32_e32 v4, vcc_lo, -1, v64, vcc_lo
	s_delay_alu instid0(VALU_DEP_1) | instskip(SKIP_1) | instid1(SALU_CYCLE_1)
	v_cmp_gt_i64_e32 vcc_lo, s[4:5], v[3:4]
	s_and_b32 s17, s2, vcc_lo
	s_and_saveexec_b32 s3, s17
	s_cbranch_execz .LBB205_24
; %bb.23:                               ;   in Loop: Header=BB205_3 Depth=1
	v_add_co_u32 v3, vcc_lo, v30, v25
	v_add_co_ci_u32_e32 v4, vcc_lo, v31, v26, vcc_lo
	v_add_co_u32 v5, vcc_lo, v32, v25
	v_add_co_ci_u32_e32 v6, vcc_lo, v33, v26, vcc_lo
	global_load_u16 v1, v[3:4], off
	global_load_u16 v3, v[5:6], off
	s_waitcnt vmcnt(1)
	v_lshlrev_b32_e32 v24, 16, v1
	s_waitcnt vmcnt(0)
	v_lshlrev_b32_e32 v16, 16, v3
.LBB205_24:                             ;   in Loop: Header=BB205_3 Depth=1
	s_or_b32 exec_lo, exec_lo, s3
	s_waitcnt vmcnt(0)
	ds_bpermute_b32 v1, v2, v65
	ds_bpermute_b32 v3, v2, v65 offset:4
	ds_bpermute_b32 v4, v2, v65 offset:8
	v_mul_f32_e32 v5, v9, v17
	ds_bpermute_b32 v6, v2, v65 offset:12
	v_mul_f32_e32 v7, v10, v18
	ds_bpermute_b32 v8, v2, v65 offset:16
	ds_bpermute_b32 v9, v2, v65 offset:20
	s_waitcnt lgkmcnt(5)
	v_fma_f32 v1, v5, v1, v62
	v_mul_f32_e32 v5, v11, v19
	s_waitcnt lgkmcnt(4)
	s_delay_alu instid0(VALU_DEP_2) | instskip(SKIP_2) | instid1(VALU_DEP_2)
	v_fmac_f32_e32 v1, v7, v3
	v_mul_f32_e32 v3, v12, v20
	s_waitcnt lgkmcnt(3)
	v_fmac_f32_e32 v1, v5, v4
	ds_bpermute_b32 v4, v2, v65 offset:24
	v_mul_f32_e32 v5, v13, v21
	s_waitcnt lgkmcnt(3)
	v_fmac_f32_e32 v1, v3, v6
	v_mul_f32_e32 v6, v14, v22
	ds_bpermute_b32 v3, v2, v65 offset:28
	s_waitcnt lgkmcnt(3)
	v_fmac_f32_e32 v1, v5, v8
	v_mul_f32_e32 v5, v15, v23
	s_waitcnt lgkmcnt(2)
	s_delay_alu instid0(VALU_DEP_2) | instskip(SKIP_1) | instid1(VALU_DEP_1)
	v_fmac_f32_e32 v1, v6, v9
	s_waitcnt lgkmcnt(1)
	v_fmac_f32_e32 v1, v5, v4
	s_branch .LBB205_40
.LBB205_25:                             ;   in Loop: Header=BB205_3 Depth=1
                                        ; implicit-def: $vgpr1
                                        ; implicit-def: $vgpr9_vgpr10_vgpr11_vgpr12_vgpr13_vgpr14_vgpr15_vgpr16
                                        ; implicit-def: $vgpr17_vgpr18_vgpr19_vgpr20_vgpr21_vgpr22_vgpr23_vgpr24
                                        ; implicit-def: $vgpr3
	s_cbranch_execz .LBB205_40
; %bb.26:                               ;   in Loop: Header=BB205_3 Depth=1
	s_load_b32 s3, s[26:27], 0x0
	v_mov_b32_e32 v65, 0
	s_waitcnt lgkmcnt(0)
	s_cmp_lt_u32 s14, s3
	s_cselect_b32 s3, 12, 18
	s_delay_alu instid0(SALU_CYCLE_1)
	s_add_u32 s18, s26, s3
	s_addc_u32 s19, s27, 0
	s_mov_b32 s3, exec_lo
	global_load_u16 v1, v2, s[18:19]
	s_waitcnt vmcnt(0)
	v_mad_u32_u24 v1, v27, v1, v29
	s_delay_alu instid0(VALU_DEP_1) | instskip(NEXT) | instid1(VALU_DEP_1)
	v_and_b32_e32 v1, 31, v1
	v_cmpx_gt_u32_e32 8, v1
	s_cbranch_execz .LBB205_30
; %bb.27:                               ;   in Loop: Header=BB205_3 Depth=1
	v_add_co_u32 v1, vcc_lo, v63, v1
	v_add_co_ci_u32_e32 v4, vcc_lo, 0, v64, vcc_lo
	v_mov_b32_e32 v65, 0
	s_delay_alu instid0(VALU_DEP_3) | instskip(NEXT) | instid1(VALU_DEP_3)
	v_add_co_u32 v3, vcc_lo, 0xffffff81, v1
	v_add_co_ci_u32_e32 v4, vcc_lo, -1, v4, vcc_lo
	s_mov_b32 s17, exec_lo
	s_delay_alu instid0(VALU_DEP_1)
	v_cmpx_gt_i64_e64 s[4:5], v[3:4]
	s_cbranch_execz .LBB205_29
; %bb.28:                               ;   in Loop: Header=BB205_3 Depth=1
	v_lshlrev_b64 v[3:4], 2, v[3:4]
	s_delay_alu instid0(VALU_DEP_1) | instskip(NEXT) | instid1(VALU_DEP_2)
	v_add_co_u32 v3, vcc_lo, s12, v3
	v_add_co_ci_u32_e32 v4, vcc_lo, s13, v4, vcc_lo
	global_load_b32 v65, v[3:4], off
.LBB205_29:                             ;   in Loop: Header=BB205_3 Depth=1
	s_or_b32 exec_lo, exec_lo, s17
.LBB205_30:                             ;   in Loop: Header=BB205_3 Depth=1
	s_delay_alu instid0(SALU_CYCLE_1)
	s_or_b32 exec_lo, exec_lo, s3
	s_mov_b32 s22, s16
	s_mov_b32 s23, s16
	;; [unrolled: 1-line block ×7, first 2 shown]
	v_dual_mov_b32 v9, s16 :: v_dual_mov_b32 v10, s17
	v_dual_mov_b32 v15, s22 :: v_dual_mov_b32 v16, s23
	;; [unrolled: 1-line block ×4, first 2 shown]
	s_delay_alu instid0(VALU_DEP_3) | instskip(NEXT) | instid1(VALU_DEP_3)
	v_dual_mov_b32 v24, v16 :: v_dual_mov_b32 v23, v15
	v_dual_mov_b32 v20, v12 :: v_dual_mov_b32 v19, v11
	s_delay_alu instid0(VALU_DEP_3)
	v_dual_mov_b32 v22, v14 :: v_dual_mov_b32 v21, v13
	v_dual_mov_b32 v18, v10 :: v_dual_mov_b32 v17, v9
	s_and_saveexec_b32 s3, s2
	s_cbranch_execnz .LBB205_42
; %bb.31:                               ;   in Loop: Header=BB205_3 Depth=1
	s_or_b32 exec_lo, exec_lo, s3
	s_and_saveexec_b32 s3, s2
	s_cbranch_execnz .LBB205_43
.LBB205_32:                             ;   in Loop: Header=BB205_3 Depth=1
	s_or_b32 exec_lo, exec_lo, s3
	s_and_saveexec_b32 s3, s2
	s_cbranch_execnz .LBB205_44
.LBB205_33:                             ;   in Loop: Header=BB205_3 Depth=1
	s_or_b32 exec_lo, exec_lo, s3
	s_and_saveexec_b32 s3, s2
	s_cbranch_execnz .LBB205_45
.LBB205_34:                             ;   in Loop: Header=BB205_3 Depth=1
	s_or_b32 exec_lo, exec_lo, s3
	s_and_saveexec_b32 s3, s2
	s_cbranch_execnz .LBB205_46
.LBB205_35:                             ;   in Loop: Header=BB205_3 Depth=1
	s_or_b32 exec_lo, exec_lo, s3
	s_and_saveexec_b32 s3, s2
	s_cbranch_execnz .LBB205_47
.LBB205_36:                             ;   in Loop: Header=BB205_3 Depth=1
	s_or_b32 exec_lo, exec_lo, s3
	s_and_saveexec_b32 s3, s2
	s_cbranch_execnz .LBB205_48
.LBB205_37:                             ;   in Loop: Header=BB205_3 Depth=1
	s_or_b32 exec_lo, exec_lo, s3
	s_and_saveexec_b32 s3, s2
	s_cbranch_execz .LBB205_39
.LBB205_38:                             ;   in Loop: Header=BB205_3 Depth=1
	v_add_co_u32 v3, vcc_lo, v30, v25
	v_add_co_ci_u32_e32 v4, vcc_lo, v31, v26, vcc_lo
	v_add_co_u32 v5, vcc_lo, v32, v25
	v_add_co_ci_u32_e32 v6, vcc_lo, v33, v26, vcc_lo
	global_load_u16 v1, v[3:4], off
	global_load_u16 v3, v[5:6], off
	s_waitcnt vmcnt(1)
	v_lshlrev_b32_e32 v24, 16, v1
	s_waitcnt vmcnt(0)
	v_lshlrev_b32_e32 v16, 16, v3
.LBB205_39:                             ;   in Loop: Header=BB205_3 Depth=1
	s_or_b32 exec_lo, exec_lo, s3
	s_waitcnt vmcnt(0)
	ds_bpermute_b32 v1, v2, v65
	ds_bpermute_b32 v3, v2, v65 offset:4
	ds_bpermute_b32 v4, v2, v65 offset:8
	;; [unrolled: 1-line block ×3, first 2 shown]
	v_mul_f32_e32 v7, v10, v18
	v_mul_f32_e32 v5, v9, v17
	ds_bpermute_b32 v8, v2, v65 offset:16
	s_waitcnt lgkmcnt(4)
	v_dual_fmac_f32 v62, v5, v1 :: v_dual_mul_f32 v1, v11, v19
	ds_bpermute_b32 v5, v2, v65 offset:20
	s_waitcnt lgkmcnt(4)
	v_dual_fmac_f32 v62, v7, v3 :: v_dual_mul_f32 v3, v12, v20
	s_waitcnt lgkmcnt(3)
	s_delay_alu instid0(VALU_DEP_1)
	v_fmac_f32_e32 v62, v1, v4
	ds_bpermute_b32 v1, v2, v65 offset:24
	v_mul_f32_e32 v4, v13, v21
	s_waitcnt lgkmcnt(3)
	v_fmac_f32_e32 v62, v3, v6
	v_mul_f32_e32 v6, v14, v22
	ds_bpermute_b32 v3, v2, v65 offset:28
	s_waitcnt lgkmcnt(3)
	v_fmac_f32_e32 v62, v4, v8
	v_mul_f32_e32 v4, v15, v23
	s_waitcnt lgkmcnt(2)
	s_delay_alu instid0(VALU_DEP_2) | instskip(SKIP_1) | instid1(VALU_DEP_1)
	v_fmac_f32_e32 v62, v6, v5
	s_waitcnt lgkmcnt(1)
	v_fmac_f32_e32 v62, v4, v1
	s_delay_alu instid0(VALU_DEP_1)
	v_mov_b32_e32 v1, v62
.LBB205_40:                             ;   in Loop: Header=BB205_3 Depth=1
	v_add_co_u32 v30, vcc_lo, v30, s28
	v_add_co_ci_u32_e32 v31, vcc_lo, s29, v31, vcc_lo
	v_add_co_u32 v32, vcc_lo, v32, s28
	v_add_co_ci_u32_e32 v33, vcc_lo, s29, v33, vcc_lo
	;; [unrolled: 2-line block ×13, first 2 shown]
	v_add_co_u32 v56, vcc_lo, v56, s28
	s_add_u32 s34, s34, s36
	v_add_co_ci_u32_e32 v57, vcc_lo, s29, v57, vcc_lo
	v_mul_f32_e32 v4, v24, v16
	s_addc_u32 s35, s35, 0
	v_add_co_u32 v58, vcc_lo, v58, s28
	v_cmp_lt_i64_e64 s3, s[34:35], s[4:5]
	v_add_co_ci_u32_e32 v59, vcc_lo, s29, v59, vcc_lo
	v_add_co_u32 v60, vcc_lo, v60, s28
	s_waitcnt lgkmcnt(0)
	v_fmac_f32_e32 v1, v4, v3
	v_add_co_ci_u32_e32 v61, vcc_lo, s29, v61, vcc_lo
	s_add_u32 s30, s30, s36
	s_addc_u32 s31, s31, 0
	s_and_b32 vcc_lo, exec_lo, s3
	s_cbranch_vccz .LBB205_50
; %bb.41:                               ;   in Loop: Header=BB205_3 Depth=1
	v_mov_b32_e32 v62, v1
	s_branch .LBB205_3
.LBB205_42:                             ;   in Loop: Header=BB205_3 Depth=1
	v_add_co_u32 v3, vcc_lo, v58, v25
	v_add_co_ci_u32_e32 v4, vcc_lo, v59, v26, vcc_lo
	v_add_co_u32 v5, vcc_lo, v60, v25
	v_add_co_ci_u32_e32 v6, vcc_lo, v61, v26, vcc_lo
	v_mov_b32_e32 v8, v2
	global_load_u16 v1, v[3:4], off
	global_load_u16 v9, v[5:6], off
	v_mov_b32_e32 v3, v2
	v_mov_b32_e32 v4, v2
	;; [unrolled: 1-line block ×6, first 2 shown]
	s_waitcnt vmcnt(1)
	v_lshlrev_b32_e32 v1, 16, v1
	s_waitcnt vmcnt(0)
	v_lshlrev_b32_e32 v9, 16, v9
	v_dual_mov_b32 v11, v2 :: v_dual_mov_b32 v24, v8
	v_dual_mov_b32 v10, v2 :: v_dual_mov_b32 v23, v7
	;; [unrolled: 1-line block ×6, first 2 shown]
	v_mov_b32_e32 v22, v6
	v_mov_b32_e32 v18, v2
	s_or_b32 exec_lo, exec_lo, s3
	s_and_saveexec_b32 s3, s2
	s_cbranch_execz .LBB205_32
.LBB205_43:                             ;   in Loop: Header=BB205_3 Depth=1
	v_add_co_u32 v3, vcc_lo, v54, v25
	v_add_co_ci_u32_e32 v4, vcc_lo, v55, v26, vcc_lo
	v_add_co_u32 v5, vcc_lo, v56, v25
	v_add_co_ci_u32_e32 v6, vcc_lo, v57, v26, vcc_lo
	global_load_u16 v1, v[3:4], off
	global_load_u16 v3, v[5:6], off
	s_waitcnt vmcnt(1)
	v_lshlrev_b32_e32 v18, 16, v1
	s_waitcnt vmcnt(0)
	v_lshlrev_b32_e32 v10, 16, v3
	s_or_b32 exec_lo, exec_lo, s3
	s_and_saveexec_b32 s3, s2
	s_cbranch_execz .LBB205_33
.LBB205_44:                             ;   in Loop: Header=BB205_3 Depth=1
	v_add_co_u32 v3, vcc_lo, v50, v25
	v_add_co_ci_u32_e32 v4, vcc_lo, v51, v26, vcc_lo
	v_add_co_u32 v5, vcc_lo, v52, v25
	v_add_co_ci_u32_e32 v6, vcc_lo, v53, v26, vcc_lo
	global_load_u16 v1, v[3:4], off
	global_load_u16 v3, v[5:6], off
	s_waitcnt vmcnt(1)
	v_lshlrev_b32_e32 v19, 16, v1
	s_waitcnt vmcnt(0)
	v_lshlrev_b32_e32 v11, 16, v3
	s_or_b32 exec_lo, exec_lo, s3
	s_and_saveexec_b32 s3, s2
	s_cbranch_execz .LBB205_34
.LBB205_45:                             ;   in Loop: Header=BB205_3 Depth=1
	v_add_co_u32 v3, vcc_lo, v46, v25
	v_add_co_ci_u32_e32 v4, vcc_lo, v47, v26, vcc_lo
	v_add_co_u32 v5, vcc_lo, v48, v25
	v_add_co_ci_u32_e32 v6, vcc_lo, v49, v26, vcc_lo
	global_load_u16 v1, v[3:4], off
	global_load_u16 v3, v[5:6], off
	s_waitcnt vmcnt(1)
	v_lshlrev_b32_e32 v20, 16, v1
	s_waitcnt vmcnt(0)
	v_lshlrev_b32_e32 v12, 16, v3
	s_or_b32 exec_lo, exec_lo, s3
	s_and_saveexec_b32 s3, s2
	s_cbranch_execz .LBB205_35
.LBB205_46:                             ;   in Loop: Header=BB205_3 Depth=1
	v_add_co_u32 v3, vcc_lo, v42, v25
	v_add_co_ci_u32_e32 v4, vcc_lo, v43, v26, vcc_lo
	v_add_co_u32 v5, vcc_lo, v44, v25
	v_add_co_ci_u32_e32 v6, vcc_lo, v45, v26, vcc_lo
	global_load_u16 v1, v[3:4], off
	global_load_u16 v3, v[5:6], off
	s_waitcnt vmcnt(1)
	v_lshlrev_b32_e32 v21, 16, v1
	s_waitcnt vmcnt(0)
	v_lshlrev_b32_e32 v13, 16, v3
	s_or_b32 exec_lo, exec_lo, s3
	s_and_saveexec_b32 s3, s2
	s_cbranch_execz .LBB205_36
.LBB205_47:                             ;   in Loop: Header=BB205_3 Depth=1
	v_add_co_u32 v3, vcc_lo, v38, v25
	v_add_co_ci_u32_e32 v4, vcc_lo, v39, v26, vcc_lo
	v_add_co_u32 v5, vcc_lo, v40, v25
	v_add_co_ci_u32_e32 v6, vcc_lo, v41, v26, vcc_lo
	global_load_u16 v1, v[3:4], off
	global_load_u16 v3, v[5:6], off
	s_waitcnt vmcnt(1)
	v_lshlrev_b32_e32 v22, 16, v1
	s_waitcnt vmcnt(0)
	v_lshlrev_b32_e32 v14, 16, v3
	s_or_b32 exec_lo, exec_lo, s3
	s_and_saveexec_b32 s3, s2
	s_cbranch_execz .LBB205_37
.LBB205_48:                             ;   in Loop: Header=BB205_3 Depth=1
	v_add_co_u32 v3, vcc_lo, v34, v25
	v_add_co_ci_u32_e32 v4, vcc_lo, v35, v26, vcc_lo
	v_add_co_u32 v5, vcc_lo, v36, v25
	v_add_co_ci_u32_e32 v6, vcc_lo, v37, v26, vcc_lo
	global_load_u16 v1, v[3:4], off
	global_load_u16 v3, v[5:6], off
	s_waitcnt vmcnt(1)
	v_lshlrev_b32_e32 v23, 16, v1
	s_waitcnt vmcnt(0)
	v_lshlrev_b32_e32 v15, 16, v3
	s_or_b32 exec_lo, exec_lo, s3
	s_and_saveexec_b32 s3, s2
	s_cbranch_execnz .LBB205_38
	s_branch .LBB205_39
.LBB205_49:
                                        ; implicit-def: $vgpr1
	s_branch .LBB205_51
.LBB205_50:
	s_cbranch_execnz .LBB205_83
.LBB205_51:
	v_mov_b32_e32 v1, 0
	s_and_not1_b32 vcc_lo, exec_lo, s15
	s_cbranch_vccnz .LBB205_83
; %bb.52:
	s_load_b32 s2, s[0:1], 0x44
	v_dual_mov_b32 v2, 0 :: v_dual_and_b32 v55, 0x3ff, v0
	v_bfe_u32 v56, v0, 10, 10
	s_add_u32 s26, s0, 64
	s_addc_u32 s27, s1, 0
	s_delay_alu instid0(VALU_DEP_2) | instskip(NEXT) | instid1(VALU_DEP_2)
	v_dual_mov_b32 v90, 0 :: v_dual_add_nc_u32 v1, s33, v55
	v_lshlrev_b32_e32 v3, 4, v56
	v_lshlrev_b32_e32 v57, 3, v56
	s_delay_alu instid0(VALU_DEP_3)
	v_lshlrev_b64 v[25:26], 1, v[1:2]
	s_waitcnt lgkmcnt(0)
	s_lshl_b32 s15, s2, 7
	s_add_u32 s28, s24, 0x7f
	s_addc_u32 s29, 0, 0
	s_lshl_b64 s[2:3], s[24:25], 1
	s_mul_i32 s16, s7, s15
	v_add_co_u32 v1, s2, v3, s2
	s_delay_alu instid0(VALU_DEP_1) | instskip(SKIP_1) | instid1(VALU_DEP_3)
	v_add_co_ci_u32_e64 v3, null, 0, s3, s2
	v_add_co_u32 v74, s3, v57, s24
	v_add_co_u32 v7, vcc_lo, v1, 2
	s_delay_alu instid0(VALU_DEP_3) | instskip(SKIP_3) | instid1(VALU_DEP_4)
	v_add_co_ci_u32_e32 v4, vcc_lo, 0, v3, vcc_lo
	v_add_co_u32 v8, vcc_lo, v1, 4
	v_add_co_ci_u32_e32 v5, vcc_lo, 0, v3, vcc_lo
	v_add_co_u32 v11, vcc_lo, v1, 6
	v_mul_lo_u32 v9, s6, v4
	v_add_co_ci_u32_e32 v4, vcc_lo, 0, v3, vcc_lo
	v_add_co_u32 v14, vcc_lo, v1, 8
	v_mul_lo_u32 v12, s6, v5
	;; [unrolled: 3-line block ×4, first 2 shown]
	v_add_co_ci_u32_e32 v5, vcc_lo, 0, v3, vcc_lo
	v_add_co_ci_u32_e64 v75, null, 0, 0, s3
	v_add_co_u32 v1, vcc_lo, v1, 14
	v_mul_lo_u32 v21, s6, v4
	s_delay_alu instid0(VALU_DEP_4) | instskip(SKIP_4) | instid1(VALU_DEP_4)
	v_mul_lo_u32 v23, s6, v5
	v_add_co_ci_u32_e32 v5, vcc_lo, 0, v3, vcc_lo
	v_mul_lo_u32 v6, s7, v74
	v_mul_lo_u32 v41, s6, v75
	v_mad_u64_u32 v[3:4], null, s6, v74, 0
	v_mul_lo_u32 v60, s6, v5
	v_mad_u64_u32 v[27:28], null, s6, v7, s[8:9]
	;; [unrolled: 2-line block ×3, first 2 shown]
	v_add3_u32 v4, v4, v41, v6
	v_mad_u64_u32 v[41:42], null, s6, v7, s[10:11]
	v_mul_lo_u32 v13, s7, v8
	v_mad_u64_u32 v[43:44], null, s6, v8, s[10:11]
	s_delay_alu instid0(VALU_DEP_4)
	v_lshlrev_b64 v[5:6], 1, v[3:4]
	v_add3_u32 v28, v10, v28, v9
	v_mad_u64_u32 v[31:32], null, s6, v11, s[8:9]
	v_add3_u32 v42, v10, v42, v9
	v_add3_u32 v30, v13, v30, v12
	v_add_co_u32 v58, vcc_lo, s8, v5
	v_add_co_ci_u32_e32 v59, vcc_lo, s9, v6, vcc_lo
	v_add_co_u32 v9, vcc_lo, v74, 7
	v_add_co_ci_u32_e32 v7, vcc_lo, 0, v75, vcc_lo
	v_add3_u32 v44, v13, v44, v12
	v_add_co_u32 v12, vcc_lo, v74, 6
	v_mul_lo_u32 v16, s7, v11
	v_mad_u64_u32 v[39:40], null, s6, v1, s[8:9]
	v_mul_lo_u32 v61, s7, v1
	v_mad_u64_u32 v[45:46], null, s6, v11, s[10:11]
	v_mad_u64_u32 v[53:54], null, s6, v1, s[10:11]
	v_mul_lo_u32 v1, s7, v9
	v_mul_lo_u32 v11, s6, v7
	v_mad_u64_u32 v[7:8], null, s6, v9, 0
	v_add_co_ci_u32_e32 v10, vcc_lo, 0, v75, vcc_lo
	v_mad_u64_u32 v[33:34], null, s6, v14, s[8:9]
	v_mul_lo_u32 v19, s7, v14
	v_mad_u64_u32 v[47:48], null, s6, v14, s[10:11]
	v_mul_lo_u32 v13, s7, v12
	v_mul_lo_u32 v14, s6, v10
	v_mad_u64_u32 v[9:10], null, s6, v12, 0
	v_add3_u32 v8, v8, v11, v1
	v_add3_u32 v40, v61, v40, v60
	v_add3_u32 v54, v61, v54, v60
	v_add_co_u32 v60, vcc_lo, s10, v5
	v_add_co_ci_u32_e32 v61, vcc_lo, s11, v6, vcc_lo
	v_lshlrev_b64 v[5:6], 1, v[7:8]
	v_add3_u32 v10, v10, v14, v13
	v_add_co_u32 v1, vcc_lo, v74, 5
	v_add_co_ci_u32_e32 v11, vcc_lo, 0, v75, vcc_lo
	s_delay_alu instid0(VALU_DEP_4) | instskip(NEXT) | instid1(VALU_DEP_4)
	v_add_co_u32 v62, vcc_lo, s8, v5
	v_lshlrev_b64 v[7:8], 1, v[9:10]
	v_add_co_ci_u32_e32 v63, vcc_lo, s9, v6, vcc_lo
	v_mul_lo_u32 v12, s7, v1
	v_mul_lo_u32 v11, s6, v11
	v_mad_u64_u32 v[9:10], null, s6, v1, 0
	v_add_co_u32 v64, vcc_lo, s10, v5
	v_add_co_ci_u32_e32 v65, vcc_lo, s11, v6, vcc_lo
	v_add_co_u32 v66, vcc_lo, s8, v7
	v_add_co_ci_u32_e32 v67, vcc_lo, s9, v8, vcc_lo
	s_mul_hi_u32 s2, s6, s15
	v_add_co_u32 v1, vcc_lo, v74, 4
	v_add3_u32 v10, v10, v11, v12
	s_add_i32 s3, s2, s16
	v_add_co_u32 v68, s2, s10, v7
	v_add_co_ci_u32_e32 v7, vcc_lo, 0, v75, vcc_lo
	v_add_co_u32 v12, vcc_lo, v74, 3
	v_lshlrev_b64 v[5:6], 1, v[9:10]
	v_add_co_ci_u32_e32 v9, vcc_lo, 0, v75, vcc_lo
	v_add_co_ci_u32_e64 v69, s2, s11, v8, s2
	v_mul_lo_u32 v11, s7, v1
	v_mul_lo_u32 v13, s6, v7
	v_mad_u64_u32 v[7:8], null, s6, v1, 0
	v_mul_lo_u32 v1, s7, v12
	v_mul_lo_u32 v14, s6, v9
	v_mad_u64_u32 v[9:10], null, s6, v12, 0
	v_add_co_u32 v70, vcc_lo, s8, v5
	v_add_co_ci_u32_e32 v71, vcc_lo, s9, v6, vcc_lo
	v_add3_u32 v8, v8, v13, v11
	v_add_co_u32 v72, vcc_lo, s10, v5
	v_add_co_ci_u32_e32 v73, vcc_lo, s11, v6, vcc_lo
	v_add3_u32 v10, v10, v14, v1
	v_add_co_u32 v1, vcc_lo, v74, 2
	v_lshlrev_b64 v[5:6], 1, v[7:8]
	v_add_co_ci_u32_e32 v11, vcc_lo, 0, v75, vcc_lo
	s_delay_alu instid0(VALU_DEP_4) | instskip(NEXT) | instid1(VALU_DEP_4)
	v_lshlrev_b64 v[7:8], 1, v[9:10]
	v_mul_lo_u32 v12, s7, v1
	v_mad_u64_u32 v[9:10], null, s6, v1, 0
	v_add_co_u32 v74, vcc_lo, s8, v5
	v_mul_lo_u32 v11, s6, v11
	v_add_co_ci_u32_e32 v75, vcc_lo, s9, v6, vcc_lo
	v_add_co_u32 v76, vcc_lo, s10, v5
	v_add_co_ci_u32_e32 v77, vcc_lo, s11, v6, vcc_lo
	v_add_co_u32 v78, vcc_lo, s8, v7
	v_add_co_ci_u32_e32 v79, vcc_lo, s9, v8, vcc_lo
	v_add3_u32 v10, v10, v11, v12
	v_add_co_u32 v80, vcc_lo, s10, v7
	v_add_co_ci_u32_e32 v81, vcc_lo, s11, v8, vcc_lo
	v_add_co_u32 v3, vcc_lo, v3, s6
	s_delay_alu instid0(VALU_DEP_4) | instskip(SKIP_3) | instid1(VALU_DEP_4)
	v_lshlrev_b64 v[5:6], 1, v[9:10]
	v_add_co_ci_u32_e32 v4, vcc_lo, s7, v4, vcc_lo
	v_mad_u64_u32 v[35:36], null, s6, v18, s[8:9]
	v_mul_lo_u32 v22, s7, v18
	v_add_co_u32 v82, vcc_lo, s8, v5
	s_delay_alu instid0(VALU_DEP_4)
	v_lshlrev_b64 v[3:4], 1, v[3:4]
	v_add_co_ci_u32_e32 v83, vcc_lo, s9, v6, vcc_lo
	v_mad_u64_u32 v[37:38], null, s6, v20, s[8:9]
	v_mul_lo_u32 v24, s7, v20
	v_mad_u64_u32 v[49:50], null, s6, v18, s[10:11]
	v_mad_u64_u32 v[51:52], null, s6, v20, s[10:11]
	v_add_co_u32 v84, vcc_lo, s10, v5
	v_add_co_ci_u32_e32 v85, vcc_lo, s11, v6, vcc_lo
	v_add_co_u32 v86, vcc_lo, s8, v3
	v_add_co_ci_u32_e32 v87, vcc_lo, s9, v4, vcc_lo
	v_add_co_u32 v88, vcc_lo, s10, v3
	v_add3_u32 v32, v16, v32, v15
	v_add3_u32 v34, v19, v34, v17
	;; [unrolled: 1-line block ×8, first 2 shown]
	v_add_co_ci_u32_e32 v89, vcc_lo, s11, v4, vcc_lo
	s_mul_i32 s2, s6, s15
	s_mov_b32 s16, 0
	s_lshl_b64 s[2:3], s[2:3], 1
.LBB205_53:                             ; =>This Inner Loop Header: Depth=1
	v_cmp_ge_i64_e64 s8, s[28:29], s[4:5]
	v_add_co_u32 v91, s9, v57, s28
	s_delay_alu instid0(VALU_DEP_1) | instskip(NEXT) | instid1(VALU_DEP_3)
	v_add_co_ci_u32_e64 v92, null, 0, s29, s9
	s_and_b32 vcc_lo, exec_lo, s8
	s_cbranch_vccz .LBB205_75
; %bb.54:                               ;   in Loop: Header=BB205_53 Depth=1
	s_load_b32 s8, s[26:27], 0xc
	v_mov_b32_e32 v93, 0
	s_waitcnt lgkmcnt(0)
	s_and_b32 s8, s8, 0xffff
	s_delay_alu instid0(SALU_CYCLE_1) | instskip(SKIP_1) | instid1(VALU_DEP_1)
	v_mad_u32_u24 v1, v56, s8, v55
	s_mov_b32 s8, exec_lo
	v_and_b32_e32 v1, 31, v1
	s_delay_alu instid0(VALU_DEP_1)
	v_cmpx_gt_u32_e32 8, v1
	s_cbranch_execz .LBB205_58
; %bb.55:                               ;   in Loop: Header=BB205_53 Depth=1
	v_add_co_u32 v1, vcc_lo, v91, v1
	v_add_co_ci_u32_e32 v4, vcc_lo, 0, v92, vcc_lo
	v_mov_b32_e32 v93, 0
	s_delay_alu instid0(VALU_DEP_3) | instskip(NEXT) | instid1(VALU_DEP_3)
	v_add_co_u32 v3, vcc_lo, 0xffffff81, v1
	v_add_co_ci_u32_e32 v4, vcc_lo, -1, v4, vcc_lo
	s_mov_b32 s9, exec_lo
	s_delay_alu instid0(VALU_DEP_1)
	v_cmpx_gt_i64_e64 s[4:5], v[3:4]
	s_cbranch_execz .LBB205_57
; %bb.56:                               ;   in Loop: Header=BB205_53 Depth=1
	v_lshlrev_b64 v[3:4], 2, v[3:4]
	s_delay_alu instid0(VALU_DEP_1) | instskip(NEXT) | instid1(VALU_DEP_2)
	v_add_co_u32 v3, vcc_lo, s12, v3
	v_add_co_ci_u32_e32 v4, vcc_lo, s13, v4, vcc_lo
	global_load_b32 v93, v[3:4], off
.LBB205_57:                             ;   in Loop: Header=BB205_53 Depth=1
	s_or_b32 exec_lo, exec_lo, s9
.LBB205_58:                             ;   in Loop: Header=BB205_53 Depth=1
	s_delay_alu instid0(SALU_CYCLE_1)
	s_or_b32 exec_lo, exec_lo, s8
	s_mov_b32 s22, s16
	s_mov_b32 s23, s16
	;; [unrolled: 1-line block ×7, first 2 shown]
	v_dual_mov_b32 v9, s16 :: v_dual_mov_b32 v10, s17
	v_dual_mov_b32 v15, s22 :: v_dual_mov_b32 v16, s23
	v_dual_mov_b32 v11, s18 :: v_dual_mov_b32 v12, s19
	v_dual_mov_b32 v13, s20 :: v_dual_mov_b32 v14, s21
	v_add_co_u32 v3, vcc_lo, 0xffffff81, v91
	s_delay_alu instid0(VALU_DEP_4) | instskip(SKIP_1) | instid1(VALU_DEP_4)
	v_dual_mov_b32 v24, v16 :: v_dual_mov_b32 v23, v15
	v_add_co_ci_u32_e32 v4, vcc_lo, -1, v92, vcc_lo
	v_dual_mov_b32 v22, v14 :: v_dual_mov_b32 v21, v13
	v_dual_mov_b32 v20, v12 :: v_dual_mov_b32 v19, v11
	;; [unrolled: 1-line block ×3, first 2 shown]
	s_mov_b32 s8, exec_lo
	v_cmpx_gt_i64_e64 s[4:5], v[3:4]
	s_cbranch_execz .LBB205_60
; %bb.59:                               ;   in Loop: Header=BB205_53 Depth=1
	v_add_co_u32 v3, vcc_lo, v58, v25
	v_add_co_ci_u32_e32 v4, vcc_lo, v59, v26, vcc_lo
	v_add_co_u32 v5, vcc_lo, v60, v25
	v_add_co_ci_u32_e32 v6, vcc_lo, v61, v26, vcc_lo
	v_mov_b32_e32 v8, v2
	global_load_u16 v1, v[3:4], off
	global_load_u16 v9, v[5:6], off
	v_mov_b32_e32 v3, v2
	v_mov_b32_e32 v4, v2
	;; [unrolled: 1-line block ×6, first 2 shown]
	s_waitcnt vmcnt(1)
	v_lshlrev_b32_e32 v1, 16, v1
	s_waitcnt vmcnt(0)
	v_lshlrev_b32_e32 v9, 16, v9
	v_dual_mov_b32 v11, v2 :: v_dual_mov_b32 v24, v8
	v_dual_mov_b32 v10, v2 :: v_dual_mov_b32 v23, v7
	;; [unrolled: 1-line block ×6, first 2 shown]
	v_mov_b32_e32 v22, v6
	v_mov_b32_e32 v18, v2
.LBB205_60:                             ;   in Loop: Header=BB205_53 Depth=1
	s_or_b32 exec_lo, exec_lo, s8
	v_add_co_u32 v3, vcc_lo, 0xffffff82, v91
	v_add_co_ci_u32_e32 v4, vcc_lo, -1, v92, vcc_lo
	s_mov_b32 s8, exec_lo
	s_delay_alu instid0(VALU_DEP_1)
	v_cmpx_gt_i64_e64 s[4:5], v[3:4]
	s_cbranch_execz .LBB205_62
; %bb.61:                               ;   in Loop: Header=BB205_53 Depth=1
	v_add_co_u32 v3, vcc_lo, v86, v25
	v_add_co_ci_u32_e32 v4, vcc_lo, v87, v26, vcc_lo
	v_add_co_u32 v5, vcc_lo, v88, v25
	v_add_co_ci_u32_e32 v6, vcc_lo, v89, v26, vcc_lo
	global_load_u16 v1, v[3:4], off
	global_load_u16 v3, v[5:6], off
	s_waitcnt vmcnt(1)
	v_lshlrev_b32_e32 v18, 16, v1
	s_waitcnt vmcnt(0)
	v_lshlrev_b32_e32 v10, 16, v3
.LBB205_62:                             ;   in Loop: Header=BB205_53 Depth=1
	s_or_b32 exec_lo, exec_lo, s8
	v_add_co_u32 v3, vcc_lo, 0xffffff83, v91
	v_add_co_ci_u32_e32 v4, vcc_lo, -1, v92, vcc_lo
	s_mov_b32 s8, exec_lo
	s_delay_alu instid0(VALU_DEP_1)
	v_cmpx_gt_i64_e64 s[4:5], v[3:4]
	s_cbranch_execz .LBB205_64
; %bb.63:                               ;   in Loop: Header=BB205_53 Depth=1
	v_add_co_u32 v3, vcc_lo, v82, v25
	v_add_co_ci_u32_e32 v4, vcc_lo, v83, v26, vcc_lo
	v_add_co_u32 v5, vcc_lo, v84, v25
	v_add_co_ci_u32_e32 v6, vcc_lo, v85, v26, vcc_lo
	global_load_u16 v1, v[3:4], off
	global_load_u16 v3, v[5:6], off
	s_waitcnt vmcnt(1)
	v_lshlrev_b32_e32 v19, 16, v1
	s_waitcnt vmcnt(0)
	v_lshlrev_b32_e32 v11, 16, v3
.LBB205_64:                             ;   in Loop: Header=BB205_53 Depth=1
	;; [unrolled: 19-line block ×7, first 2 shown]
	s_or_b32 exec_lo, exec_lo, s8
	s_waitcnt vmcnt(0)
	ds_bpermute_b32 v1, v2, v93
	ds_bpermute_b32 v3, v2, v93 offset:4
	ds_bpermute_b32 v4, v2, v93 offset:8
	v_mul_f32_e32 v5, v9, v17
	ds_bpermute_b32 v6, v2, v93 offset:12
	v_mul_f32_e32 v7, v10, v18
	ds_bpermute_b32 v8, v2, v93 offset:16
	ds_bpermute_b32 v9, v2, v93 offset:20
	s_waitcnt lgkmcnt(5)
	v_fma_f32 v1, v5, v1, v90
	v_mul_f32_e32 v5, v11, v19
	s_waitcnt lgkmcnt(4)
	s_delay_alu instid0(VALU_DEP_2)
	v_fmac_f32_e32 v1, v7, v3
	v_mul_f32_e32 v3, v12, v20
	ds_bpermute_b32 v7, v2, v93 offset:24
	s_waitcnt lgkmcnt(4)
	v_fmac_f32_e32 v1, v5, v4
	v_dual_mul_f32 v4, v13, v21 :: v_dual_mul_f32 v5, v14, v22
	s_waitcnt lgkmcnt(3)
	s_delay_alu instid0(VALU_DEP_2) | instskip(SKIP_4) | instid1(VALU_DEP_1)
	v_fmac_f32_e32 v1, v3, v6
	ds_bpermute_b32 v3, v2, v93 offset:28
	s_waitcnt lgkmcnt(3)
	v_dual_fmac_f32 v1, v4, v8 :: v_dual_mul_f32 v4, v15, v23
	s_waitcnt lgkmcnt(2)
	v_fmac_f32_e32 v1, v5, v9
	s_waitcnt lgkmcnt(1)
	s_delay_alu instid0(VALU_DEP_1) | instskip(SKIP_2) | instid1(VALU_DEP_1)
	v_fmac_f32_e32 v1, v4, v7
	v_mul_f32_e32 v4, v16, v24
	s_waitcnt lgkmcnt(0)
	v_fmac_f32_e32 v1, v4, v3
	s_branch .LBB205_81
.LBB205_75:                             ;   in Loop: Header=BB205_53 Depth=1
                                        ; implicit-def: $vgpr1
	s_cbranch_execz .LBB205_81
; %bb.76:                               ;   in Loop: Header=BB205_53 Depth=1
	s_load_b32 s8, s[26:27], 0x0
	s_waitcnt lgkmcnt(0)
	s_cmp_lt_u32 s14, s8
	s_cselect_b32 s8, 12, 18
	s_delay_alu instid0(SALU_CYCLE_1)
	s_add_u32 s8, s26, s8
	s_addc_u32 s9, s27, 0
	global_load_u16 v1, v2, s[8:9]
	s_mov_b32 s8, exec_lo
	s_waitcnt vmcnt(0)
	v_mad_u32_u24 v1, v56, v1, v55
	s_delay_alu instid0(VALU_DEP_1) | instskip(SKIP_1) | instid1(VALU_DEP_2)
	v_and_b32_e32 v3, 31, v1
	v_mov_b32_e32 v1, 0
	v_cmpx_gt_u32_e32 8, v3
	s_cbranch_execz .LBB205_80
; %bb.77:                               ;   in Loop: Header=BB205_53 Depth=1
	v_add_co_u32 v1, vcc_lo, v91, v3
	v_add_co_ci_u32_e32 v4, vcc_lo, 0, v92, vcc_lo
	s_mov_b32 s9, exec_lo
	s_delay_alu instid0(VALU_DEP_2) | instskip(NEXT) | instid1(VALU_DEP_2)
	v_add_co_u32 v3, vcc_lo, 0xffffff81, v1
	v_add_co_ci_u32_e32 v4, vcc_lo, -1, v4, vcc_lo
	v_mov_b32_e32 v1, 0
	s_delay_alu instid0(VALU_DEP_2)
	v_cmpx_gt_i64_e64 s[4:5], v[3:4]
	s_cbranch_execz .LBB205_79
; %bb.78:                               ;   in Loop: Header=BB205_53 Depth=1
	v_lshlrev_b64 v[3:4], 2, v[3:4]
	s_delay_alu instid0(VALU_DEP_1) | instskip(NEXT) | instid1(VALU_DEP_2)
	v_add_co_u32 v3, vcc_lo, s12, v3
	v_add_co_ci_u32_e32 v4, vcc_lo, s13, v4, vcc_lo
	global_load_b32 v1, v[3:4], off
.LBB205_79:                             ;   in Loop: Header=BB205_53 Depth=1
	s_or_b32 exec_lo, exec_lo, s9
.LBB205_80:                             ;   in Loop: Header=BB205_53 Depth=1
	s_delay_alu instid0(SALU_CYCLE_1)
	s_or_b32 exec_lo, exec_lo, s8
	v_add_co_u32 v3, vcc_lo, v58, v25
	v_add_co_ci_u32_e32 v4, vcc_lo, v59, v26, vcc_lo
	v_add_co_u32 v5, vcc_lo, v60, v25
	v_add_co_ci_u32_e32 v6, vcc_lo, v61, v26, vcc_lo
	v_add_co_u32 v7, vcc_lo, v27, v25
	v_add_co_ci_u32_e32 v8, vcc_lo, v28, v26, vcc_lo
	v_add_co_u32 v9, vcc_lo, v41, v25
	v_add_co_ci_u32_e32 v10, vcc_lo, v42, v26, vcc_lo
	global_load_u16 v13, v[3:4], off
	global_load_u16 v14, v[5:6], off
	;; [unrolled: 1-line block ×4, first 2 shown]
	v_add_co_u32 v3, vcc_lo, v29, v25
	v_add_co_ci_u32_e32 v4, vcc_lo, v30, v26, vcc_lo
	v_add_co_u32 v5, vcc_lo, v43, v25
	v_add_co_ci_u32_e32 v6, vcc_lo, v44, v26, vcc_lo
	global_load_u16 v17, v[3:4], off
	v_add_co_u32 v3, vcc_lo, v31, v25
	v_add_co_ci_u32_e32 v4, vcc_lo, v32, v26, vcc_lo
	v_add_co_u32 v7, vcc_lo, v45, v25
	v_add_co_ci_u32_e32 v8, vcc_lo, v46, v26, vcc_lo
	;; [unrolled: 2-line block ×4, first 2 shown]
	global_load_u16 v18, v[5:6], off
	global_load_u16 v19, v[3:4], off
	global_load_u16 v20, v[7:8], off
	global_load_u16 v21, v[9:10], off
	global_load_u16 v11, v[11:12], off
	v_add_co_u32 v3, vcc_lo, v35, v25
	v_add_co_ci_u32_e32 v4, vcc_lo, v36, v26, vcc_lo
	v_add_co_u32 v5, vcc_lo, v49, v25
	v_add_co_ci_u32_e32 v6, vcc_lo, v50, v26, vcc_lo
	v_add_co_u32 v7, vcc_lo, v37, v25
	v_add_co_ci_u32_e32 v8, vcc_lo, v38, v26, vcc_lo
	v_add_co_u32 v9, vcc_lo, v51, v25
	v_add_co_ci_u32_e32 v10, vcc_lo, v52, v26, vcc_lo
	global_load_u16 v12, v[3:4], off
	global_load_u16 v22, v[5:6], off
	;; [unrolled: 1-line block ×4, first 2 shown]
	v_add_co_u32 v3, vcc_lo, v53, v25
	v_add_co_ci_u32_e32 v4, vcc_lo, v54, v26, vcc_lo
	v_add_co_u32 v5, vcc_lo, v39, v25
	v_add_co_ci_u32_e32 v6, vcc_lo, v40, v26, vcc_lo
	global_load_u16 v3, v[3:4], off
	global_load_u16 v4, v[5:6], off
	s_waitcnt vmcnt(16)
	ds_bpermute_b32 v5, v2, v1
	ds_bpermute_b32 v6, v2, v1 offset:4
	ds_bpermute_b32 v9, v2, v1 offset:8
	s_waitcnt vmcnt(13)
	v_lshlrev_b32_e32 v15, 16, v15
	s_waitcnt vmcnt(11)
	v_lshlrev_b32_e32 v17, 16, v17
	;; [unrolled: 2-line block ×3, first 2 shown]
	v_lshlrev_b32_e32 v18, 16, v18
	s_delay_alu instid0(VALU_DEP_1) | instskip(NEXT) | instid1(VALU_DEP_1)
	v_dual_mul_f32 v17, v17, v18 :: v_dual_lshlrev_b32 v16, 16, v16
	v_dual_mul_f32 v15, v15, v16 :: v_dual_lshlrev_b32 v10, 16, v14
	v_lshlrev_b32_e32 v13, 16, v13
	ds_bpermute_b32 v14, v2, v1 offset:12
	v_mul_f32_e32 v10, v13, v10
	ds_bpermute_b32 v13, v2, v1 offset:16
	s_waitcnt vmcnt(3)
	v_lshlrev_b32_e32 v7, 16, v7
	s_waitcnt vmcnt(2)
	v_lshlrev_b32_e32 v8, 16, v8
	v_lshlrev_b32_e32 v16, 16, v19
	s_waitcnt lgkmcnt(4)
	v_fmac_f32_e32 v90, v10, v5
	ds_bpermute_b32 v5, v2, v1 offset:20
	v_mul_f32_e32 v7, v7, v8
	s_waitcnt lgkmcnt(4)
	v_fmac_f32_e32 v90, v15, v6
	ds_bpermute_b32 v6, v2, v1 offset:24
	ds_bpermute_b32 v1, v2, v1 offset:28
	s_waitcnt vmcnt(1)
	v_lshlrev_b32_e32 v3, 16, v3
	s_waitcnt vmcnt(0)
	v_lshlrev_b32_e32 v4, 16, v4
	s_waitcnt lgkmcnt(5)
	v_dual_fmac_f32 v90, v17, v9 :: v_dual_lshlrev_b32 v9, 16, v22
	s_delay_alu instid0(VALU_DEP_2) | instskip(NEXT) | instid1(VALU_DEP_1)
	v_dual_mul_f32 v3, v4, v3 :: v_dual_lshlrev_b32 v12, 16, v12
	v_dual_mul_f32 v9, v12, v9 :: v_dual_lshlrev_b32 v10, 16, v20
	s_delay_alu instid0(VALU_DEP_1) | instskip(SKIP_1) | instid1(VALU_DEP_1)
	v_dual_mul_f32 v10, v16, v10 :: v_dual_lshlrev_b32 v15, 16, v21
	s_waitcnt lgkmcnt(4)
	v_dual_fmac_f32 v90, v10, v14 :: v_dual_mul_f32 v11, v15, v11
	s_waitcnt lgkmcnt(3)
	s_delay_alu instid0(VALU_DEP_1) | instskip(SKIP_1) | instid1(VALU_DEP_1)
	v_fmac_f32_e32 v90, v11, v13
	s_waitcnt lgkmcnt(2)
	v_fmac_f32_e32 v90, v9, v5
	s_waitcnt lgkmcnt(1)
	s_delay_alu instid0(VALU_DEP_1) | instskip(SKIP_1) | instid1(VALU_DEP_1)
	v_fmac_f32_e32 v90, v7, v6
	s_waitcnt lgkmcnt(0)
	v_fmac_f32_e32 v90, v3, v1
	s_delay_alu instid0(VALU_DEP_1)
	v_mov_b32_e32 v1, v90
.LBB205_81:                             ;   in Loop: Header=BB205_53 Depth=1
	v_add_co_u32 v27, vcc_lo, v27, s2
	v_add_co_ci_u32_e32 v28, vcc_lo, s3, v28, vcc_lo
	v_add_co_u32 v29, vcc_lo, v29, s2
	v_add_co_ci_u32_e32 v30, vcc_lo, s3, v30, vcc_lo
	;; [unrolled: 2-line block ×27, first 2 shown]
	v_add_co_u32 v84, vcc_lo, v84, s2
	s_add_u32 s24, s24, s15
	v_add_co_ci_u32_e32 v85, vcc_lo, s3, v85, vcc_lo
	s_addc_u32 s25, s25, 0
	v_add_co_u32 v86, vcc_lo, v86, s2
	v_cmp_ge_i64_e64 s8, s[24:25], s[4:5]
	v_add_co_ci_u32_e32 v87, vcc_lo, s3, v87, vcc_lo
	v_add_co_u32 v88, vcc_lo, v88, s2
	v_add_co_ci_u32_e32 v89, vcc_lo, s3, v89, vcc_lo
	s_add_u32 s28, s28, s15
	s_addc_u32 s29, s29, 0
	s_and_b32 vcc_lo, exec_lo, s8
	s_cbranch_vccnz .LBB205_83
; %bb.82:                               ;   in Loop: Header=BB205_53 Depth=1
	v_mov_b32_e32 v90, v1
	s_branch .LBB205_53
.LBB205_83:
	v_and_b32_e32 v2, 0x3ff, v0
	v_bfe_u32 v0, v0, 10, 10
	s_mov_b32 s15, 0
	s_mov_b32 s2, exec_lo
	v_mov_b32_e32 v6, 0
	v_lshrrev_b32_e32 v3, 5, v2
	v_mad_u32_u24 v4, v0, 33, v2
	s_delay_alu instid0(VALU_DEP_2) | instskip(NEXT) | instid1(VALU_DEP_2)
	v_add_nc_u32_e32 v5, v3, v0
	v_lshl_add_u32 v4, v4, 2, 0
	ds_store_b32 v4, v1
	ds_store_b32 v4, v6 offset:2112
	s_waitcnt lgkmcnt(0)
	s_barrier
	buffer_gl0_inv
	v_cmpx_gt_u32_e32 32, v5
	s_cbranch_execz .LBB205_90
; %bb.84:
	v_mbcnt_lo_u32_b32 v6, -1, 0
	v_and_b32_e32 v1, 31, v2
	s_load_b64 s[2:3], s[0:1], 0x30
	v_cmp_ne_u32_e32 vcc_lo, 0, v2
	s_lshl_b64 s[4:5], s[14:15], 5
	v_xor_b32_e32 v4, 8, v6
	v_xor_b32_e32 v2, 4, v6
	;; [unrolled: 1-line block ×3, first 2 shown]
	v_cmp_gt_u32_e64 s0, 16, v1
	v_mul_u32_u24_e32 v8, 0x84, v1
	v_cmp_gt_i32_e64 s1, 32, v4
	v_xor_b32_e32 v10, 1, v6
	v_lshlrev_b32_e32 v11, 2, v5
	s_delay_alu instid0(VALU_DEP_3) | instskip(SKIP_1) | instid1(VALU_DEP_3)
	v_cndmask_b32_e64 v4, v6, v4, s1
	v_cmp_gt_i32_e64 s1, 32, v2
	v_add3_u32 v8, v8, v11, 0
	s_delay_alu instid0(VALU_DEP_2) | instskip(SKIP_3) | instid1(VALU_DEP_3)
	v_cndmask_b32_e64 v9, v6, v2, s1
	v_add_co_u32 v3, s1, v3, v0
	v_lshlrev_b32_e32 v2, 2, v4
	v_add_co_ci_u32_e64 v4, null, 0, 0, s1
	v_add_co_u32 v0, s1, v3, s4
	v_lshlrev_b32_e32 v5, 2, v9
	s_delay_alu instid0(VALU_DEP_3) | instskip(SKIP_3) | instid1(VALU_DEP_2)
	v_add_co_ci_u32_e64 v1, s1, s5, v4, s1
	v_cmp_gt_i32_e64 s1, 32, v7
	s_waitcnt lgkmcnt(0)
	s_cmp_eq_u64 s[2:3], 0
                                        ; implicit-def: $vgpr9
	v_lshlrev_b64 v[0:1], 1, v[0:1]
	s_delay_alu instid0(VALU_DEP_2) | instskip(SKIP_1) | instid1(VALU_DEP_1)
	v_cndmask_b32_e64 v7, v6, v7, s1
	v_cmp_gt_i32_e64 s1, 32, v10
	v_cndmask_b32_e64 v10, v6, v10, s1
	s_delay_alu instid0(VALU_DEP_4) | instskip(NEXT) | instid1(VALU_DEP_4)
	v_add_co_u32 v0, s1, s2, v0
	v_lshlrev_b32_e32 v6, 2, v7
	v_add_co_ci_u32_e64 v1, s1, s3, v1, s1
	s_delay_alu instid0(VALU_DEP_4)
	v_lshlrev_b32_e32 v7, 2, v10
	s_cselect_b32 s3, -1, 0
	s_branch .LBB205_86
.LBB205_85:                             ;   in Loop: Header=BB205_86 Depth=1
	s_or_b32 exec_lo, exec_lo, s2
	v_add_co_u32 v3, s1, v3, 16
	s_delay_alu instid0(VALU_DEP_1) | instskip(SKIP_1) | instid1(VALU_DEP_3)
	v_add_co_ci_u32_e64 v4, s1, 0, v4, s1
	v_add_co_u32 v0, s2, v0, 32
	v_add_nc_u32_e32 v10, -16, v3
	v_add_nc_u32_e32 v8, 64, v8
	v_add_co_ci_u32_e64 v1, s2, 0, v1, s2
	s_delay_alu instid0(VALU_DEP_3) | instskip(NEXT) | instid1(VALU_DEP_1)
	v_cmp_lt_u32_e64 s1, 15, v10
	s_or_b32 s15, s1, s15
	s_delay_alu instid0(SALU_CYCLE_1)
	s_and_not1_b32 exec_lo, exec_lo, s15
	s_cbranch_execz .LBB205_90
.LBB205_86:                             ; =>This Inner Loop Header: Depth=1
	s_and_saveexec_b32 s1, s0
	s_cbranch_execz .LBB205_88
; %bb.87:                               ;   in Loop: Header=BB205_86 Depth=1
	ds_load_b32 v9, v8
.LBB205_88:                             ;   in Loop: Header=BB205_86 Depth=1
	s_or_b32 exec_lo, exec_lo, s1
	s_waitcnt lgkmcnt(0)
	ds_bpermute_b32 v10, v2, v9
	s_waitcnt lgkmcnt(0)
	v_add_f32_e32 v9, v9, v10
	ds_bpermute_b32 v10, v5, v9
	s_waitcnt lgkmcnt(0)
	v_add_f32_e32 v9, v9, v10
	;; [unrolled: 3-line block ×3, first 2 shown]
	v_add_co_u32 v9, s1, s4, v3
	s_delay_alu instid0(VALU_DEP_1) | instskip(SKIP_2) | instid1(VALU_DEP_1)
	v_add_co_ci_u32_e64 v10, s1, s5, v4, s1
	ds_bpermute_b32 v12, v7, v11
	v_cmp_le_i64_e64 s1, s[6:7], v[9:10]
	s_or_b32 s1, vcc_lo, s1
	s_delay_alu instid0(SALU_CYCLE_1) | instskip(NEXT) | instid1(SALU_CYCLE_1)
	s_or_b32 s1, s3, s1
	s_xor_b32 s1, s1, -1
	s_waitcnt lgkmcnt(0)
	v_add_f32_e32 v9, v11, v12
	s_and_saveexec_b32 s2, s1
	s_cbranch_execz .LBB205_85
; %bb.89:                               ;   in Loop: Header=BB205_86 Depth=1
	s_delay_alu instid0(VALU_DEP_1) | instskip(SKIP_1) | instid1(VALU_DEP_2)
	v_bfe_u32 v10, v9, 16, 1
	v_cmp_o_f32_e64 s1, v9, v9
	v_add3_u32 v10, v9, v10, 0x7fff
	s_delay_alu instid0(VALU_DEP_1) | instskip(NEXT) | instid1(VALU_DEP_1)
	v_lshrrev_b32_e32 v10, 16, v10
	v_cndmask_b32_e64 v10, 0x7fc0, v10, s1
	global_store_b16 v[0:1], v10, off
	s_branch .LBB205_85
.LBB205_90:
	s_nop 0
	s_sendmsg sendmsg(MSG_DEALLOC_VGPRS)
	s_endpgm
	.section	.rodata,"a",@progbits
	.p2align	6, 0x0
	.amdhsa_kernel _ZN2at6native12_GLOBAL__N_135GammaBetaBackwardCUDAKernelTemplateIN3c108BFloat16EfLj32ELj16ELj128ELb0ELb0ELb1EEEvllPKT_S7_PKT0_SA_PS5_SB_
		.amdhsa_group_segment_fixed_size 0
		.amdhsa_private_segment_fixed_size 0
		.amdhsa_kernarg_size 320
		.amdhsa_user_sgpr_count 14
		.amdhsa_user_sgpr_dispatch_ptr 0
		.amdhsa_user_sgpr_queue_ptr 0
		.amdhsa_user_sgpr_kernarg_segment_ptr 1
		.amdhsa_user_sgpr_dispatch_id 0
		.amdhsa_user_sgpr_private_segment_size 0
		.amdhsa_wavefront_size32 1
		.amdhsa_uses_dynamic_stack 0
		.amdhsa_enable_private_segment 0
		.amdhsa_system_sgpr_workgroup_id_x 1
		.amdhsa_system_sgpr_workgroup_id_y 1
		.amdhsa_system_sgpr_workgroup_id_z 0
		.amdhsa_system_sgpr_workgroup_info 0
		.amdhsa_system_vgpr_workitem_id 1
		.amdhsa_next_free_vgpr 94
		.amdhsa_next_free_sgpr 37
		.amdhsa_reserve_vcc 1
		.amdhsa_float_round_mode_32 0
		.amdhsa_float_round_mode_16_64 0
		.amdhsa_float_denorm_mode_32 3
		.amdhsa_float_denorm_mode_16_64 3
		.amdhsa_dx10_clamp 1
		.amdhsa_ieee_mode 1
		.amdhsa_fp16_overflow 0
		.amdhsa_workgroup_processor_mode 1
		.amdhsa_memory_ordered 1
		.amdhsa_forward_progress 0
		.amdhsa_shared_vgpr_count 0
		.amdhsa_exception_fp_ieee_invalid_op 0
		.amdhsa_exception_fp_denorm_src 0
		.amdhsa_exception_fp_ieee_div_zero 0
		.amdhsa_exception_fp_ieee_overflow 0
		.amdhsa_exception_fp_ieee_underflow 0
		.amdhsa_exception_fp_ieee_inexact 0
		.amdhsa_exception_int_div_zero 0
	.end_amdhsa_kernel
	.section	.text._ZN2at6native12_GLOBAL__N_135GammaBetaBackwardCUDAKernelTemplateIN3c108BFloat16EfLj32ELj16ELj128ELb0ELb0ELb1EEEvllPKT_S7_PKT0_SA_PS5_SB_,"axG",@progbits,_ZN2at6native12_GLOBAL__N_135GammaBetaBackwardCUDAKernelTemplateIN3c108BFloat16EfLj32ELj16ELj128ELb0ELb0ELb1EEEvllPKT_S7_PKT0_SA_PS5_SB_,comdat
.Lfunc_end205:
	.size	_ZN2at6native12_GLOBAL__N_135GammaBetaBackwardCUDAKernelTemplateIN3c108BFloat16EfLj32ELj16ELj128ELb0ELb0ELb1EEEvllPKT_S7_PKT0_SA_PS5_SB_, .Lfunc_end205-_ZN2at6native12_GLOBAL__N_135GammaBetaBackwardCUDAKernelTemplateIN3c108BFloat16EfLj32ELj16ELj128ELb0ELb0ELb1EEEvllPKT_S7_PKT0_SA_PS5_SB_
                                        ; -- End function
	.section	.AMDGPU.csdata,"",@progbits
; Kernel info:
; codeLenInByte = 7908
; NumSgprs: 39
; NumVgprs: 94
; ScratchSize: 0
; MemoryBound: 0
; FloatMode: 240
; IeeeMode: 1
; LDSByteSize: 0 bytes/workgroup (compile time only)
; SGPRBlocks: 4
; VGPRBlocks: 11
; NumSGPRsForWavesPerEU: 39
; NumVGPRsForWavesPerEU: 94
; Occupancy: 16
; WaveLimiterHint : 0
; COMPUTE_PGM_RSRC2:SCRATCH_EN: 0
; COMPUTE_PGM_RSRC2:USER_SGPR: 14
; COMPUTE_PGM_RSRC2:TRAP_HANDLER: 0
; COMPUTE_PGM_RSRC2:TGID_X_EN: 1
; COMPUTE_PGM_RSRC2:TGID_Y_EN: 1
; COMPUTE_PGM_RSRC2:TGID_Z_EN: 0
; COMPUTE_PGM_RSRC2:TIDIG_COMP_CNT: 1
	.section	.text._ZN2at6native12_GLOBAL__N_135GammaBetaBackwardCUDAKernelTemplateIN3c108BFloat16EfLj32ELj32ELj256ELb0ELb1ELb1EEEvllPKT_S7_PKT0_SA_PS5_SB_,"axG",@progbits,_ZN2at6native12_GLOBAL__N_135GammaBetaBackwardCUDAKernelTemplateIN3c108BFloat16EfLj32ELj32ELj256ELb0ELb1ELb1EEEvllPKT_S7_PKT0_SA_PS5_SB_,comdat
	.globl	_ZN2at6native12_GLOBAL__N_135GammaBetaBackwardCUDAKernelTemplateIN3c108BFloat16EfLj32ELj32ELj256ELb0ELb1ELb1EEEvllPKT_S7_PKT0_SA_PS5_SB_ ; -- Begin function _ZN2at6native12_GLOBAL__N_135GammaBetaBackwardCUDAKernelTemplateIN3c108BFloat16EfLj32ELj32ELj256ELb0ELb1ELb1EEEvllPKT_S7_PKT0_SA_PS5_SB_
	.p2align	8
	.type	_ZN2at6native12_GLOBAL__N_135GammaBetaBackwardCUDAKernelTemplateIN3c108BFloat16EfLj32ELj32ELj256ELb0ELb1ELb1EEEvllPKT_S7_PKT0_SA_PS5_SB_,@function
_ZN2at6native12_GLOBAL__N_135GammaBetaBackwardCUDAKernelTemplateIN3c108BFloat16EfLj32ELj32ELj256ELb0ELb1ELb1EEEvllPKT_S7_PKT0_SA_PS5_SB_: ; @_ZN2at6native12_GLOBAL__N_135GammaBetaBackwardCUDAKernelTemplateIN3c108BFloat16EfLj32ELj32ELj256ELb0ELb1ELb1EEEvllPKT_S7_PKT0_SA_PS5_SB_
; %bb.0:
	s_load_b128 s[4:7], s[0:1], 0x0
	s_mov_b32 s13, 0
	s_lshl_b32 s12, s15, 8
	v_bfe_u32 v7, v0, 10, 10
	s_waitcnt lgkmcnt(0)
	v_cmp_lt_i64_e64 s2, s[12:13], s[4:5]
	s_delay_alu instid0(VALU_DEP_1)
	s_and_b32 vcc_lo, exec_lo, s2
	s_cbranch_vccnz .LBB206_2
; %bb.1:
	v_bfe_u32 v1, v0, 10, 10
	s_mov_b32 s8, 0
	s_mov_b32 s9, s13
	s_branch .LBB206_3
.LBB206_2:
	s_mov_b32 s9, -1
                                        ; implicit-def: $sgpr8
                                        ; implicit-def: $vgpr1
.LBB206_3:
	s_load_b64 s[2:3], s[0:1], 0x30
	v_dual_mov_b32 v15, s8 :: v_dual_and_b32 v6, 0x3ff, v0
	s_and_not1_b32 vcc_lo, exec_lo, s9
	s_cbranch_vccnz .LBB206_11
; %bb.4:
	s_clause 0x3
	s_load_b32 s15, s[0:1], 0x4c
	s_load_b32 s16, s[0:1], 0x44
	s_load_b128 s[8:11], s[0:1], 0x10
	s_load_b64 s[18:19], s[0:1], 0x28
	v_dual_mov_b32 v1, 0 :: v_dual_lshlrev_b32 v2, 3, v7
	v_lshl_add_u32 v0, s14, 5, v6
	v_dual_mov_b32 v8, 4 :: v_dual_mov_b32 v9, 8
	s_delay_alu instid0(VALU_DEP_3) | instskip(NEXT) | instid1(VALU_DEP_1)
	v_add_co_u32 v2, s1, v2, s12
	v_add_co_ci_u32_e64 v3, null, 0, 0, s1
	s_delay_alu instid0(VALU_DEP_4) | instskip(NEXT) | instid1(VALU_DEP_3)
	v_lshlrev_b64 v[15:16], 1, v[0:1]
	v_mul_lo_u32 v17, s7, v2
	v_dual_mov_b32 v10, 12 :: v_dual_mov_b32 v11, 16
	s_delay_alu instid0(VALU_DEP_4)
	v_mul_lo_u32 v18, s6, v3
	v_dual_mov_b32 v13, 24 :: v_dual_mov_b32 v14, 28
	s_waitcnt lgkmcnt(0)
	s_and_b32 s0, s15, 0xffff
	s_lshl_b32 s16, s16, 8
	v_mad_u32_u24 v4, v7, s0, v6
	v_mov_b32_e32 v12, 20
	s_mul_i32 s1, s7, s16
	s_mul_hi_u32 s15, s6, s16
	s_mov_b32 s17, 0
	v_and_b32_e32 v21, 31, v4
	v_mad_u64_u32 v[4:5], null, s6, v2, 0
	s_add_i32 s21, s15, s1
	s_mul_i32 s20, s6, s16
	s_delay_alu instid0(VALU_DEP_2) | instskip(SKIP_1) | instid1(VALU_DEP_3)
	v_add_co_u32 v2, vcc_lo, v2, v21
	v_add_co_ci_u32_e32 v3, vcc_lo, 0, v3, vcc_lo
	v_add3_u32 v5, v5, v18, v17
	v_cmp_gt_u32_e64 s0, 8, v21
	s_lshl_b64 s[20:21], s[20:21], 1
	s_delay_alu instid0(VALU_DEP_3) | instskip(SKIP_2) | instid1(VALU_DEP_2)
	v_lshlrev_b64 v[17:18], 2, v[2:3]
	s_lshl_b64 s[6:7], s[6:7], 1
	v_lshlrev_b64 v[19:20], 1, v[4:5]
	v_add_co_u32 v4, vcc_lo, s18, v17
	s_delay_alu instid0(VALU_DEP_3) | instskip(NEXT) | instid1(VALU_DEP_3)
	v_add_co_ci_u32_e32 v5, vcc_lo, s19, v18, vcc_lo
	v_add_co_u32 v0, vcc_lo, v19, v15
	s_delay_alu instid0(VALU_DEP_4)
	v_add_co_ci_u32_e32 v16, vcc_lo, v20, v16, vcc_lo
	v_mov_b32_e32 v15, 0
	s_lshl_b64 s[18:19], s[16:17], 2
	s_branch .LBB206_7
.LBB206_5:                              ;   in Loop: Header=BB206_7 Depth=1
	s_or_b32 exec_lo, exec_lo, s15
.LBB206_6:                              ;   in Loop: Header=BB206_7 Depth=1
	s_delay_alu instid0(SALU_CYCLE_1)
	s_or_b32 exec_lo, exec_lo, s1
	v_add_co_u32 v18, vcc_lo, s8, v0
	v_add_co_ci_u32_e32 v19, vcc_lo, s9, v16, vcc_lo
	v_add_co_u32 v20, vcc_lo, s10, v0
	v_add_co_ci_u32_e32 v21, vcc_lo, s11, v16, vcc_lo
	global_load_u16 v28, v[18:19], off
	v_add_co_u32 v18, vcc_lo, v18, s6
	v_add_co_ci_u32_e32 v19, vcc_lo, s7, v19, vcc_lo
	v_add_co_u32 v22, vcc_lo, v20, s6
	v_add_co_ci_u32_e32 v23, vcc_lo, s7, v21, vcc_lo
	s_delay_alu instid0(VALU_DEP_4) | instskip(NEXT) | instid1(VALU_DEP_4)
	v_add_co_u32 v24, vcc_lo, v18, s6
	v_add_co_ci_u32_e32 v25, vcc_lo, s7, v19, vcc_lo
	s_delay_alu instid0(VALU_DEP_4) | instskip(NEXT) | instid1(VALU_DEP_4)
	v_add_co_u32 v26, vcc_lo, v22, s6
	v_add_co_ci_u32_e32 v27, vcc_lo, s7, v23, vcc_lo
	global_load_u16 v29, v[20:21], off
	global_load_u16 v30, v[18:19], off
	;; [unrolled: 1-line block ×5, first 2 shown]
	v_add_co_u32 v18, vcc_lo, v24, s6
	v_add_co_ci_u32_e32 v19, vcc_lo, s7, v25, vcc_lo
	v_add_co_u32 v20, vcc_lo, v26, s6
	v_add_co_ci_u32_e32 v21, vcc_lo, s7, v27, vcc_lo
	global_load_u16 v34, v[18:19], off
	v_add_co_u32 v18, vcc_lo, v18, s6
	v_add_co_ci_u32_e32 v19, vcc_lo, s7, v19, vcc_lo
	v_add_co_u32 v22, vcc_lo, v20, s6
	v_add_co_ci_u32_e32 v23, vcc_lo, s7, v21, vcc_lo
	s_delay_alu instid0(VALU_DEP_4) | instskip(NEXT) | instid1(VALU_DEP_4)
	v_add_co_u32 v24, vcc_lo, v18, s6
	v_add_co_ci_u32_e32 v25, vcc_lo, s7, v19, vcc_lo
	s_delay_alu instid0(VALU_DEP_4) | instskip(NEXT) | instid1(VALU_DEP_4)
	v_add_co_u32 v26, vcc_lo, v22, s6
	v_add_co_ci_u32_e32 v27, vcc_lo, s7, v23, vcc_lo
	global_load_u16 v35, v[20:21], off
	global_load_u16 v36, v[18:19], off
	;; [unrolled: 1-line block ×5, first 2 shown]
	v_add_co_u32 v18, vcc_lo, v26, s6
	v_add_co_ci_u32_e32 v19, vcc_lo, s7, v27, vcc_lo
	v_add_co_u32 v20, vcc_lo, v24, s6
	v_add_co_ci_u32_e32 v21, vcc_lo, s7, v25, vcc_lo
	global_load_u16 v24, v[18:19], off
	v_add_co_u32 v18, vcc_lo, v18, s6
	v_add_co_ci_u32_e32 v19, vcc_lo, s7, v19, vcc_lo
	v_add_co_u32 v22, vcc_lo, v20, s6
	v_add_co_ci_u32_e32 v23, vcc_lo, s7, v21, vcc_lo
	global_load_u16 v20, v[20:21], off
	global_load_u16 v18, v[18:19], off
	;; [unrolled: 1-line block ×3, first 2 shown]
	s_waitcnt vmcnt(16)
	ds_bpermute_b32 v21, v1, v17
	ds_bpermute_b32 v22, v8, v17
	;; [unrolled: 1-line block ×3, first 2 shown]
	v_add_co_u32 v4, vcc_lo, v4, s18
	s_add_u32 s12, s12, s16
	v_add_co_ci_u32_e32 v5, vcc_lo, s19, v5, vcc_lo
	s_addc_u32 s13, s13, 0
	v_add_co_u32 v2, vcc_lo, v2, s16
	v_add_co_ci_u32_e32 v3, vcc_lo, 0, v3, vcc_lo
	v_cmp_lt_i64_e64 s1, s[12:13], s[4:5]
	v_add_co_u32 v0, vcc_lo, v0, s20
	v_add_co_ci_u32_e32 v16, vcc_lo, s21, v16, vcc_lo
	s_delay_alu instid0(VALU_DEP_3)
	s_and_b32 vcc_lo, exec_lo, s1
	s_waitcnt vmcnt(12)
	v_lshlrev_b32_e32 v27, 16, v31
	s_waitcnt vmcnt(2)
	v_lshlrev_b32_e32 v20, 16, v20
	v_lshlrev_b32_e32 v23, 16, v29
	s_waitcnt vmcnt(1)
	v_lshlrev_b32_e32 v18, 16, v18
	s_waitcnt vmcnt(0)
	v_lshlrev_b32_e32 v19, 16, v19
	v_lshlrev_b32_e32 v25, 16, v28
	ds_bpermute_b32 v28, v10, v17
	v_dual_mul_f32 v18, v19, v18 :: v_dual_lshlrev_b32 v29, 16, v33
	v_mul_f32_e32 v23, v25, v23
	v_lshlrev_b32_e32 v25, 16, v30
	s_waitcnt lgkmcnt(3)
	s_delay_alu instid0(VALU_DEP_2) | instskip(NEXT) | instid1(VALU_DEP_2)
	v_dual_fmac_f32 v15, v23, v21 :: v_dual_lshlrev_b32 v30, 16, v35
	v_mul_f32_e32 v21, v25, v27
	v_lshlrev_b32_e32 v23, 16, v32
	ds_bpermute_b32 v25, v11, v17
	ds_bpermute_b32 v27, v12, v17
	s_waitcnt lgkmcnt(4)
	v_fmac_f32_e32 v15, v21, v22
	v_dual_mul_f32 v21, v23, v29 :: v_dual_lshlrev_b32 v22, 16, v34
	ds_bpermute_b32 v23, v13, v17
	v_lshlrev_b32_e32 v29, 16, v37
	ds_bpermute_b32 v17, v14, v17
	s_waitcnt lgkmcnt(5)
	v_fmac_f32_e32 v15, v21, v26
	v_dual_mul_f32 v21, v22, v30 :: v_dual_lshlrev_b32 v22, 16, v36
	v_lshlrev_b32_e32 v26, 16, v39
	s_waitcnt lgkmcnt(4)
	s_delay_alu instid0(VALU_DEP_2) | instskip(NEXT) | instid1(VALU_DEP_3)
	v_dual_fmac_f32 v15, v21, v28 :: v_dual_lshlrev_b32 v30, 16, v38
	v_dual_mul_f32 v21, v22, v29 :: v_dual_lshlrev_b32 v22, 16, v24
	s_waitcnt lgkmcnt(3)
	s_delay_alu instid0(VALU_DEP_1) | instskip(NEXT) | instid1(VALU_DEP_3)
	v_fmac_f32_e32 v15, v21, v25
	v_mul_f32_e32 v21, v30, v26
	s_waitcnt lgkmcnt(2)
	s_delay_alu instid0(VALU_DEP_1) | instskip(SKIP_1) | instid1(VALU_DEP_1)
	v_dual_fmac_f32 v15, v21, v27 :: v_dual_mul_f32 v20, v20, v22
	s_waitcnt lgkmcnt(1)
	v_fmac_f32_e32 v15, v20, v23
	s_waitcnt lgkmcnt(0)
	s_delay_alu instid0(VALU_DEP_1)
	v_fmac_f32_e32 v15, v18, v17
	s_cbranch_vccz .LBB206_10
.LBB206_7:                              ; =>This Inner Loop Header: Depth=1
	v_mov_b32_e32 v17, 0
	s_and_saveexec_b32 s1, s0
	s_cbranch_execz .LBB206_6
; %bb.8:                                ;   in Loop: Header=BB206_7 Depth=1
	v_mov_b32_e32 v17, 0
	s_mov_b32 s15, exec_lo
	v_cmpx_gt_i64_e64 s[4:5], v[2:3]
	s_cbranch_execz .LBB206_5
; %bb.9:                                ;   in Loop: Header=BB206_7 Depth=1
	global_load_b32 v17, v[4:5], off
	s_branch .LBB206_5
.LBB206_10:
	v_mov_b32_e32 v1, v7
.LBB206_11:
	s_delay_alu instid0(VALU_DEP_1) | instskip(NEXT) | instid1(VALU_DEP_2)
	v_lshrrev_b32_e32 v0, 5, v6
	v_mad_u32_u24 v2, v1, 33, v6
	s_mov_b32 s0, exec_lo
	s_delay_alu instid0(VALU_DEP_2) | instskip(NEXT) | instid1(VALU_DEP_2)
	v_add_nc_u32_e32 v0, v0, v1
	v_lshl_add_u32 v1, v2, 2, 0
	v_mov_b32_e32 v2, 0
	ds_store_b32 v1, v15
	ds_store_b32 v1, v2 offset:4224
	s_waitcnt lgkmcnt(0)
	s_barrier
	buffer_gl0_inv
	v_cmpx_gt_u32_e32 32, v0
	s_cbranch_execz .LBB206_14
; %bb.12:
	v_and_b32_e32 v1, 31, v6
	v_lshlrev_b32_e32 v2, 2, v0
	s_cmp_lg_u64 s[2:3], 0
	s_cselect_b32 s0, -1, 0
	s_delay_alu instid0(VALU_DEP_2) | instskip(NEXT) | instid1(VALU_DEP_1)
	v_mul_u32_u24_e32 v1, 0x84, v1
	v_add3_u32 v1, 0, v2, v1
	v_mbcnt_lo_u32_b32 v2, -1, 0
	ds_load_b32 v1, v1
	v_xor_b32_e32 v3, 16, v2
	v_xor_b32_e32 v4, 8, v2
	s_delay_alu instid0(VALU_DEP_2) | instskip(SKIP_1) | instid1(VALU_DEP_3)
	v_cmp_gt_i32_e32 vcc_lo, 32, v3
	v_cndmask_b32_e32 v3, v2, v3, vcc_lo
	v_cmp_gt_i32_e32 vcc_lo, 32, v4
	v_cndmask_b32_e32 v4, v2, v4, vcc_lo
	s_delay_alu instid0(VALU_DEP_1) | instskip(NEXT) | instid1(VALU_DEP_4)
	v_lshlrev_b32_e32 v4, 2, v4
	v_lshlrev_b32_e32 v3, 2, v3
	s_waitcnt lgkmcnt(0)
	ds_bpermute_b32 v3, v3, v1
	s_waitcnt lgkmcnt(0)
	v_add_f32_e32 v1, v1, v3
	ds_bpermute_b32 v3, v4, v1
	v_xor_b32_e32 v4, 4, v2
	s_delay_alu instid0(VALU_DEP_1) | instskip(SKIP_2) | instid1(VALU_DEP_1)
	v_cmp_gt_i32_e32 vcc_lo, 32, v4
	v_cndmask_b32_e32 v4, v2, v4, vcc_lo
	s_waitcnt lgkmcnt(0)
	v_dual_add_f32 v1, v1, v3 :: v_dual_lshlrev_b32 v4, 2, v4
	ds_bpermute_b32 v3, v4, v1
	v_xor_b32_e32 v4, 2, v2
	s_delay_alu instid0(VALU_DEP_1) | instskip(SKIP_2) | instid1(VALU_DEP_1)
	v_cmp_gt_i32_e32 vcc_lo, 32, v4
	s_waitcnt lgkmcnt(0)
	v_dual_cndmask_b32 v4, v2, v4 :: v_dual_add_f32 v1, v1, v3
	v_lshlrev_b32_e32 v4, 2, v4
	ds_bpermute_b32 v3, v4, v1
	v_xor_b32_e32 v4, 1, v2
	s_delay_alu instid0(VALU_DEP_1) | instskip(SKIP_2) | instid1(VALU_DEP_2)
	v_cmp_gt_i32_e32 vcc_lo, 32, v4
	v_cndmask_b32_e32 v2, v2, v4, vcc_lo
	v_cmp_eq_u32_e32 vcc_lo, 0, v6
	v_lshlrev_b32_e32 v2, 2, v2
	s_and_b32 s0, vcc_lo, s0
	s_waitcnt lgkmcnt(0)
	v_add_f32_e32 v1, v1, v3
	ds_bpermute_b32 v2, v2, v1
	s_and_b32 exec_lo, exec_lo, s0
	s_cbranch_execz .LBB206_14
; %bb.13:
	s_waitcnt lgkmcnt(0)
	v_add_f32_e32 v2, v1, v2
	s_mov_b32 s15, 0
	s_delay_alu instid0(SALU_CYCLE_1) | instskip(NEXT) | instid1(SALU_CYCLE_1)
	s_lshl_b64 s[0:1], s[14:15], 6
	s_add_u32 s0, s2, s0
	s_delay_alu instid0(VALU_DEP_1) | instskip(SKIP_1) | instid1(VALU_DEP_1)
	v_bfe_u32 v1, v2, 16, 1
	s_addc_u32 s1, s3, s1
	v_add3_u32 v3, v2, v1, 0x7fff
	v_mov_b32_e32 v1, 0
	v_cmp_o_f32_e32 vcc_lo, v2, v2
	s_delay_alu instid0(VALU_DEP_3) | instskip(NEXT) | instid1(VALU_DEP_3)
	v_lshrrev_b32_e32 v3, 16, v3
	v_lshlrev_b64 v[0:1], 1, v[0:1]
	s_delay_alu instid0(VALU_DEP_2) | instskip(NEXT) | instid1(VALU_DEP_2)
	v_cndmask_b32_e32 v2, 0x7fc0, v3, vcc_lo
	v_add_co_u32 v0, vcc_lo, s0, v0
	s_delay_alu instid0(VALU_DEP_3)
	v_add_co_ci_u32_e32 v1, vcc_lo, s1, v1, vcc_lo
	global_store_b16 v[0:1], v2, off
.LBB206_14:
	s_nop 0
	s_sendmsg sendmsg(MSG_DEALLOC_VGPRS)
	s_endpgm
	.section	.rodata,"a",@progbits
	.p2align	6, 0x0
	.amdhsa_kernel _ZN2at6native12_GLOBAL__N_135GammaBetaBackwardCUDAKernelTemplateIN3c108BFloat16EfLj32ELj32ELj256ELb0ELb1ELb1EEEvllPKT_S7_PKT0_SA_PS5_SB_
		.amdhsa_group_segment_fixed_size 0
		.amdhsa_private_segment_fixed_size 0
		.amdhsa_kernarg_size 320
		.amdhsa_user_sgpr_count 14
		.amdhsa_user_sgpr_dispatch_ptr 0
		.amdhsa_user_sgpr_queue_ptr 0
		.amdhsa_user_sgpr_kernarg_segment_ptr 1
		.amdhsa_user_sgpr_dispatch_id 0
		.amdhsa_user_sgpr_private_segment_size 0
		.amdhsa_wavefront_size32 1
		.amdhsa_uses_dynamic_stack 0
		.amdhsa_enable_private_segment 0
		.amdhsa_system_sgpr_workgroup_id_x 1
		.amdhsa_system_sgpr_workgroup_id_y 1
		.amdhsa_system_sgpr_workgroup_id_z 0
		.amdhsa_system_sgpr_workgroup_info 0
		.amdhsa_system_vgpr_workitem_id 1
		.amdhsa_next_free_vgpr 40
		.amdhsa_next_free_sgpr 22
		.amdhsa_reserve_vcc 1
		.amdhsa_float_round_mode_32 0
		.amdhsa_float_round_mode_16_64 0
		.amdhsa_float_denorm_mode_32 3
		.amdhsa_float_denorm_mode_16_64 3
		.amdhsa_dx10_clamp 1
		.amdhsa_ieee_mode 1
		.amdhsa_fp16_overflow 0
		.amdhsa_workgroup_processor_mode 1
		.amdhsa_memory_ordered 1
		.amdhsa_forward_progress 0
		.amdhsa_shared_vgpr_count 0
		.amdhsa_exception_fp_ieee_invalid_op 0
		.amdhsa_exception_fp_denorm_src 0
		.amdhsa_exception_fp_ieee_div_zero 0
		.amdhsa_exception_fp_ieee_overflow 0
		.amdhsa_exception_fp_ieee_underflow 0
		.amdhsa_exception_fp_ieee_inexact 0
		.amdhsa_exception_int_div_zero 0
	.end_amdhsa_kernel
	.section	.text._ZN2at6native12_GLOBAL__N_135GammaBetaBackwardCUDAKernelTemplateIN3c108BFloat16EfLj32ELj32ELj256ELb0ELb1ELb1EEEvllPKT_S7_PKT0_SA_PS5_SB_,"axG",@progbits,_ZN2at6native12_GLOBAL__N_135GammaBetaBackwardCUDAKernelTemplateIN3c108BFloat16EfLj32ELj32ELj256ELb0ELb1ELb1EEEvllPKT_S7_PKT0_SA_PS5_SB_,comdat
.Lfunc_end206:
	.size	_ZN2at6native12_GLOBAL__N_135GammaBetaBackwardCUDAKernelTemplateIN3c108BFloat16EfLj32ELj32ELj256ELb0ELb1ELb1EEEvllPKT_S7_PKT0_SA_PS5_SB_, .Lfunc_end206-_ZN2at6native12_GLOBAL__N_135GammaBetaBackwardCUDAKernelTemplateIN3c108BFloat16EfLj32ELj32ELj256ELb0ELb1ELb1EEEvllPKT_S7_PKT0_SA_PS5_SB_
                                        ; -- End function
	.section	.AMDGPU.csdata,"",@progbits
; Kernel info:
; codeLenInByte = 1564
; NumSgprs: 24
; NumVgprs: 40
; ScratchSize: 0
; MemoryBound: 0
; FloatMode: 240
; IeeeMode: 1
; LDSByteSize: 0 bytes/workgroup (compile time only)
; SGPRBlocks: 2
; VGPRBlocks: 4
; NumSGPRsForWavesPerEU: 24
; NumVGPRsForWavesPerEU: 40
; Occupancy: 16
; WaveLimiterHint : 0
; COMPUTE_PGM_RSRC2:SCRATCH_EN: 0
; COMPUTE_PGM_RSRC2:USER_SGPR: 14
; COMPUTE_PGM_RSRC2:TRAP_HANDLER: 0
; COMPUTE_PGM_RSRC2:TGID_X_EN: 1
; COMPUTE_PGM_RSRC2:TGID_Y_EN: 1
; COMPUTE_PGM_RSRC2:TGID_Z_EN: 0
; COMPUTE_PGM_RSRC2:TIDIG_COMP_CNT: 1
	.section	.text._ZN2at6native12_GLOBAL__N_135GammaBetaBackwardCUDAKernelTemplateIN3c108BFloat16EfLj32ELj32ELj256ELb0ELb0ELb1EEEvllPKT_S7_PKT0_SA_PS5_SB_,"axG",@progbits,_ZN2at6native12_GLOBAL__N_135GammaBetaBackwardCUDAKernelTemplateIN3c108BFloat16EfLj32ELj32ELj256ELb0ELb0ELb1EEEvllPKT_S7_PKT0_SA_PS5_SB_,comdat
	.globl	_ZN2at6native12_GLOBAL__N_135GammaBetaBackwardCUDAKernelTemplateIN3c108BFloat16EfLj32ELj32ELj256ELb0ELb0ELb1EEEvllPKT_S7_PKT0_SA_PS5_SB_ ; -- Begin function _ZN2at6native12_GLOBAL__N_135GammaBetaBackwardCUDAKernelTemplateIN3c108BFloat16EfLj32ELj32ELj256ELb0ELb0ELb1EEEvllPKT_S7_PKT0_SA_PS5_SB_
	.p2align	8
	.type	_ZN2at6native12_GLOBAL__N_135GammaBetaBackwardCUDAKernelTemplateIN3c108BFloat16EfLj32ELj32ELj256ELb0ELb0ELb1EEEvllPKT_S7_PKT0_SA_PS5_SB_,@function
_ZN2at6native12_GLOBAL__N_135GammaBetaBackwardCUDAKernelTemplateIN3c108BFloat16EfLj32ELj32ELj256ELb0ELb0ELb1EEEvllPKT_S7_PKT0_SA_PS5_SB_: ; @_ZN2at6native12_GLOBAL__N_135GammaBetaBackwardCUDAKernelTemplateIN3c108BFloat16EfLj32ELj32ELj256ELb0ELb0ELb1EEEvllPKT_S7_PKT0_SA_PS5_SB_
; %bb.0:
	s_clause 0x1
	s_load_b256 s[4:11], s[0:1], 0x0
	s_load_b64 s[12:13], s[0:1], 0x28
	s_lshl_b32 s33, s14, 5
	s_mov_b32 s25, 0
	s_or_b32 s24, s33, 31
	s_waitcnt lgkmcnt(0)
	v_cmp_ge_i64_e64 s2, s[24:25], s[6:7]
	s_lshl_b32 s24, s15, 8
	s_delay_alu instid0(SALU_CYCLE_1) | instskip(NEXT) | instid1(VALU_DEP_2)
	v_cmp_lt_i64_e64 s15, s[24:25], s[4:5]
	s_and_b32 vcc_lo, exec_lo, s2
	s_delay_alu instid0(VALU_DEP_1) | instskip(NEXT) | instid1(VALU_DEP_1)
	v_cndmask_b32_e64 v1, 0, 1, s15
	v_cmp_ne_u32_e64 s2, 1, v1
	s_cbranch_vccz .LBB207_49
; %bb.1:
	v_mov_b32_e32 v1, 0
	s_delay_alu instid0(VALU_DEP_2)
	s_and_b32 vcc_lo, exec_lo, s2
	s_cbranch_vccnz .LBB207_50
; %bb.2:
	v_bfe_u32 v27, v0, 10, 10
	s_load_b32 s3, s[0:1], 0x44
	v_dual_mov_b32 v2, 0 :: v_dual_and_b32 v29, 0x3ff, v0
	s_add_u32 s26, s0, 64
	s_delay_alu instid0(VALU_DEP_2) | instskip(NEXT) | instid1(VALU_DEP_2)
	v_lshlrev_b32_e32 v28, 3, v27
	v_dual_mov_b32 v62, 0 :: v_dual_add_nc_u32 v1, s33, v29
	s_addc_u32 s27, s1, 0
	s_mov_b32 s16, 0
	s_delay_alu instid0(VALU_DEP_2) | instskip(NEXT) | instid1(VALU_DEP_1)
	v_add_co_u32 v9, s2, v28, s24
	v_add_co_ci_u32_e64 v10, null, 0, 0, s2
	v_cmp_gt_i64_e64 s2, s[6:7], v[1:2]
	s_delay_alu instid0(VALU_DEP_3) | instskip(NEXT) | instid1(VALU_DEP_3)
	v_add_co_u32 v5, vcc_lo, v9, 7
	v_add_co_ci_u32_e32 v3, vcc_lo, 0, v10, vcc_lo
	v_add_co_u32 v8, vcc_lo, v9, 6
	s_delay_alu instid0(VALU_DEP_3) | instskip(NEXT) | instid1(VALU_DEP_3)
	v_mul_lo_u32 v6, s7, v5
	v_mul_lo_u32 v7, s6, v3
	v_mad_u64_u32 v[3:4], null, s6, v5, 0
	v_add_co_ci_u32_e32 v5, vcc_lo, 0, v10, vcc_lo
	v_lshlrev_b64 v[25:26], 1, v[1:2]
	v_mul_lo_u32 v1, s7, v8
	s_waitcnt lgkmcnt(0)
	s_lshl_b32 s36, s3, 8
	s_mov_b64 s[34:35], s[24:25]
	s_delay_alu instid0(VALU_DEP_4) | instskip(SKIP_3) | instid1(VALU_DEP_3)
	v_add3_u32 v4, v4, v7, v6
	v_mul_lo_u32 v7, s6, v5
	v_mad_u64_u32 v[5:6], null, s6, v8, 0
	s_mul_i32 s3, s7, s36
	v_lshlrev_b64 v[3:4], 1, v[3:4]
	s_mul_hi_u32 s17, s6, s36
	s_mul_i32 s18, s6, s36
	s_add_i32 s19, s17, s3
	s_delay_alu instid0(VALU_DEP_2) | instskip(NEXT) | instid1(VALU_DEP_2)
	v_add3_u32 v6, v6, v7, v1
	v_add_co_u32 v30, vcc_lo, s8, v3
	v_add_co_ci_u32_e32 v31, vcc_lo, s9, v4, vcc_lo
	v_add_co_u32 v1, vcc_lo, v9, 5
	v_add_co_u32 v32, s3, s10, v3
	s_delay_alu instid0(VALU_DEP_1) | instskip(SKIP_4) | instid1(VALU_DEP_3)
	v_add_co_ci_u32_e64 v33, s3, s11, v4, s3
	v_lshlrev_b64 v[3:4], 1, v[5:6]
	v_add_co_ci_u32_e32 v5, vcc_lo, 0, v10, vcc_lo
	v_add_co_u32 v12, vcc_lo, v9, 4
	v_mul_lo_u32 v11, s7, v1
	v_mul_lo_u32 v13, s6, v5
	v_mad_u64_u32 v[5:6], null, s6, v1, 0
	v_add_co_ci_u32_e32 v7, vcc_lo, 0, v10, vcc_lo
	v_mul_lo_u32 v1, s7, v12
	v_add_co_u32 v34, vcc_lo, s8, v3
	s_delay_alu instid0(VALU_DEP_3)
	v_mul_lo_u32 v14, s6, v7
	v_mad_u64_u32 v[7:8], null, s6, v12, 0
	v_add3_u32 v6, v6, v13, v11
	v_add_co_ci_u32_e32 v35, vcc_lo, s9, v4, vcc_lo
	v_add_co_u32 v36, vcc_lo, s10, v3
	v_add_co_ci_u32_e32 v37, vcc_lo, s11, v4, vcc_lo
	s_delay_alu instid0(VALU_DEP_4) | instskip(SKIP_3) | instid1(VALU_DEP_4)
	v_lshlrev_b64 v[3:4], 1, v[5:6]
	v_add3_u32 v8, v8, v14, v1
	v_add_co_u32 v1, vcc_lo, v9, 3
	v_add_co_ci_u32_e32 v11, vcc_lo, 0, v10, vcc_lo
	v_add_co_u32 v38, vcc_lo, s8, v3
	s_delay_alu instid0(VALU_DEP_4)
	v_lshlrev_b64 v[5:6], 1, v[7:8]
	v_add_co_ci_u32_e32 v39, vcc_lo, s9, v4, vcc_lo
	v_mul_lo_u32 v12, s7, v1
	v_mul_lo_u32 v11, s6, v11
	v_mad_u64_u32 v[7:8], null, s6, v1, 0
	v_add_co_u32 v40, vcc_lo, s10, v3
	v_add_co_ci_u32_e32 v41, vcc_lo, s11, v4, vcc_lo
	v_add_co_u32 v42, vcc_lo, s8, v5
	v_add_co_ci_u32_e32 v43, vcc_lo, s9, v6, vcc_lo
	v_add_co_u32 v1, vcc_lo, v9, 2
	v_add3_u32 v8, v8, v11, v12
	v_add_co_ci_u32_e32 v11, vcc_lo, 0, v10, vcc_lo
	v_add_co_u32 v44, vcc_lo, s10, v5
	v_add_co_ci_u32_e32 v45, vcc_lo, s11, v6, vcc_lo
	v_mul_lo_u32 v12, s7, v1
	s_delay_alu instid0(VALU_DEP_4)
	v_mul_lo_u32 v11, s6, v11
	v_mad_u64_u32 v[5:6], null, s6, v1, 0
	v_lshlrev_b64 v[3:4], 1, v[7:8]
	v_mul_lo_u32 v1, s7, v9
	v_mul_lo_u32 v10, s6, v10
	v_mad_u64_u32 v[7:8], null, s6, v9, 0
	s_lshl_b64 s[28:29], s[18:19], 1
	s_delay_alu instid0(VALU_DEP_4)
	v_add_co_u32 v46, vcc_lo, s8, v3
	v_add3_u32 v6, v6, v11, v12
	v_add_co_ci_u32_e32 v47, vcc_lo, s9, v4, vcc_lo
	v_add_co_u32 v48, vcc_lo, s10, v3
	v_add3_u32 v8, v8, v10, v1
	v_add_co_ci_u32_e32 v49, vcc_lo, s11, v4, vcc_lo
	v_lshlrev_b64 v[3:4], 1, v[5:6]
	v_add_co_u32 v5, vcc_lo, v7, s6
	s_delay_alu instid0(VALU_DEP_4) | instskip(SKIP_1) | instid1(VALU_DEP_3)
	v_add_co_ci_u32_e32 v6, vcc_lo, s7, v8, vcc_lo
	s_add_u32 s30, s24, 0xff
	v_add_co_u32 v50, vcc_lo, s8, v3
	s_delay_alu instid0(VALU_DEP_2) | instskip(SKIP_3) | instid1(VALU_DEP_4)
	v_lshlrev_b64 v[5:6], 1, v[5:6]
	v_add_co_ci_u32_e32 v51, vcc_lo, s9, v4, vcc_lo
	v_add_co_u32 v52, vcc_lo, s10, v3
	v_add_co_ci_u32_e32 v53, vcc_lo, s11, v4, vcc_lo
	v_add_co_u32 v54, vcc_lo, s8, v5
	v_lshlrev_b64 v[3:4], 1, v[7:8]
	v_add_co_ci_u32_e32 v55, vcc_lo, s9, v6, vcc_lo
	v_add_co_u32 v56, vcc_lo, s10, v5
	v_add_co_ci_u32_e32 v57, vcc_lo, s11, v6, vcc_lo
	s_delay_alu instid0(VALU_DEP_4)
	v_add_co_u32 v58, vcc_lo, s8, v3
	v_add_co_ci_u32_e32 v59, vcc_lo, s9, v4, vcc_lo
	v_add_co_u32 v60, vcc_lo, s10, v3
	v_add_co_ci_u32_e32 v61, vcc_lo, s11, v4, vcc_lo
	s_addc_u32 s31, 0, 0
.LBB207_3:                              ; =>This Inner Loop Header: Depth=1
	s_delay_alu instid0(SALU_CYCLE_1) | instskip(SKIP_1) | instid1(VALU_DEP_1)
	v_cmp_ge_i64_e64 s3, s[30:31], s[4:5]
	v_add_co_u32 v63, s17, v28, s30
	v_add_co_ci_u32_e64 v64, null, 0, s31, s17
	s_delay_alu instid0(VALU_DEP_3)
	s_and_b32 vcc_lo, exec_lo, s3
	s_cbranch_vccz .LBB207_25
; %bb.4:                                ;   in Loop: Header=BB207_3 Depth=1
	s_load_b32 s3, s[26:27], 0xc
	v_mov_b32_e32 v65, 0
	s_waitcnt lgkmcnt(0)
	s_and_b32 s3, s3, 0xffff
	s_delay_alu instid0(SALU_CYCLE_1) | instskip(SKIP_1) | instid1(VALU_DEP_1)
	v_mad_u32_u24 v1, v27, s3, v29
	s_mov_b32 s3, exec_lo
	v_and_b32_e32 v1, 31, v1
	s_delay_alu instid0(VALU_DEP_1)
	v_cmpx_gt_u32_e32 8, v1
	s_cbranch_execz .LBB207_8
; %bb.5:                                ;   in Loop: Header=BB207_3 Depth=1
	v_add_co_u32 v1, vcc_lo, v63, v1
	v_add_co_ci_u32_e32 v4, vcc_lo, 0, v64, vcc_lo
	v_mov_b32_e32 v65, 0
	s_delay_alu instid0(VALU_DEP_3) | instskip(NEXT) | instid1(VALU_DEP_3)
	v_add_co_u32 v3, vcc_lo, 0xffffff01, v1
	v_add_co_ci_u32_e32 v4, vcc_lo, -1, v4, vcc_lo
	s_mov_b32 s17, exec_lo
	s_delay_alu instid0(VALU_DEP_1)
	v_cmpx_gt_i64_e64 s[4:5], v[3:4]
	s_cbranch_execz .LBB207_7
; %bb.6:                                ;   in Loop: Header=BB207_3 Depth=1
	v_lshlrev_b64 v[3:4], 2, v[3:4]
	s_delay_alu instid0(VALU_DEP_1) | instskip(NEXT) | instid1(VALU_DEP_2)
	v_add_co_u32 v3, vcc_lo, s12, v3
	v_add_co_ci_u32_e32 v4, vcc_lo, s13, v4, vcc_lo
	global_load_b32 v65, v[3:4], off
.LBB207_7:                              ;   in Loop: Header=BB207_3 Depth=1
	s_or_b32 exec_lo, exec_lo, s17
.LBB207_8:                              ;   in Loop: Header=BB207_3 Depth=1
	s_delay_alu instid0(SALU_CYCLE_1)
	s_or_b32 exec_lo, exec_lo, s3
	v_add_co_u32 v3, vcc_lo, 0xffffff01, v63
	v_add_co_ci_u32_e32 v4, vcc_lo, -1, v64, vcc_lo
	s_mov_b32 s22, s16
	s_mov_b32 s23, s16
	s_mov_b32 s17, s16
	s_mov_b32 s18, s16
	s_mov_b32 s19, s16
	s_mov_b32 s20, s16
	s_mov_b32 s21, s16
	v_dual_mov_b32 v9, s16 :: v_dual_mov_b32 v10, s17
	v_dual_mov_b32 v15, s22 :: v_dual_mov_b32 v16, s23
	;; [unrolled: 1-line block ×4, first 2 shown]
	v_cmp_gt_i64_e32 vcc_lo, s[4:5], v[3:4]
	s_delay_alu instid0(VALU_DEP_4) | instskip(NEXT) | instid1(VALU_DEP_3)
	v_dual_mov_b32 v24, v16 :: v_dual_mov_b32 v23, v15
	v_dual_mov_b32 v21, v13 :: v_dual_mov_b32 v22, v14
	;; [unrolled: 1-line block ×4, first 2 shown]
	s_and_b32 s17, s2, vcc_lo
	s_delay_alu instid0(SALU_CYCLE_1)
	s_and_saveexec_b32 s3, s17
	s_cbranch_execz .LBB207_10
; %bb.9:                                ;   in Loop: Header=BB207_3 Depth=1
	v_add_co_u32 v3, vcc_lo, v58, v25
	v_add_co_ci_u32_e32 v4, vcc_lo, v59, v26, vcc_lo
	v_add_co_u32 v5, vcc_lo, v60, v25
	v_add_co_ci_u32_e32 v6, vcc_lo, v61, v26, vcc_lo
	v_mov_b32_e32 v8, v2
	global_load_u16 v1, v[3:4], off
	global_load_u16 v9, v[5:6], off
	v_mov_b32_e32 v3, v2
	v_mov_b32_e32 v4, v2
	;; [unrolled: 1-line block ×6, first 2 shown]
	s_waitcnt vmcnt(1)
	v_lshlrev_b32_e32 v1, 16, v1
	s_waitcnt vmcnt(0)
	v_lshlrev_b32_e32 v9, 16, v9
	v_dual_mov_b32 v11, v2 :: v_dual_mov_b32 v24, v8
	v_dual_mov_b32 v10, v2 :: v_dual_mov_b32 v23, v7
	;; [unrolled: 1-line block ×6, first 2 shown]
	v_mov_b32_e32 v22, v6
	v_mov_b32_e32 v18, v2
.LBB207_10:                             ;   in Loop: Header=BB207_3 Depth=1
	s_or_b32 exec_lo, exec_lo, s3
	v_add_co_u32 v3, vcc_lo, 0xffffff02, v63
	v_add_co_ci_u32_e32 v4, vcc_lo, -1, v64, vcc_lo
	s_delay_alu instid0(VALU_DEP_1) | instskip(SKIP_1) | instid1(SALU_CYCLE_1)
	v_cmp_gt_i64_e32 vcc_lo, s[4:5], v[3:4]
	s_and_b32 s17, s2, vcc_lo
	s_and_saveexec_b32 s3, s17
	s_cbranch_execz .LBB207_12
; %bb.11:                               ;   in Loop: Header=BB207_3 Depth=1
	v_add_co_u32 v3, vcc_lo, v54, v25
	v_add_co_ci_u32_e32 v4, vcc_lo, v55, v26, vcc_lo
	v_add_co_u32 v5, vcc_lo, v56, v25
	v_add_co_ci_u32_e32 v6, vcc_lo, v57, v26, vcc_lo
	global_load_u16 v1, v[3:4], off
	global_load_u16 v3, v[5:6], off
	s_waitcnt vmcnt(1)
	v_lshlrev_b32_e32 v18, 16, v1
	s_waitcnt vmcnt(0)
	v_lshlrev_b32_e32 v10, 16, v3
.LBB207_12:                             ;   in Loop: Header=BB207_3 Depth=1
	s_or_b32 exec_lo, exec_lo, s3
	v_add_co_u32 v3, vcc_lo, 0xffffff03, v63
	v_add_co_ci_u32_e32 v4, vcc_lo, -1, v64, vcc_lo
	s_delay_alu instid0(VALU_DEP_1) | instskip(SKIP_1) | instid1(SALU_CYCLE_1)
	v_cmp_gt_i64_e32 vcc_lo, s[4:5], v[3:4]
	s_and_b32 s17, s2, vcc_lo
	s_and_saveexec_b32 s3, s17
	s_cbranch_execz .LBB207_14
; %bb.13:                               ;   in Loop: Header=BB207_3 Depth=1
	v_add_co_u32 v3, vcc_lo, v50, v25
	v_add_co_ci_u32_e32 v4, vcc_lo, v51, v26, vcc_lo
	v_add_co_u32 v5, vcc_lo, v52, v25
	v_add_co_ci_u32_e32 v6, vcc_lo, v53, v26, vcc_lo
	global_load_u16 v1, v[3:4], off
	global_load_u16 v3, v[5:6], off
	s_waitcnt vmcnt(1)
	v_lshlrev_b32_e32 v19, 16, v1
	s_waitcnt vmcnt(0)
	v_lshlrev_b32_e32 v11, 16, v3
.LBB207_14:                             ;   in Loop: Header=BB207_3 Depth=1
	;; [unrolled: 20-line block ×7, first 2 shown]
	s_or_b32 exec_lo, exec_lo, s3
	s_waitcnt vmcnt(0)
	ds_bpermute_b32 v1, v2, v65
	ds_bpermute_b32 v3, v2, v65 offset:4
	ds_bpermute_b32 v4, v2, v65 offset:8
	v_mul_f32_e32 v5, v9, v17
	ds_bpermute_b32 v6, v2, v65 offset:12
	v_mul_f32_e32 v7, v10, v18
	ds_bpermute_b32 v8, v2, v65 offset:16
	ds_bpermute_b32 v9, v2, v65 offset:20
	s_waitcnt lgkmcnt(5)
	v_fma_f32 v1, v5, v1, v62
	v_mul_f32_e32 v5, v11, v19
	s_waitcnt lgkmcnt(4)
	s_delay_alu instid0(VALU_DEP_2) | instskip(SKIP_2) | instid1(VALU_DEP_2)
	v_fmac_f32_e32 v1, v7, v3
	v_mul_f32_e32 v3, v12, v20
	s_waitcnt lgkmcnt(3)
	v_fmac_f32_e32 v1, v5, v4
	ds_bpermute_b32 v4, v2, v65 offset:24
	v_mul_f32_e32 v5, v13, v21
	s_waitcnt lgkmcnt(3)
	v_fmac_f32_e32 v1, v3, v6
	v_mul_f32_e32 v6, v14, v22
	ds_bpermute_b32 v3, v2, v65 offset:28
	s_waitcnt lgkmcnt(3)
	v_fmac_f32_e32 v1, v5, v8
	v_mul_f32_e32 v5, v15, v23
	s_waitcnt lgkmcnt(2)
	s_delay_alu instid0(VALU_DEP_2) | instskip(SKIP_1) | instid1(VALU_DEP_1)
	v_fmac_f32_e32 v1, v6, v9
	s_waitcnt lgkmcnt(1)
	v_fmac_f32_e32 v1, v5, v4
	s_branch .LBB207_40
.LBB207_25:                             ;   in Loop: Header=BB207_3 Depth=1
                                        ; implicit-def: $vgpr1
                                        ; implicit-def: $vgpr9_vgpr10_vgpr11_vgpr12_vgpr13_vgpr14_vgpr15_vgpr16
                                        ; implicit-def: $vgpr17_vgpr18_vgpr19_vgpr20_vgpr21_vgpr22_vgpr23_vgpr24
                                        ; implicit-def: $vgpr3
	s_cbranch_execz .LBB207_40
; %bb.26:                               ;   in Loop: Header=BB207_3 Depth=1
	s_load_b32 s3, s[26:27], 0x0
	v_mov_b32_e32 v65, 0
	s_waitcnt lgkmcnt(0)
	s_cmp_lt_u32 s14, s3
	s_cselect_b32 s3, 12, 18
	s_delay_alu instid0(SALU_CYCLE_1)
	s_add_u32 s18, s26, s3
	s_addc_u32 s19, s27, 0
	s_mov_b32 s3, exec_lo
	global_load_u16 v1, v2, s[18:19]
	s_waitcnt vmcnt(0)
	v_mad_u32_u24 v1, v27, v1, v29
	s_delay_alu instid0(VALU_DEP_1) | instskip(NEXT) | instid1(VALU_DEP_1)
	v_and_b32_e32 v1, 31, v1
	v_cmpx_gt_u32_e32 8, v1
	s_cbranch_execz .LBB207_30
; %bb.27:                               ;   in Loop: Header=BB207_3 Depth=1
	v_add_co_u32 v1, vcc_lo, v63, v1
	v_add_co_ci_u32_e32 v4, vcc_lo, 0, v64, vcc_lo
	v_mov_b32_e32 v65, 0
	s_delay_alu instid0(VALU_DEP_3) | instskip(NEXT) | instid1(VALU_DEP_3)
	v_add_co_u32 v3, vcc_lo, 0xffffff01, v1
	v_add_co_ci_u32_e32 v4, vcc_lo, -1, v4, vcc_lo
	s_mov_b32 s17, exec_lo
	s_delay_alu instid0(VALU_DEP_1)
	v_cmpx_gt_i64_e64 s[4:5], v[3:4]
	s_cbranch_execz .LBB207_29
; %bb.28:                               ;   in Loop: Header=BB207_3 Depth=1
	v_lshlrev_b64 v[3:4], 2, v[3:4]
	s_delay_alu instid0(VALU_DEP_1) | instskip(NEXT) | instid1(VALU_DEP_2)
	v_add_co_u32 v3, vcc_lo, s12, v3
	v_add_co_ci_u32_e32 v4, vcc_lo, s13, v4, vcc_lo
	global_load_b32 v65, v[3:4], off
.LBB207_29:                             ;   in Loop: Header=BB207_3 Depth=1
	s_or_b32 exec_lo, exec_lo, s17
.LBB207_30:                             ;   in Loop: Header=BB207_3 Depth=1
	s_delay_alu instid0(SALU_CYCLE_1)
	s_or_b32 exec_lo, exec_lo, s3
	s_mov_b32 s22, s16
	s_mov_b32 s23, s16
	;; [unrolled: 1-line block ×7, first 2 shown]
	v_dual_mov_b32 v9, s16 :: v_dual_mov_b32 v10, s17
	v_dual_mov_b32 v15, s22 :: v_dual_mov_b32 v16, s23
	;; [unrolled: 1-line block ×4, first 2 shown]
	s_delay_alu instid0(VALU_DEP_3) | instskip(NEXT) | instid1(VALU_DEP_3)
	v_dual_mov_b32 v24, v16 :: v_dual_mov_b32 v23, v15
	v_dual_mov_b32 v20, v12 :: v_dual_mov_b32 v19, v11
	s_delay_alu instid0(VALU_DEP_3)
	v_dual_mov_b32 v22, v14 :: v_dual_mov_b32 v21, v13
	v_dual_mov_b32 v18, v10 :: v_dual_mov_b32 v17, v9
	s_and_saveexec_b32 s3, s2
	s_cbranch_execnz .LBB207_42
; %bb.31:                               ;   in Loop: Header=BB207_3 Depth=1
	s_or_b32 exec_lo, exec_lo, s3
	s_and_saveexec_b32 s3, s2
	s_cbranch_execnz .LBB207_43
.LBB207_32:                             ;   in Loop: Header=BB207_3 Depth=1
	s_or_b32 exec_lo, exec_lo, s3
	s_and_saveexec_b32 s3, s2
	s_cbranch_execnz .LBB207_44
.LBB207_33:                             ;   in Loop: Header=BB207_3 Depth=1
	s_or_b32 exec_lo, exec_lo, s3
	s_and_saveexec_b32 s3, s2
	s_cbranch_execnz .LBB207_45
.LBB207_34:                             ;   in Loop: Header=BB207_3 Depth=1
	s_or_b32 exec_lo, exec_lo, s3
	s_and_saveexec_b32 s3, s2
	s_cbranch_execnz .LBB207_46
.LBB207_35:                             ;   in Loop: Header=BB207_3 Depth=1
	s_or_b32 exec_lo, exec_lo, s3
	s_and_saveexec_b32 s3, s2
	s_cbranch_execnz .LBB207_47
.LBB207_36:                             ;   in Loop: Header=BB207_3 Depth=1
	s_or_b32 exec_lo, exec_lo, s3
	s_and_saveexec_b32 s3, s2
	s_cbranch_execnz .LBB207_48
.LBB207_37:                             ;   in Loop: Header=BB207_3 Depth=1
	s_or_b32 exec_lo, exec_lo, s3
	s_and_saveexec_b32 s3, s2
	s_cbranch_execz .LBB207_39
.LBB207_38:                             ;   in Loop: Header=BB207_3 Depth=1
	v_add_co_u32 v3, vcc_lo, v30, v25
	v_add_co_ci_u32_e32 v4, vcc_lo, v31, v26, vcc_lo
	v_add_co_u32 v5, vcc_lo, v32, v25
	v_add_co_ci_u32_e32 v6, vcc_lo, v33, v26, vcc_lo
	global_load_u16 v1, v[3:4], off
	global_load_u16 v3, v[5:6], off
	s_waitcnt vmcnt(1)
	v_lshlrev_b32_e32 v24, 16, v1
	s_waitcnt vmcnt(0)
	v_lshlrev_b32_e32 v16, 16, v3
.LBB207_39:                             ;   in Loop: Header=BB207_3 Depth=1
	s_or_b32 exec_lo, exec_lo, s3
	s_waitcnt vmcnt(0)
	ds_bpermute_b32 v1, v2, v65
	ds_bpermute_b32 v3, v2, v65 offset:4
	ds_bpermute_b32 v4, v2, v65 offset:8
	;; [unrolled: 1-line block ×3, first 2 shown]
	v_mul_f32_e32 v7, v10, v18
	v_mul_f32_e32 v5, v9, v17
	ds_bpermute_b32 v8, v2, v65 offset:16
	s_waitcnt lgkmcnt(4)
	v_dual_fmac_f32 v62, v5, v1 :: v_dual_mul_f32 v1, v11, v19
	ds_bpermute_b32 v5, v2, v65 offset:20
	s_waitcnt lgkmcnt(4)
	v_dual_fmac_f32 v62, v7, v3 :: v_dual_mul_f32 v3, v12, v20
	s_waitcnt lgkmcnt(3)
	s_delay_alu instid0(VALU_DEP_1)
	v_fmac_f32_e32 v62, v1, v4
	ds_bpermute_b32 v1, v2, v65 offset:24
	v_mul_f32_e32 v4, v13, v21
	s_waitcnt lgkmcnt(3)
	v_fmac_f32_e32 v62, v3, v6
	v_mul_f32_e32 v6, v14, v22
	ds_bpermute_b32 v3, v2, v65 offset:28
	s_waitcnt lgkmcnt(3)
	v_fmac_f32_e32 v62, v4, v8
	v_mul_f32_e32 v4, v15, v23
	s_waitcnt lgkmcnt(2)
	s_delay_alu instid0(VALU_DEP_2) | instskip(SKIP_1) | instid1(VALU_DEP_1)
	v_fmac_f32_e32 v62, v6, v5
	s_waitcnt lgkmcnt(1)
	v_fmac_f32_e32 v62, v4, v1
	s_delay_alu instid0(VALU_DEP_1)
	v_mov_b32_e32 v1, v62
.LBB207_40:                             ;   in Loop: Header=BB207_3 Depth=1
	v_add_co_u32 v30, vcc_lo, v30, s28
	v_add_co_ci_u32_e32 v31, vcc_lo, s29, v31, vcc_lo
	v_add_co_u32 v32, vcc_lo, v32, s28
	v_add_co_ci_u32_e32 v33, vcc_lo, s29, v33, vcc_lo
	;; [unrolled: 2-line block ×13, first 2 shown]
	v_add_co_u32 v56, vcc_lo, v56, s28
	s_add_u32 s34, s34, s36
	v_add_co_ci_u32_e32 v57, vcc_lo, s29, v57, vcc_lo
	v_mul_f32_e32 v4, v24, v16
	s_addc_u32 s35, s35, 0
	v_add_co_u32 v58, vcc_lo, v58, s28
	v_cmp_lt_i64_e64 s3, s[34:35], s[4:5]
	v_add_co_ci_u32_e32 v59, vcc_lo, s29, v59, vcc_lo
	v_add_co_u32 v60, vcc_lo, v60, s28
	s_waitcnt lgkmcnt(0)
	v_fmac_f32_e32 v1, v4, v3
	v_add_co_ci_u32_e32 v61, vcc_lo, s29, v61, vcc_lo
	s_add_u32 s30, s30, s36
	s_addc_u32 s31, s31, 0
	s_and_b32 vcc_lo, exec_lo, s3
	s_cbranch_vccz .LBB207_50
; %bb.41:                               ;   in Loop: Header=BB207_3 Depth=1
	v_mov_b32_e32 v62, v1
	s_branch .LBB207_3
.LBB207_42:                             ;   in Loop: Header=BB207_3 Depth=1
	v_add_co_u32 v3, vcc_lo, v58, v25
	v_add_co_ci_u32_e32 v4, vcc_lo, v59, v26, vcc_lo
	v_add_co_u32 v5, vcc_lo, v60, v25
	v_add_co_ci_u32_e32 v6, vcc_lo, v61, v26, vcc_lo
	v_mov_b32_e32 v8, v2
	global_load_u16 v1, v[3:4], off
	global_load_u16 v9, v[5:6], off
	v_mov_b32_e32 v3, v2
	v_mov_b32_e32 v4, v2
	;; [unrolled: 1-line block ×6, first 2 shown]
	s_waitcnt vmcnt(1)
	v_lshlrev_b32_e32 v1, 16, v1
	s_waitcnt vmcnt(0)
	v_lshlrev_b32_e32 v9, 16, v9
	v_dual_mov_b32 v11, v2 :: v_dual_mov_b32 v24, v8
	v_dual_mov_b32 v10, v2 :: v_dual_mov_b32 v23, v7
	;; [unrolled: 1-line block ×6, first 2 shown]
	v_mov_b32_e32 v22, v6
	v_mov_b32_e32 v18, v2
	s_or_b32 exec_lo, exec_lo, s3
	s_and_saveexec_b32 s3, s2
	s_cbranch_execz .LBB207_32
.LBB207_43:                             ;   in Loop: Header=BB207_3 Depth=1
	v_add_co_u32 v3, vcc_lo, v54, v25
	v_add_co_ci_u32_e32 v4, vcc_lo, v55, v26, vcc_lo
	v_add_co_u32 v5, vcc_lo, v56, v25
	v_add_co_ci_u32_e32 v6, vcc_lo, v57, v26, vcc_lo
	global_load_u16 v1, v[3:4], off
	global_load_u16 v3, v[5:6], off
	s_waitcnt vmcnt(1)
	v_lshlrev_b32_e32 v18, 16, v1
	s_waitcnt vmcnt(0)
	v_lshlrev_b32_e32 v10, 16, v3
	s_or_b32 exec_lo, exec_lo, s3
	s_and_saveexec_b32 s3, s2
	s_cbranch_execz .LBB207_33
.LBB207_44:                             ;   in Loop: Header=BB207_3 Depth=1
	v_add_co_u32 v3, vcc_lo, v50, v25
	v_add_co_ci_u32_e32 v4, vcc_lo, v51, v26, vcc_lo
	v_add_co_u32 v5, vcc_lo, v52, v25
	v_add_co_ci_u32_e32 v6, vcc_lo, v53, v26, vcc_lo
	global_load_u16 v1, v[3:4], off
	global_load_u16 v3, v[5:6], off
	s_waitcnt vmcnt(1)
	v_lshlrev_b32_e32 v19, 16, v1
	s_waitcnt vmcnt(0)
	v_lshlrev_b32_e32 v11, 16, v3
	s_or_b32 exec_lo, exec_lo, s3
	s_and_saveexec_b32 s3, s2
	s_cbranch_execz .LBB207_34
.LBB207_45:                             ;   in Loop: Header=BB207_3 Depth=1
	v_add_co_u32 v3, vcc_lo, v46, v25
	v_add_co_ci_u32_e32 v4, vcc_lo, v47, v26, vcc_lo
	v_add_co_u32 v5, vcc_lo, v48, v25
	v_add_co_ci_u32_e32 v6, vcc_lo, v49, v26, vcc_lo
	global_load_u16 v1, v[3:4], off
	global_load_u16 v3, v[5:6], off
	s_waitcnt vmcnt(1)
	v_lshlrev_b32_e32 v20, 16, v1
	s_waitcnt vmcnt(0)
	v_lshlrev_b32_e32 v12, 16, v3
	s_or_b32 exec_lo, exec_lo, s3
	s_and_saveexec_b32 s3, s2
	s_cbranch_execz .LBB207_35
.LBB207_46:                             ;   in Loop: Header=BB207_3 Depth=1
	v_add_co_u32 v3, vcc_lo, v42, v25
	v_add_co_ci_u32_e32 v4, vcc_lo, v43, v26, vcc_lo
	v_add_co_u32 v5, vcc_lo, v44, v25
	v_add_co_ci_u32_e32 v6, vcc_lo, v45, v26, vcc_lo
	global_load_u16 v1, v[3:4], off
	global_load_u16 v3, v[5:6], off
	s_waitcnt vmcnt(1)
	v_lshlrev_b32_e32 v21, 16, v1
	s_waitcnt vmcnt(0)
	v_lshlrev_b32_e32 v13, 16, v3
	s_or_b32 exec_lo, exec_lo, s3
	s_and_saveexec_b32 s3, s2
	s_cbranch_execz .LBB207_36
.LBB207_47:                             ;   in Loop: Header=BB207_3 Depth=1
	v_add_co_u32 v3, vcc_lo, v38, v25
	v_add_co_ci_u32_e32 v4, vcc_lo, v39, v26, vcc_lo
	v_add_co_u32 v5, vcc_lo, v40, v25
	v_add_co_ci_u32_e32 v6, vcc_lo, v41, v26, vcc_lo
	global_load_u16 v1, v[3:4], off
	global_load_u16 v3, v[5:6], off
	s_waitcnt vmcnt(1)
	v_lshlrev_b32_e32 v22, 16, v1
	s_waitcnt vmcnt(0)
	v_lshlrev_b32_e32 v14, 16, v3
	s_or_b32 exec_lo, exec_lo, s3
	s_and_saveexec_b32 s3, s2
	s_cbranch_execz .LBB207_37
.LBB207_48:                             ;   in Loop: Header=BB207_3 Depth=1
	v_add_co_u32 v3, vcc_lo, v34, v25
	v_add_co_ci_u32_e32 v4, vcc_lo, v35, v26, vcc_lo
	v_add_co_u32 v5, vcc_lo, v36, v25
	v_add_co_ci_u32_e32 v6, vcc_lo, v37, v26, vcc_lo
	global_load_u16 v1, v[3:4], off
	global_load_u16 v3, v[5:6], off
	s_waitcnt vmcnt(1)
	v_lshlrev_b32_e32 v23, 16, v1
	s_waitcnt vmcnt(0)
	v_lshlrev_b32_e32 v15, 16, v3
	s_or_b32 exec_lo, exec_lo, s3
	s_and_saveexec_b32 s3, s2
	s_cbranch_execnz .LBB207_38
	s_branch .LBB207_39
.LBB207_49:
                                        ; implicit-def: $vgpr1
	s_branch .LBB207_51
.LBB207_50:
	s_cbranch_execnz .LBB207_83
.LBB207_51:
	v_mov_b32_e32 v1, 0
	s_and_not1_b32 vcc_lo, exec_lo, s15
	s_cbranch_vccnz .LBB207_83
; %bb.52:
	s_load_b32 s2, s[0:1], 0x44
	v_dual_mov_b32 v2, 0 :: v_dual_and_b32 v55, 0x3ff, v0
	v_bfe_u32 v56, v0, 10, 10
	s_add_u32 s26, s0, 64
	s_addc_u32 s27, s1, 0
	s_delay_alu instid0(VALU_DEP_2) | instskip(NEXT) | instid1(VALU_DEP_2)
	v_dual_mov_b32 v90, 0 :: v_dual_add_nc_u32 v1, s33, v55
	v_lshlrev_b32_e32 v3, 4, v56
	v_lshlrev_b32_e32 v57, 3, v56
	s_delay_alu instid0(VALU_DEP_3)
	v_lshlrev_b64 v[25:26], 1, v[1:2]
	s_waitcnt lgkmcnt(0)
	s_lshl_b32 s15, s2, 8
	s_add_u32 s28, s24, 0xff
	s_addc_u32 s29, 0, 0
	s_lshl_b64 s[2:3], s[24:25], 1
	s_mul_i32 s16, s7, s15
	v_add_co_u32 v1, s2, v3, s2
	s_delay_alu instid0(VALU_DEP_1) | instskip(SKIP_1) | instid1(VALU_DEP_3)
	v_add_co_ci_u32_e64 v3, null, 0, s3, s2
	v_add_co_u32 v74, s3, v57, s24
	v_add_co_u32 v7, vcc_lo, v1, 2
	s_delay_alu instid0(VALU_DEP_3) | instskip(SKIP_3) | instid1(VALU_DEP_4)
	v_add_co_ci_u32_e32 v4, vcc_lo, 0, v3, vcc_lo
	v_add_co_u32 v8, vcc_lo, v1, 4
	v_add_co_ci_u32_e32 v5, vcc_lo, 0, v3, vcc_lo
	v_add_co_u32 v11, vcc_lo, v1, 6
	v_mul_lo_u32 v9, s6, v4
	v_add_co_ci_u32_e32 v4, vcc_lo, 0, v3, vcc_lo
	v_add_co_u32 v14, vcc_lo, v1, 8
	v_mul_lo_u32 v12, s6, v5
	;; [unrolled: 3-line block ×4, first 2 shown]
	v_add_co_ci_u32_e32 v5, vcc_lo, 0, v3, vcc_lo
	v_add_co_ci_u32_e64 v75, null, 0, 0, s3
	v_add_co_u32 v1, vcc_lo, v1, 14
	v_mul_lo_u32 v21, s6, v4
	s_delay_alu instid0(VALU_DEP_4) | instskip(SKIP_4) | instid1(VALU_DEP_4)
	v_mul_lo_u32 v23, s6, v5
	v_add_co_ci_u32_e32 v5, vcc_lo, 0, v3, vcc_lo
	v_mul_lo_u32 v6, s7, v74
	v_mul_lo_u32 v41, s6, v75
	v_mad_u64_u32 v[3:4], null, s6, v74, 0
	v_mul_lo_u32 v60, s6, v5
	v_mad_u64_u32 v[27:28], null, s6, v7, s[8:9]
	;; [unrolled: 2-line block ×3, first 2 shown]
	v_add3_u32 v4, v4, v41, v6
	v_mad_u64_u32 v[41:42], null, s6, v7, s[10:11]
	v_mul_lo_u32 v13, s7, v8
	v_mad_u64_u32 v[43:44], null, s6, v8, s[10:11]
	s_delay_alu instid0(VALU_DEP_4)
	v_lshlrev_b64 v[5:6], 1, v[3:4]
	v_add3_u32 v28, v10, v28, v9
	v_mad_u64_u32 v[31:32], null, s6, v11, s[8:9]
	v_add3_u32 v42, v10, v42, v9
	v_add3_u32 v30, v13, v30, v12
	v_add_co_u32 v58, vcc_lo, s8, v5
	v_add_co_ci_u32_e32 v59, vcc_lo, s9, v6, vcc_lo
	v_add_co_u32 v9, vcc_lo, v74, 7
	v_add_co_ci_u32_e32 v7, vcc_lo, 0, v75, vcc_lo
	v_add3_u32 v44, v13, v44, v12
	v_add_co_u32 v12, vcc_lo, v74, 6
	v_mul_lo_u32 v16, s7, v11
	v_mad_u64_u32 v[39:40], null, s6, v1, s[8:9]
	v_mul_lo_u32 v61, s7, v1
	v_mad_u64_u32 v[45:46], null, s6, v11, s[10:11]
	v_mad_u64_u32 v[53:54], null, s6, v1, s[10:11]
	v_mul_lo_u32 v1, s7, v9
	v_mul_lo_u32 v11, s6, v7
	v_mad_u64_u32 v[7:8], null, s6, v9, 0
	v_add_co_ci_u32_e32 v10, vcc_lo, 0, v75, vcc_lo
	v_mad_u64_u32 v[33:34], null, s6, v14, s[8:9]
	v_mul_lo_u32 v19, s7, v14
	v_mad_u64_u32 v[47:48], null, s6, v14, s[10:11]
	v_mul_lo_u32 v13, s7, v12
	v_mul_lo_u32 v14, s6, v10
	v_mad_u64_u32 v[9:10], null, s6, v12, 0
	v_add3_u32 v8, v8, v11, v1
	v_add3_u32 v40, v61, v40, v60
	v_add3_u32 v54, v61, v54, v60
	v_add_co_u32 v60, vcc_lo, s10, v5
	v_add_co_ci_u32_e32 v61, vcc_lo, s11, v6, vcc_lo
	v_lshlrev_b64 v[5:6], 1, v[7:8]
	v_add3_u32 v10, v10, v14, v13
	v_add_co_u32 v1, vcc_lo, v74, 5
	v_add_co_ci_u32_e32 v11, vcc_lo, 0, v75, vcc_lo
	s_delay_alu instid0(VALU_DEP_4) | instskip(NEXT) | instid1(VALU_DEP_4)
	v_add_co_u32 v62, vcc_lo, s8, v5
	v_lshlrev_b64 v[7:8], 1, v[9:10]
	v_add_co_ci_u32_e32 v63, vcc_lo, s9, v6, vcc_lo
	v_mul_lo_u32 v12, s7, v1
	v_mul_lo_u32 v11, s6, v11
	v_mad_u64_u32 v[9:10], null, s6, v1, 0
	v_add_co_u32 v64, vcc_lo, s10, v5
	v_add_co_ci_u32_e32 v65, vcc_lo, s11, v6, vcc_lo
	v_add_co_u32 v66, vcc_lo, s8, v7
	v_add_co_ci_u32_e32 v67, vcc_lo, s9, v8, vcc_lo
	s_mul_hi_u32 s2, s6, s15
	v_add_co_u32 v1, vcc_lo, v74, 4
	v_add3_u32 v10, v10, v11, v12
	s_add_i32 s3, s2, s16
	v_add_co_u32 v68, s2, s10, v7
	v_add_co_ci_u32_e32 v7, vcc_lo, 0, v75, vcc_lo
	v_add_co_u32 v12, vcc_lo, v74, 3
	v_lshlrev_b64 v[5:6], 1, v[9:10]
	v_add_co_ci_u32_e32 v9, vcc_lo, 0, v75, vcc_lo
	v_add_co_ci_u32_e64 v69, s2, s11, v8, s2
	v_mul_lo_u32 v11, s7, v1
	v_mul_lo_u32 v13, s6, v7
	v_mad_u64_u32 v[7:8], null, s6, v1, 0
	v_mul_lo_u32 v1, s7, v12
	v_mul_lo_u32 v14, s6, v9
	v_mad_u64_u32 v[9:10], null, s6, v12, 0
	v_add_co_u32 v70, vcc_lo, s8, v5
	v_add_co_ci_u32_e32 v71, vcc_lo, s9, v6, vcc_lo
	v_add3_u32 v8, v8, v13, v11
	v_add_co_u32 v72, vcc_lo, s10, v5
	v_add_co_ci_u32_e32 v73, vcc_lo, s11, v6, vcc_lo
	v_add3_u32 v10, v10, v14, v1
	v_add_co_u32 v1, vcc_lo, v74, 2
	v_lshlrev_b64 v[5:6], 1, v[7:8]
	v_add_co_ci_u32_e32 v11, vcc_lo, 0, v75, vcc_lo
	s_delay_alu instid0(VALU_DEP_4) | instskip(NEXT) | instid1(VALU_DEP_4)
	v_lshlrev_b64 v[7:8], 1, v[9:10]
	v_mul_lo_u32 v12, s7, v1
	v_mad_u64_u32 v[9:10], null, s6, v1, 0
	v_add_co_u32 v74, vcc_lo, s8, v5
	v_mul_lo_u32 v11, s6, v11
	v_add_co_ci_u32_e32 v75, vcc_lo, s9, v6, vcc_lo
	v_add_co_u32 v76, vcc_lo, s10, v5
	v_add_co_ci_u32_e32 v77, vcc_lo, s11, v6, vcc_lo
	v_add_co_u32 v78, vcc_lo, s8, v7
	v_add_co_ci_u32_e32 v79, vcc_lo, s9, v8, vcc_lo
	v_add3_u32 v10, v10, v11, v12
	v_add_co_u32 v80, vcc_lo, s10, v7
	v_add_co_ci_u32_e32 v81, vcc_lo, s11, v8, vcc_lo
	v_add_co_u32 v3, vcc_lo, v3, s6
	s_delay_alu instid0(VALU_DEP_4) | instskip(SKIP_3) | instid1(VALU_DEP_4)
	v_lshlrev_b64 v[5:6], 1, v[9:10]
	v_add_co_ci_u32_e32 v4, vcc_lo, s7, v4, vcc_lo
	v_mad_u64_u32 v[35:36], null, s6, v18, s[8:9]
	v_mul_lo_u32 v22, s7, v18
	v_add_co_u32 v82, vcc_lo, s8, v5
	s_delay_alu instid0(VALU_DEP_4)
	v_lshlrev_b64 v[3:4], 1, v[3:4]
	v_add_co_ci_u32_e32 v83, vcc_lo, s9, v6, vcc_lo
	v_mad_u64_u32 v[37:38], null, s6, v20, s[8:9]
	v_mul_lo_u32 v24, s7, v20
	v_mad_u64_u32 v[49:50], null, s6, v18, s[10:11]
	v_mad_u64_u32 v[51:52], null, s6, v20, s[10:11]
	v_add_co_u32 v84, vcc_lo, s10, v5
	v_add_co_ci_u32_e32 v85, vcc_lo, s11, v6, vcc_lo
	v_add_co_u32 v86, vcc_lo, s8, v3
	v_add_co_ci_u32_e32 v87, vcc_lo, s9, v4, vcc_lo
	v_add_co_u32 v88, vcc_lo, s10, v3
	v_add3_u32 v32, v16, v32, v15
	v_add3_u32 v34, v19, v34, v17
	;; [unrolled: 1-line block ×8, first 2 shown]
	v_add_co_ci_u32_e32 v89, vcc_lo, s11, v4, vcc_lo
	s_mul_i32 s2, s6, s15
	s_mov_b32 s16, 0
	s_lshl_b64 s[2:3], s[2:3], 1
.LBB207_53:                             ; =>This Inner Loop Header: Depth=1
	v_cmp_ge_i64_e64 s8, s[28:29], s[4:5]
	v_add_co_u32 v91, s9, v57, s28
	s_delay_alu instid0(VALU_DEP_1) | instskip(NEXT) | instid1(VALU_DEP_3)
	v_add_co_ci_u32_e64 v92, null, 0, s29, s9
	s_and_b32 vcc_lo, exec_lo, s8
	s_cbranch_vccz .LBB207_75
; %bb.54:                               ;   in Loop: Header=BB207_53 Depth=1
	s_load_b32 s8, s[26:27], 0xc
	v_mov_b32_e32 v93, 0
	s_waitcnt lgkmcnt(0)
	s_and_b32 s8, s8, 0xffff
	s_delay_alu instid0(SALU_CYCLE_1) | instskip(SKIP_1) | instid1(VALU_DEP_1)
	v_mad_u32_u24 v1, v56, s8, v55
	s_mov_b32 s8, exec_lo
	v_and_b32_e32 v1, 31, v1
	s_delay_alu instid0(VALU_DEP_1)
	v_cmpx_gt_u32_e32 8, v1
	s_cbranch_execz .LBB207_58
; %bb.55:                               ;   in Loop: Header=BB207_53 Depth=1
	v_add_co_u32 v1, vcc_lo, v91, v1
	v_add_co_ci_u32_e32 v4, vcc_lo, 0, v92, vcc_lo
	v_mov_b32_e32 v93, 0
	s_delay_alu instid0(VALU_DEP_3) | instskip(NEXT) | instid1(VALU_DEP_3)
	v_add_co_u32 v3, vcc_lo, 0xffffff01, v1
	v_add_co_ci_u32_e32 v4, vcc_lo, -1, v4, vcc_lo
	s_mov_b32 s9, exec_lo
	s_delay_alu instid0(VALU_DEP_1)
	v_cmpx_gt_i64_e64 s[4:5], v[3:4]
	s_cbranch_execz .LBB207_57
; %bb.56:                               ;   in Loop: Header=BB207_53 Depth=1
	v_lshlrev_b64 v[3:4], 2, v[3:4]
	s_delay_alu instid0(VALU_DEP_1) | instskip(NEXT) | instid1(VALU_DEP_2)
	v_add_co_u32 v3, vcc_lo, s12, v3
	v_add_co_ci_u32_e32 v4, vcc_lo, s13, v4, vcc_lo
	global_load_b32 v93, v[3:4], off
.LBB207_57:                             ;   in Loop: Header=BB207_53 Depth=1
	s_or_b32 exec_lo, exec_lo, s9
.LBB207_58:                             ;   in Loop: Header=BB207_53 Depth=1
	s_delay_alu instid0(SALU_CYCLE_1)
	s_or_b32 exec_lo, exec_lo, s8
	s_mov_b32 s22, s16
	s_mov_b32 s23, s16
	;; [unrolled: 1-line block ×7, first 2 shown]
	v_dual_mov_b32 v9, s16 :: v_dual_mov_b32 v10, s17
	v_dual_mov_b32 v15, s22 :: v_dual_mov_b32 v16, s23
	;; [unrolled: 1-line block ×4, first 2 shown]
	v_add_co_u32 v3, vcc_lo, 0xffffff01, v91
	s_delay_alu instid0(VALU_DEP_4) | instskip(SKIP_1) | instid1(VALU_DEP_4)
	v_dual_mov_b32 v24, v16 :: v_dual_mov_b32 v23, v15
	v_add_co_ci_u32_e32 v4, vcc_lo, -1, v92, vcc_lo
	v_dual_mov_b32 v22, v14 :: v_dual_mov_b32 v21, v13
	v_dual_mov_b32 v20, v12 :: v_dual_mov_b32 v19, v11
	;; [unrolled: 1-line block ×3, first 2 shown]
	s_mov_b32 s8, exec_lo
	v_cmpx_gt_i64_e64 s[4:5], v[3:4]
	s_cbranch_execz .LBB207_60
; %bb.59:                               ;   in Loop: Header=BB207_53 Depth=1
	v_add_co_u32 v3, vcc_lo, v58, v25
	v_add_co_ci_u32_e32 v4, vcc_lo, v59, v26, vcc_lo
	v_add_co_u32 v5, vcc_lo, v60, v25
	v_add_co_ci_u32_e32 v6, vcc_lo, v61, v26, vcc_lo
	v_mov_b32_e32 v8, v2
	global_load_u16 v1, v[3:4], off
	global_load_u16 v9, v[5:6], off
	v_mov_b32_e32 v3, v2
	v_mov_b32_e32 v4, v2
	v_mov_b32_e32 v5, v2
	v_mov_b32_e32 v6, v2
	v_mov_b32_e32 v7, v2
	v_mov_b32_e32 v15, v2
	s_waitcnt vmcnt(1)
	v_lshlrev_b32_e32 v1, 16, v1
	s_waitcnt vmcnt(0)
	v_lshlrev_b32_e32 v9, 16, v9
	v_dual_mov_b32 v11, v2 :: v_dual_mov_b32 v24, v8
	v_dual_mov_b32 v10, v2 :: v_dual_mov_b32 v23, v7
	;; [unrolled: 1-line block ×6, first 2 shown]
	v_mov_b32_e32 v22, v6
	v_mov_b32_e32 v18, v2
.LBB207_60:                             ;   in Loop: Header=BB207_53 Depth=1
	s_or_b32 exec_lo, exec_lo, s8
	v_add_co_u32 v3, vcc_lo, 0xffffff02, v91
	v_add_co_ci_u32_e32 v4, vcc_lo, -1, v92, vcc_lo
	s_mov_b32 s8, exec_lo
	s_delay_alu instid0(VALU_DEP_1)
	v_cmpx_gt_i64_e64 s[4:5], v[3:4]
	s_cbranch_execz .LBB207_62
; %bb.61:                               ;   in Loop: Header=BB207_53 Depth=1
	v_add_co_u32 v3, vcc_lo, v86, v25
	v_add_co_ci_u32_e32 v4, vcc_lo, v87, v26, vcc_lo
	v_add_co_u32 v5, vcc_lo, v88, v25
	v_add_co_ci_u32_e32 v6, vcc_lo, v89, v26, vcc_lo
	global_load_u16 v1, v[3:4], off
	global_load_u16 v3, v[5:6], off
	s_waitcnt vmcnt(1)
	v_lshlrev_b32_e32 v18, 16, v1
	s_waitcnt vmcnt(0)
	v_lshlrev_b32_e32 v10, 16, v3
.LBB207_62:                             ;   in Loop: Header=BB207_53 Depth=1
	s_or_b32 exec_lo, exec_lo, s8
	v_add_co_u32 v3, vcc_lo, 0xffffff03, v91
	v_add_co_ci_u32_e32 v4, vcc_lo, -1, v92, vcc_lo
	s_mov_b32 s8, exec_lo
	s_delay_alu instid0(VALU_DEP_1)
	v_cmpx_gt_i64_e64 s[4:5], v[3:4]
	s_cbranch_execz .LBB207_64
; %bb.63:                               ;   in Loop: Header=BB207_53 Depth=1
	v_add_co_u32 v3, vcc_lo, v82, v25
	v_add_co_ci_u32_e32 v4, vcc_lo, v83, v26, vcc_lo
	v_add_co_u32 v5, vcc_lo, v84, v25
	v_add_co_ci_u32_e32 v6, vcc_lo, v85, v26, vcc_lo
	global_load_u16 v1, v[3:4], off
	global_load_u16 v3, v[5:6], off
	s_waitcnt vmcnt(1)
	v_lshlrev_b32_e32 v19, 16, v1
	s_waitcnt vmcnt(0)
	v_lshlrev_b32_e32 v11, 16, v3
.LBB207_64:                             ;   in Loop: Header=BB207_53 Depth=1
	;; [unrolled: 19-line block ×7, first 2 shown]
	s_or_b32 exec_lo, exec_lo, s8
	s_waitcnt vmcnt(0)
	ds_bpermute_b32 v1, v2, v93
	ds_bpermute_b32 v3, v2, v93 offset:4
	ds_bpermute_b32 v4, v2, v93 offset:8
	v_mul_f32_e32 v5, v9, v17
	ds_bpermute_b32 v6, v2, v93 offset:12
	v_mul_f32_e32 v7, v10, v18
	ds_bpermute_b32 v8, v2, v93 offset:16
	ds_bpermute_b32 v9, v2, v93 offset:20
	s_waitcnt lgkmcnt(5)
	v_fma_f32 v1, v5, v1, v90
	v_mul_f32_e32 v5, v11, v19
	s_waitcnt lgkmcnt(4)
	s_delay_alu instid0(VALU_DEP_2)
	v_fmac_f32_e32 v1, v7, v3
	v_mul_f32_e32 v3, v12, v20
	ds_bpermute_b32 v7, v2, v93 offset:24
	s_waitcnt lgkmcnt(4)
	v_fmac_f32_e32 v1, v5, v4
	v_dual_mul_f32 v4, v13, v21 :: v_dual_mul_f32 v5, v14, v22
	s_waitcnt lgkmcnt(3)
	s_delay_alu instid0(VALU_DEP_2) | instskip(SKIP_4) | instid1(VALU_DEP_1)
	v_fmac_f32_e32 v1, v3, v6
	ds_bpermute_b32 v3, v2, v93 offset:28
	s_waitcnt lgkmcnt(3)
	v_dual_fmac_f32 v1, v4, v8 :: v_dual_mul_f32 v4, v15, v23
	s_waitcnt lgkmcnt(2)
	v_fmac_f32_e32 v1, v5, v9
	s_waitcnt lgkmcnt(1)
	s_delay_alu instid0(VALU_DEP_1) | instskip(SKIP_2) | instid1(VALU_DEP_1)
	v_fmac_f32_e32 v1, v4, v7
	v_mul_f32_e32 v4, v16, v24
	s_waitcnt lgkmcnt(0)
	v_fmac_f32_e32 v1, v4, v3
	s_branch .LBB207_81
.LBB207_75:                             ;   in Loop: Header=BB207_53 Depth=1
                                        ; implicit-def: $vgpr1
	s_cbranch_execz .LBB207_81
; %bb.76:                               ;   in Loop: Header=BB207_53 Depth=1
	s_load_b32 s8, s[26:27], 0x0
	s_waitcnt lgkmcnt(0)
	s_cmp_lt_u32 s14, s8
	s_cselect_b32 s8, 12, 18
	s_delay_alu instid0(SALU_CYCLE_1)
	s_add_u32 s8, s26, s8
	s_addc_u32 s9, s27, 0
	global_load_u16 v1, v2, s[8:9]
	s_mov_b32 s8, exec_lo
	s_waitcnt vmcnt(0)
	v_mad_u32_u24 v1, v56, v1, v55
	s_delay_alu instid0(VALU_DEP_1) | instskip(SKIP_1) | instid1(VALU_DEP_2)
	v_and_b32_e32 v3, 31, v1
	v_mov_b32_e32 v1, 0
	v_cmpx_gt_u32_e32 8, v3
	s_cbranch_execz .LBB207_80
; %bb.77:                               ;   in Loop: Header=BB207_53 Depth=1
	v_add_co_u32 v1, vcc_lo, v91, v3
	v_add_co_ci_u32_e32 v4, vcc_lo, 0, v92, vcc_lo
	s_mov_b32 s9, exec_lo
	s_delay_alu instid0(VALU_DEP_2) | instskip(NEXT) | instid1(VALU_DEP_2)
	v_add_co_u32 v3, vcc_lo, 0xffffff01, v1
	v_add_co_ci_u32_e32 v4, vcc_lo, -1, v4, vcc_lo
	v_mov_b32_e32 v1, 0
	s_delay_alu instid0(VALU_DEP_2)
	v_cmpx_gt_i64_e64 s[4:5], v[3:4]
	s_cbranch_execz .LBB207_79
; %bb.78:                               ;   in Loop: Header=BB207_53 Depth=1
	v_lshlrev_b64 v[3:4], 2, v[3:4]
	s_delay_alu instid0(VALU_DEP_1) | instskip(NEXT) | instid1(VALU_DEP_2)
	v_add_co_u32 v3, vcc_lo, s12, v3
	v_add_co_ci_u32_e32 v4, vcc_lo, s13, v4, vcc_lo
	global_load_b32 v1, v[3:4], off
.LBB207_79:                             ;   in Loop: Header=BB207_53 Depth=1
	s_or_b32 exec_lo, exec_lo, s9
.LBB207_80:                             ;   in Loop: Header=BB207_53 Depth=1
	s_delay_alu instid0(SALU_CYCLE_1)
	s_or_b32 exec_lo, exec_lo, s8
	v_add_co_u32 v3, vcc_lo, v58, v25
	v_add_co_ci_u32_e32 v4, vcc_lo, v59, v26, vcc_lo
	v_add_co_u32 v5, vcc_lo, v60, v25
	v_add_co_ci_u32_e32 v6, vcc_lo, v61, v26, vcc_lo
	;; [unrolled: 2-line block ×4, first 2 shown]
	global_load_u16 v13, v[3:4], off
	global_load_u16 v14, v[5:6], off
	;; [unrolled: 1-line block ×4, first 2 shown]
	v_add_co_u32 v3, vcc_lo, v29, v25
	v_add_co_ci_u32_e32 v4, vcc_lo, v30, v26, vcc_lo
	v_add_co_u32 v5, vcc_lo, v43, v25
	v_add_co_ci_u32_e32 v6, vcc_lo, v44, v26, vcc_lo
	global_load_u16 v17, v[3:4], off
	v_add_co_u32 v3, vcc_lo, v31, v25
	v_add_co_ci_u32_e32 v4, vcc_lo, v32, v26, vcc_lo
	v_add_co_u32 v7, vcc_lo, v45, v25
	v_add_co_ci_u32_e32 v8, vcc_lo, v46, v26, vcc_lo
	;; [unrolled: 2-line block ×4, first 2 shown]
	global_load_u16 v18, v[5:6], off
	global_load_u16 v19, v[3:4], off
	;; [unrolled: 1-line block ×5, first 2 shown]
	v_add_co_u32 v3, vcc_lo, v35, v25
	v_add_co_ci_u32_e32 v4, vcc_lo, v36, v26, vcc_lo
	v_add_co_u32 v5, vcc_lo, v49, v25
	v_add_co_ci_u32_e32 v6, vcc_lo, v50, v26, vcc_lo
	v_add_co_u32 v7, vcc_lo, v37, v25
	v_add_co_ci_u32_e32 v8, vcc_lo, v38, v26, vcc_lo
	v_add_co_u32 v9, vcc_lo, v51, v25
	v_add_co_ci_u32_e32 v10, vcc_lo, v52, v26, vcc_lo
	global_load_u16 v12, v[3:4], off
	global_load_u16 v22, v[5:6], off
	global_load_u16 v7, v[7:8], off
	global_load_u16 v8, v[9:10], off
	v_add_co_u32 v3, vcc_lo, v53, v25
	v_add_co_ci_u32_e32 v4, vcc_lo, v54, v26, vcc_lo
	v_add_co_u32 v5, vcc_lo, v39, v25
	v_add_co_ci_u32_e32 v6, vcc_lo, v40, v26, vcc_lo
	global_load_u16 v3, v[3:4], off
	global_load_u16 v4, v[5:6], off
	s_waitcnt vmcnt(16)
	ds_bpermute_b32 v5, v2, v1
	ds_bpermute_b32 v6, v2, v1 offset:4
	ds_bpermute_b32 v9, v2, v1 offset:8
	s_waitcnt vmcnt(13)
	v_lshlrev_b32_e32 v15, 16, v15
	s_waitcnt vmcnt(11)
	v_lshlrev_b32_e32 v17, 16, v17
	;; [unrolled: 2-line block ×3, first 2 shown]
	v_lshlrev_b32_e32 v18, 16, v18
	s_delay_alu instid0(VALU_DEP_1) | instskip(NEXT) | instid1(VALU_DEP_1)
	v_dual_mul_f32 v17, v17, v18 :: v_dual_lshlrev_b32 v16, 16, v16
	v_dual_mul_f32 v15, v15, v16 :: v_dual_lshlrev_b32 v10, 16, v14
	v_lshlrev_b32_e32 v13, 16, v13
	ds_bpermute_b32 v14, v2, v1 offset:12
	v_mul_f32_e32 v10, v13, v10
	ds_bpermute_b32 v13, v2, v1 offset:16
	s_waitcnt vmcnt(3)
	v_lshlrev_b32_e32 v7, 16, v7
	s_waitcnt vmcnt(2)
	v_lshlrev_b32_e32 v8, 16, v8
	v_lshlrev_b32_e32 v16, 16, v19
	s_waitcnt lgkmcnt(4)
	v_fmac_f32_e32 v90, v10, v5
	ds_bpermute_b32 v5, v2, v1 offset:20
	v_mul_f32_e32 v7, v7, v8
	s_waitcnt lgkmcnt(4)
	v_fmac_f32_e32 v90, v15, v6
	ds_bpermute_b32 v6, v2, v1 offset:24
	ds_bpermute_b32 v1, v2, v1 offset:28
	s_waitcnt vmcnt(1)
	v_lshlrev_b32_e32 v3, 16, v3
	s_waitcnt vmcnt(0)
	v_lshlrev_b32_e32 v4, 16, v4
	s_waitcnt lgkmcnt(5)
	v_dual_fmac_f32 v90, v17, v9 :: v_dual_lshlrev_b32 v9, 16, v22
	s_delay_alu instid0(VALU_DEP_2) | instskip(NEXT) | instid1(VALU_DEP_1)
	v_dual_mul_f32 v3, v4, v3 :: v_dual_lshlrev_b32 v12, 16, v12
	v_dual_mul_f32 v9, v12, v9 :: v_dual_lshlrev_b32 v10, 16, v20
	s_delay_alu instid0(VALU_DEP_1) | instskip(SKIP_1) | instid1(VALU_DEP_1)
	v_dual_mul_f32 v10, v16, v10 :: v_dual_lshlrev_b32 v15, 16, v21
	s_waitcnt lgkmcnt(4)
	v_dual_fmac_f32 v90, v10, v14 :: v_dual_mul_f32 v11, v15, v11
	s_waitcnt lgkmcnt(3)
	s_delay_alu instid0(VALU_DEP_1) | instskip(SKIP_1) | instid1(VALU_DEP_1)
	v_fmac_f32_e32 v90, v11, v13
	s_waitcnt lgkmcnt(2)
	v_fmac_f32_e32 v90, v9, v5
	s_waitcnt lgkmcnt(1)
	s_delay_alu instid0(VALU_DEP_1) | instskip(SKIP_1) | instid1(VALU_DEP_1)
	v_fmac_f32_e32 v90, v7, v6
	s_waitcnt lgkmcnt(0)
	v_fmac_f32_e32 v90, v3, v1
	s_delay_alu instid0(VALU_DEP_1)
	v_mov_b32_e32 v1, v90
.LBB207_81:                             ;   in Loop: Header=BB207_53 Depth=1
	v_add_co_u32 v27, vcc_lo, v27, s2
	v_add_co_ci_u32_e32 v28, vcc_lo, s3, v28, vcc_lo
	v_add_co_u32 v29, vcc_lo, v29, s2
	v_add_co_ci_u32_e32 v30, vcc_lo, s3, v30, vcc_lo
	;; [unrolled: 2-line block ×27, first 2 shown]
	v_add_co_u32 v84, vcc_lo, v84, s2
	s_add_u32 s24, s24, s15
	v_add_co_ci_u32_e32 v85, vcc_lo, s3, v85, vcc_lo
	s_addc_u32 s25, s25, 0
	v_add_co_u32 v86, vcc_lo, v86, s2
	v_cmp_ge_i64_e64 s8, s[24:25], s[4:5]
	v_add_co_ci_u32_e32 v87, vcc_lo, s3, v87, vcc_lo
	v_add_co_u32 v88, vcc_lo, v88, s2
	v_add_co_ci_u32_e32 v89, vcc_lo, s3, v89, vcc_lo
	s_add_u32 s28, s28, s15
	s_addc_u32 s29, s29, 0
	s_and_b32 vcc_lo, exec_lo, s8
	s_cbranch_vccnz .LBB207_83
; %bb.82:                               ;   in Loop: Header=BB207_53 Depth=1
	v_mov_b32_e32 v90, v1
	s_branch .LBB207_53
.LBB207_83:
	v_and_b32_e32 v2, 0x3ff, v0
	v_bfe_u32 v0, v0, 10, 10
	s_mov_b32 s15, 0
	s_mov_b32 s2, exec_lo
	s_delay_alu instid0(VALU_DEP_2) | instskip(NEXT) | instid1(VALU_DEP_2)
	v_lshrrev_b32_e32 v3, 5, v2
	v_mad_u32_u24 v4, v0, 33, v2
	s_delay_alu instid0(VALU_DEP_2) | instskip(NEXT) | instid1(VALU_DEP_2)
	v_add_nc_u32_e32 v0, v3, v0
	v_lshl_add_u32 v3, v4, 2, 0
	v_mov_b32_e32 v4, 0
	ds_store_b32 v3, v1
	ds_store_b32 v3, v4 offset:4224
	s_waitcnt lgkmcnt(0)
	s_barrier
	buffer_gl0_inv
	v_cmpx_gt_u32_e32 32, v0
	s_cbranch_execz .LBB207_86
; %bb.84:
	v_and_b32_e32 v1, 31, v2
	v_lshlrev_b32_e32 v3, 2, v0
	s_load_b64 s[2:3], s[0:1], 0x30
	s_lshl_b64 s[0:1], s[14:15], 5
	s_delay_alu instid0(SALU_CYCLE_1) | instskip(SKIP_2) | instid1(VALU_DEP_2)
	v_or_b32_e32 v0, s0, v0
	v_mul_u32_u24_e32 v1, 0x84, v1
	v_cmp_eq_u32_e64 s0, 0, v2
	v_add3_u32 v1, 0, v3, v1
	v_mbcnt_lo_u32_b32 v3, -1, 0
	ds_load_b32 v1, v1
	v_xor_b32_e32 v4, 16, v3
	v_xor_b32_e32 v5, 8, v3
	s_delay_alu instid0(VALU_DEP_2) | instskip(SKIP_4) | instid1(VALU_DEP_2)
	v_cmp_gt_i32_e32 vcc_lo, 32, v4
	s_waitcnt lgkmcnt(0)
	s_cmp_lg_u64 s[2:3], 0
	v_cndmask_b32_e32 v4, v3, v4, vcc_lo
	v_cmp_gt_i32_e32 vcc_lo, 32, v5
	v_dual_cndmask_b32 v5, v3, v5 :: v_dual_lshlrev_b32 v4, 2, v4
	ds_bpermute_b32 v4, v4, v1
	v_lshlrev_b32_e32 v5, 2, v5
	s_waitcnt lgkmcnt(0)
	v_add_f32_e32 v1, v1, v4
	ds_bpermute_b32 v4, v5, v1
	v_xor_b32_e32 v5, 4, v3
	s_delay_alu instid0(VALU_DEP_1) | instskip(SKIP_1) | instid1(VALU_DEP_1)
	v_cmp_gt_i32_e32 vcc_lo, 32, v5
	v_cndmask_b32_e32 v5, v3, v5, vcc_lo
	v_lshlrev_b32_e32 v5, 2, v5
	s_waitcnt lgkmcnt(0)
	v_add_f32_e32 v1, v1, v4
	ds_bpermute_b32 v4, v5, v1
	v_xor_b32_e32 v5, 2, v3
	s_delay_alu instid0(VALU_DEP_1) | instskip(SKIP_1) | instid1(VALU_DEP_1)
	v_cmp_gt_i32_e32 vcc_lo, 32, v5
	v_cndmask_b32_e32 v5, v3, v5, vcc_lo
	v_lshlrev_b32_e32 v5, 2, v5
	s_waitcnt lgkmcnt(0)
	v_add_f32_e32 v1, v1, v4
	ds_bpermute_b32 v4, v5, v1
	v_xor_b32_e32 v5, 1, v3
	s_delay_alu instid0(VALU_DEP_1) | instskip(SKIP_3) | instid1(VALU_DEP_2)
	v_cmp_gt_i32_e32 vcc_lo, 32, v5
	v_cndmask_b32_e32 v5, v3, v5, vcc_lo
	s_waitcnt lgkmcnt(0)
	v_add_f32_e32 v3, v1, v4
	v_lshlrev_b32_e32 v1, 2, v5
	ds_bpermute_b32 v4, v1, v3
	v_mov_b32_e32 v1, s1
	s_cselect_b32 s1, -1, 0
	s_delay_alu instid0(VALU_DEP_1) | instskip(SKIP_1) | instid1(SALU_CYCLE_1)
	v_cmp_gt_i64_e32 vcc_lo, s[6:7], v[0:1]
	s_and_b32 s0, s0, vcc_lo
	s_and_b32 s0, s1, s0
	s_delay_alu instid0(SALU_CYCLE_1)
	s_and_b32 exec_lo, exec_lo, s0
	s_cbranch_execz .LBB207_86
; %bb.85:
	s_waitcnt lgkmcnt(0)
	v_add_f32_e32 v2, v3, v4
	v_lshlrev_b64 v[0:1], 1, v[0:1]
	s_delay_alu instid0(VALU_DEP_2) | instskip(SKIP_1) | instid1(VALU_DEP_2)
	v_bfe_u32 v3, v2, 16, 1
	v_cmp_o_f32_e32 vcc_lo, v2, v2
	v_add3_u32 v3, v2, v3, 0x7fff
	s_delay_alu instid0(VALU_DEP_1) | instskip(NEXT) | instid1(VALU_DEP_1)
	v_lshrrev_b32_e32 v3, 16, v3
	v_cndmask_b32_e32 v2, 0x7fc0, v3, vcc_lo
	v_add_co_u32 v0, vcc_lo, s2, v0
	v_add_co_ci_u32_e32 v1, vcc_lo, s3, v1, vcc_lo
	global_store_b16 v[0:1], v2, off
.LBB207_86:
	s_nop 0
	s_sendmsg sendmsg(MSG_DEALLOC_VGPRS)
	s_endpgm
	.section	.rodata,"a",@progbits
	.p2align	6, 0x0
	.amdhsa_kernel _ZN2at6native12_GLOBAL__N_135GammaBetaBackwardCUDAKernelTemplateIN3c108BFloat16EfLj32ELj32ELj256ELb0ELb0ELb1EEEvllPKT_S7_PKT0_SA_PS5_SB_
		.amdhsa_group_segment_fixed_size 0
		.amdhsa_private_segment_fixed_size 0
		.amdhsa_kernarg_size 320
		.amdhsa_user_sgpr_count 14
		.amdhsa_user_sgpr_dispatch_ptr 0
		.amdhsa_user_sgpr_queue_ptr 0
		.amdhsa_user_sgpr_kernarg_segment_ptr 1
		.amdhsa_user_sgpr_dispatch_id 0
		.amdhsa_user_sgpr_private_segment_size 0
		.amdhsa_wavefront_size32 1
		.amdhsa_uses_dynamic_stack 0
		.amdhsa_enable_private_segment 0
		.amdhsa_system_sgpr_workgroup_id_x 1
		.amdhsa_system_sgpr_workgroup_id_y 1
		.amdhsa_system_sgpr_workgroup_id_z 0
		.amdhsa_system_sgpr_workgroup_info 0
		.amdhsa_system_vgpr_workitem_id 1
		.amdhsa_next_free_vgpr 94
		.amdhsa_next_free_sgpr 37
		.amdhsa_reserve_vcc 1
		.amdhsa_float_round_mode_32 0
		.amdhsa_float_round_mode_16_64 0
		.amdhsa_float_denorm_mode_32 3
		.amdhsa_float_denorm_mode_16_64 3
		.amdhsa_dx10_clamp 1
		.amdhsa_ieee_mode 1
		.amdhsa_fp16_overflow 0
		.amdhsa_workgroup_processor_mode 1
		.amdhsa_memory_ordered 1
		.amdhsa_forward_progress 0
		.amdhsa_shared_vgpr_count 0
		.amdhsa_exception_fp_ieee_invalid_op 0
		.amdhsa_exception_fp_denorm_src 0
		.amdhsa_exception_fp_ieee_div_zero 0
		.amdhsa_exception_fp_ieee_overflow 0
		.amdhsa_exception_fp_ieee_underflow 0
		.amdhsa_exception_fp_ieee_inexact 0
		.amdhsa_exception_int_div_zero 0
	.end_amdhsa_kernel
	.section	.text._ZN2at6native12_GLOBAL__N_135GammaBetaBackwardCUDAKernelTemplateIN3c108BFloat16EfLj32ELj32ELj256ELb0ELb0ELb1EEEvllPKT_S7_PKT0_SA_PS5_SB_,"axG",@progbits,_ZN2at6native12_GLOBAL__N_135GammaBetaBackwardCUDAKernelTemplateIN3c108BFloat16EfLj32ELj32ELj256ELb0ELb0ELb1EEEvllPKT_S7_PKT0_SA_PS5_SB_,comdat
.Lfunc_end207:
	.size	_ZN2at6native12_GLOBAL__N_135GammaBetaBackwardCUDAKernelTemplateIN3c108BFloat16EfLj32ELj32ELj256ELb0ELb0ELb1EEEvllPKT_S7_PKT0_SA_PS5_SB_, .Lfunc_end207-_ZN2at6native12_GLOBAL__N_135GammaBetaBackwardCUDAKernelTemplateIN3c108BFloat16EfLj32ELj32ELj256ELb0ELb0ELb1EEEvllPKT_S7_PKT0_SA_PS5_SB_
                                        ; -- End function
	.section	.AMDGPU.csdata,"",@progbits
; Kernel info:
; codeLenInByte = 7744
; NumSgprs: 39
; NumVgprs: 94
; ScratchSize: 0
; MemoryBound: 0
; FloatMode: 240
; IeeeMode: 1
; LDSByteSize: 0 bytes/workgroup (compile time only)
; SGPRBlocks: 4
; VGPRBlocks: 11
; NumSGPRsForWavesPerEU: 39
; NumVGPRsForWavesPerEU: 94
; Occupancy: 16
; WaveLimiterHint : 0
; COMPUTE_PGM_RSRC2:SCRATCH_EN: 0
; COMPUTE_PGM_RSRC2:USER_SGPR: 14
; COMPUTE_PGM_RSRC2:TRAP_HANDLER: 0
; COMPUTE_PGM_RSRC2:TGID_X_EN: 1
; COMPUTE_PGM_RSRC2:TGID_Y_EN: 1
; COMPUTE_PGM_RSRC2:TGID_Z_EN: 0
; COMPUTE_PGM_RSRC2:TIDIG_COMP_CNT: 1
	.text
	.p2alignl 7, 3214868480
	.fill 96, 4, 3214868480
	.type	__hip_cuid_f4b9b7480b863719,@object ; @__hip_cuid_f4b9b7480b863719
	.section	.bss,"aw",@nobits
	.globl	__hip_cuid_f4b9b7480b863719
__hip_cuid_f4b9b7480b863719:
	.byte	0                               ; 0x0
	.size	__hip_cuid_f4b9b7480b863719, 1

	.ident	"AMD clang version 19.0.0git (https://github.com/RadeonOpenCompute/llvm-project roc-6.4.0 25133 c7fe45cf4b819c5991fe208aaa96edf142730f1d)"
	.section	".note.GNU-stack","",@progbits
	.addrsig
	.addrsig_sym __hip_cuid_f4b9b7480b863719
	.amdgpu_metadata
---
amdhsa.kernels:
  - .args:
      - .offset:         0
        .size:           4
        .value_kind:     by_value
      - .offset:         8
        .size:           8
        .value_kind:     by_value
      - .actual_access:  read_only
        .address_space:  global
        .offset:         16
        .size:           8
        .value_kind:     global_buffer
      - .address_space:  global
        .offset:         24
        .size:           8
        .value_kind:     global_buffer
      - .address_space:  global
        .offset:         32
        .size:           8
        .value_kind:     global_buffer
      - .address_space:  global
        .offset:         40
        .size:           8
        .value_kind:     global_buffer
      - .address_space:  global
        .offset:         48
        .size:           8
        .value_kind:     global_buffer
      - .address_space:  global
        .offset:         56
        .size:           8
        .value_kind:     global_buffer
    .group_segment_fixed_size: 0
    .kernarg_segment_align: 8
    .kernarg_segment_size: 64
    .language:       OpenCL C
    .language_version:
      - 2
      - 0
    .max_flat_workgroup_size: 1024
    .name:           _ZN2at6native12_GLOBAL__N_128vectorized_layer_norm_kernelIddLb0EEEviT0_PKT_S6_S6_PS3_S7_PS4_
    .private_segment_fixed_size: 0
    .sgpr_count:     1
    .sgpr_spill_count: 0
    .symbol:         _ZN2at6native12_GLOBAL__N_128vectorized_layer_norm_kernelIddLb0EEEviT0_PKT_S6_S6_PS3_S7_PS4_.kd
    .uniform_work_group_size: 1
    .uses_dynamic_stack: false
    .vgpr_count:     0
    .vgpr_spill_count: 0
    .wavefront_size: 32
    .workgroup_processor_mode: 1
  - .args:
      - .offset:         0
        .size:           8
        .value_kind:     by_value
      - .offset:         8
        .size:           8
        .value_kind:     by_value
      - .address_space:  global
        .offset:         16
        .size:           8
        .value_kind:     global_buffer
      - .address_space:  global
        .offset:         24
        .size:           8
        .value_kind:     global_buffer
      - .address_space:  global
        .offset:         32
        .size:           8
        .value_kind:     global_buffer
      - .offset:         40
        .size:           4
        .value_kind:     hidden_block_count_x
      - .offset:         44
        .size:           4
        .value_kind:     hidden_block_count_y
      - .offset:         48
        .size:           4
        .value_kind:     hidden_block_count_z
      - .offset:         52
        .size:           2
        .value_kind:     hidden_group_size_x
      - .offset:         54
        .size:           2
        .value_kind:     hidden_group_size_y
      - .offset:         56
        .size:           2
        .value_kind:     hidden_group_size_z
      - .offset:         58
        .size:           2
        .value_kind:     hidden_remainder_x
      - .offset:         60
        .size:           2
        .value_kind:     hidden_remainder_y
      - .offset:         62
        .size:           2
        .value_kind:     hidden_remainder_z
      - .offset:         80
        .size:           8
        .value_kind:     hidden_global_offset_x
      - .offset:         88
        .size:           8
        .value_kind:     hidden_global_offset_y
      - .offset:         96
        .size:           8
        .value_kind:     hidden_global_offset_z
      - .offset:         104
        .size:           2
        .value_kind:     hidden_grid_dims
    .group_segment_fixed_size: 1024
    .kernarg_segment_align: 8
    .kernarg_segment_size: 296
    .language:       OpenCL C
    .language_version:
      - 2
      - 0
    .max_flat_workgroup_size: 1024
    .name:           _ZN2at6native12_GLOBAL__N_124RowwiseMomentsCUDAKernelIddLb0EEEvlT0_PKT_PS3_S7_
    .private_segment_fixed_size: 0
    .sgpr_count:     22
    .sgpr_spill_count: 0
    .symbol:         _ZN2at6native12_GLOBAL__N_124RowwiseMomentsCUDAKernelIddLb0EEEvlT0_PKT_PS3_S7_.kd
    .uniform_work_group_size: 1
    .uses_dynamic_stack: false
    .vgpr_count:     30
    .vgpr_spill_count: 0
    .wavefront_size: 32
    .workgroup_processor_mode: 1
  - .args:
      - .offset:         0
        .size:           8
        .value_kind:     by_value
      - .address_space:  global
        .offset:         8
        .size:           8
        .value_kind:     global_buffer
      - .address_space:  global
        .offset:         16
        .size:           8
        .value_kind:     global_buffer
      - .address_space:  global
        .offset:         24
        .size:           8
        .value_kind:     global_buffer
      - .address_space:  global
        .offset:         32
        .size:           8
        .value_kind:     global_buffer
      - .address_space:  global
        .offset:         40
        .size:           8
        .value_kind:     global_buffer
      - .address_space:  global
        .offset:         48
        .size:           8
        .value_kind:     global_buffer
      - .offset:         56
        .size:           4
        .value_kind:     hidden_block_count_x
      - .offset:         60
        .size:           4
        .value_kind:     hidden_block_count_y
      - .offset:         64
        .size:           4
        .value_kind:     hidden_block_count_z
      - .offset:         68
        .size:           2
        .value_kind:     hidden_group_size_x
      - .offset:         70
        .size:           2
        .value_kind:     hidden_group_size_y
      - .offset:         72
        .size:           2
        .value_kind:     hidden_group_size_z
      - .offset:         74
        .size:           2
        .value_kind:     hidden_remainder_x
      - .offset:         76
        .size:           2
        .value_kind:     hidden_remainder_y
      - .offset:         78
        .size:           2
        .value_kind:     hidden_remainder_z
      - .offset:         96
        .size:           8
        .value_kind:     hidden_global_offset_x
      - .offset:         104
        .size:           8
        .value_kind:     hidden_global_offset_y
      - .offset:         112
        .size:           8
        .value_kind:     hidden_global_offset_z
      - .offset:         120
        .size:           2
        .value_kind:     hidden_grid_dims
    .group_segment_fixed_size: 0
    .kernarg_segment_align: 8
    .kernarg_segment_size: 312
    .language:       OpenCL C
    .language_version:
      - 2
      - 0
    .max_flat_workgroup_size: 1024
    .name:           _ZN2at6native12_GLOBAL__N_126LayerNormForwardCUDAKernelIddLb0EEEvlPKT_PKT0_S8_S5_S5_PS3_
    .private_segment_fixed_size: 0
    .sgpr_count:     26
    .sgpr_spill_count: 0
    .symbol:         _ZN2at6native12_GLOBAL__N_126LayerNormForwardCUDAKernelIddLb0EEEvlPKT_PKT0_S8_S5_S5_PS3_.kd
    .uniform_work_group_size: 1
    .uses_dynamic_stack: false
    .vgpr_count:     16
    .vgpr_spill_count: 0
    .wavefront_size: 32
    .workgroup_processor_mode: 1
  - .args:
      - .offset:         0
        .size:           4
        .value_kind:     by_value
      - .offset:         4
        .size:           4
        .value_kind:     by_value
      - .actual_access:  read_only
        .address_space:  global
        .offset:         8
        .size:           8
        .value_kind:     global_buffer
      - .address_space:  global
        .offset:         16
        .size:           8
        .value_kind:     global_buffer
      - .address_space:  global
        .offset:         24
        .size:           8
        .value_kind:     global_buffer
      - .address_space:  global
        .offset:         32
        .size:           8
        .value_kind:     global_buffer
      - .address_space:  global
        .offset:         40
        .size:           8
        .value_kind:     global_buffer
      - .address_space:  global
        .offset:         48
        .size:           8
        .value_kind:     global_buffer
      - .offset:         56
        .size:           4
        .value_kind:     hidden_block_count_x
      - .offset:         60
        .size:           4
        .value_kind:     hidden_block_count_y
      - .offset:         64
        .size:           4
        .value_kind:     hidden_block_count_z
      - .offset:         68
        .size:           2
        .value_kind:     hidden_group_size_x
      - .offset:         70
        .size:           2
        .value_kind:     hidden_group_size_y
      - .offset:         72
        .size:           2
        .value_kind:     hidden_group_size_z
      - .offset:         74
        .size:           2
        .value_kind:     hidden_remainder_x
      - .offset:         76
        .size:           2
        .value_kind:     hidden_remainder_y
      - .offset:         78
        .size:           2
        .value_kind:     hidden_remainder_z
      - .offset:         96
        .size:           8
        .value_kind:     hidden_global_offset_x
      - .offset:         104
        .size:           8
        .value_kind:     hidden_global_offset_y
      - .offset:         112
        .size:           8
        .value_kind:     hidden_global_offset_z
      - .offset:         120
        .size:           2
        .value_kind:     hidden_grid_dims
      - .offset:         176
        .size:           4
        .value_kind:     hidden_dynamic_lds_size
    .group_segment_fixed_size: 0
    .kernarg_segment_align: 8
    .kernarg_segment_size: 312
    .language:       OpenCL C
    .language_version:
      - 2
      - 0
    .max_flat_workgroup_size: 1024
    .name:           _ZN2at6native12_GLOBAL__N_128vectorized_layer_norm_kernelIffLb0EEEviT0_PKT_S6_S6_PS3_S7_PS4_
    .private_segment_fixed_size: 0
    .sgpr_count:     26
    .sgpr_spill_count: 0
    .symbol:         _ZN2at6native12_GLOBAL__N_128vectorized_layer_norm_kernelIffLb0EEEviT0_PKT_S6_S6_PS3_S7_PS4_.kd
    .uniform_work_group_size: 1
    .uses_dynamic_stack: false
    .vgpr_count:     34
    .vgpr_spill_count: 0
    .wavefront_size: 32
    .workgroup_processor_mode: 1
  - .args:
      - .offset:         0
        .size:           8
        .value_kind:     by_value
      - .offset:         8
        .size:           4
        .value_kind:     by_value
      - .address_space:  global
        .offset:         16
        .size:           8
        .value_kind:     global_buffer
      - .address_space:  global
        .offset:         24
        .size:           8
        .value_kind:     global_buffer
      - .address_space:  global
        .offset:         32
        .size:           8
        .value_kind:     global_buffer
      - .offset:         40
        .size:           4
        .value_kind:     hidden_block_count_x
      - .offset:         44
        .size:           4
        .value_kind:     hidden_block_count_y
      - .offset:         48
        .size:           4
        .value_kind:     hidden_block_count_z
      - .offset:         52
        .size:           2
        .value_kind:     hidden_group_size_x
      - .offset:         54
        .size:           2
        .value_kind:     hidden_group_size_y
      - .offset:         56
        .size:           2
        .value_kind:     hidden_group_size_z
      - .offset:         58
        .size:           2
        .value_kind:     hidden_remainder_x
      - .offset:         60
        .size:           2
        .value_kind:     hidden_remainder_y
      - .offset:         62
        .size:           2
        .value_kind:     hidden_remainder_z
      - .offset:         80
        .size:           8
        .value_kind:     hidden_global_offset_x
      - .offset:         88
        .size:           8
        .value_kind:     hidden_global_offset_y
      - .offset:         96
        .size:           8
        .value_kind:     hidden_global_offset_z
      - .offset:         104
        .size:           2
        .value_kind:     hidden_grid_dims
    .group_segment_fixed_size: 768
    .kernarg_segment_align: 8
    .kernarg_segment_size: 296
    .language:       OpenCL C
    .language_version:
      - 2
      - 0
    .max_flat_workgroup_size: 1024
    .name:           _ZN2at6native12_GLOBAL__N_124RowwiseMomentsCUDAKernelIffLb0EEEvlT0_PKT_PS3_S7_
    .private_segment_fixed_size: 0
    .sgpr_count:     22
    .sgpr_spill_count: 0
    .symbol:         _ZN2at6native12_GLOBAL__N_124RowwiseMomentsCUDAKernelIffLb0EEEvlT0_PKT_PS3_S7_.kd
    .uniform_work_group_size: 1
    .uses_dynamic_stack: false
    .vgpr_count:     18
    .vgpr_spill_count: 0
    .wavefront_size: 32
    .workgroup_processor_mode: 1
  - .args:
      - .offset:         0
        .size:           8
        .value_kind:     by_value
      - .address_space:  global
        .offset:         8
        .size:           8
        .value_kind:     global_buffer
      - .address_space:  global
        .offset:         16
        .size:           8
        .value_kind:     global_buffer
      - .address_space:  global
        .offset:         24
        .size:           8
        .value_kind:     global_buffer
      - .address_space:  global
        .offset:         32
        .size:           8
        .value_kind:     global_buffer
      - .address_space:  global
        .offset:         40
        .size:           8
        .value_kind:     global_buffer
      - .address_space:  global
        .offset:         48
        .size:           8
        .value_kind:     global_buffer
      - .offset:         56
        .size:           4
        .value_kind:     hidden_block_count_x
      - .offset:         60
        .size:           4
        .value_kind:     hidden_block_count_y
      - .offset:         64
        .size:           4
        .value_kind:     hidden_block_count_z
      - .offset:         68
        .size:           2
        .value_kind:     hidden_group_size_x
      - .offset:         70
        .size:           2
        .value_kind:     hidden_group_size_y
      - .offset:         72
        .size:           2
        .value_kind:     hidden_group_size_z
      - .offset:         74
        .size:           2
        .value_kind:     hidden_remainder_x
      - .offset:         76
        .size:           2
        .value_kind:     hidden_remainder_y
      - .offset:         78
        .size:           2
        .value_kind:     hidden_remainder_z
      - .offset:         96
        .size:           8
        .value_kind:     hidden_global_offset_x
      - .offset:         104
        .size:           8
        .value_kind:     hidden_global_offset_y
      - .offset:         112
        .size:           8
        .value_kind:     hidden_global_offset_z
      - .offset:         120
        .size:           2
        .value_kind:     hidden_grid_dims
    .group_segment_fixed_size: 0
    .kernarg_segment_align: 8
    .kernarg_segment_size: 312
    .language:       OpenCL C
    .language_version:
      - 2
      - 0
    .max_flat_workgroup_size: 1024
    .name:           _ZN2at6native12_GLOBAL__N_126LayerNormForwardCUDAKernelIffLb0EEEvlPKT_PKT0_S8_S5_S5_PS3_
    .private_segment_fixed_size: 0
    .sgpr_count:     26
    .sgpr_spill_count: 0
    .symbol:         _ZN2at6native12_GLOBAL__N_126LayerNormForwardCUDAKernelIffLb0EEEvlPKT_PKT0_S8_S5_S5_PS3_.kd
    .uniform_work_group_size: 1
    .uses_dynamic_stack: false
    .vgpr_count:     10
    .vgpr_spill_count: 0
    .wavefront_size: 32
    .workgroup_processor_mode: 1
  - .args:
      - .offset:         0
        .size:           4
        .value_kind:     by_value
      - .offset:         4
        .size:           4
        .value_kind:     by_value
      - .actual_access:  read_only
        .address_space:  global
        .offset:         8
        .size:           8
        .value_kind:     global_buffer
      - .address_space:  global
        .offset:         16
        .size:           8
        .value_kind:     global_buffer
      - .address_space:  global
        .offset:         24
        .size:           8
        .value_kind:     global_buffer
      - .address_space:  global
        .offset:         32
        .size:           8
        .value_kind:     global_buffer
      - .address_space:  global
        .offset:         40
        .size:           8
        .value_kind:     global_buffer
      - .address_space:  global
        .offset:         48
        .size:           8
        .value_kind:     global_buffer
      - .offset:         56
        .size:           4
        .value_kind:     hidden_block_count_x
      - .offset:         60
        .size:           4
        .value_kind:     hidden_block_count_y
      - .offset:         64
        .size:           4
        .value_kind:     hidden_block_count_z
      - .offset:         68
        .size:           2
        .value_kind:     hidden_group_size_x
      - .offset:         70
        .size:           2
        .value_kind:     hidden_group_size_y
      - .offset:         72
        .size:           2
        .value_kind:     hidden_group_size_z
      - .offset:         74
        .size:           2
        .value_kind:     hidden_remainder_x
      - .offset:         76
        .size:           2
        .value_kind:     hidden_remainder_y
      - .offset:         78
        .size:           2
        .value_kind:     hidden_remainder_z
      - .offset:         96
        .size:           8
        .value_kind:     hidden_global_offset_x
      - .offset:         104
        .size:           8
        .value_kind:     hidden_global_offset_y
      - .offset:         112
        .size:           8
        .value_kind:     hidden_global_offset_z
      - .offset:         120
        .size:           2
        .value_kind:     hidden_grid_dims
      - .offset:         176
        .size:           4
        .value_kind:     hidden_dynamic_lds_size
    .group_segment_fixed_size: 0
    .kernarg_segment_align: 8
    .kernarg_segment_size: 312
    .language:       OpenCL C
    .language_version:
      - 2
      - 0
    .max_flat_workgroup_size: 1024
    .name:           _ZN2at6native12_GLOBAL__N_128vectorized_layer_norm_kernelIN3c104HalfEfLb0EEEviT0_PKT_S8_S8_PS5_S9_PS6_
    .private_segment_fixed_size: 0
    .sgpr_count:     28
    .sgpr_spill_count: 0
    .symbol:         _ZN2at6native12_GLOBAL__N_128vectorized_layer_norm_kernelIN3c104HalfEfLb0EEEviT0_PKT_S8_S8_PS5_S9_PS6_.kd
    .uniform_work_group_size: 1
    .uses_dynamic_stack: false
    .vgpr_count:     32
    .vgpr_spill_count: 0
    .wavefront_size: 32
    .workgroup_processor_mode: 1
  - .args:
      - .offset:         0
        .size:           8
        .value_kind:     by_value
      - .offset:         8
        .size:           4
        .value_kind:     by_value
      - .address_space:  global
        .offset:         16
        .size:           8
        .value_kind:     global_buffer
      - .address_space:  global
        .offset:         24
        .size:           8
        .value_kind:     global_buffer
      - .address_space:  global
        .offset:         32
        .size:           8
        .value_kind:     global_buffer
      - .offset:         40
        .size:           4
        .value_kind:     hidden_block_count_x
      - .offset:         44
        .size:           4
        .value_kind:     hidden_block_count_y
      - .offset:         48
        .size:           4
        .value_kind:     hidden_block_count_z
      - .offset:         52
        .size:           2
        .value_kind:     hidden_group_size_x
      - .offset:         54
        .size:           2
        .value_kind:     hidden_group_size_y
      - .offset:         56
        .size:           2
        .value_kind:     hidden_group_size_z
      - .offset:         58
        .size:           2
        .value_kind:     hidden_remainder_x
      - .offset:         60
        .size:           2
        .value_kind:     hidden_remainder_y
      - .offset:         62
        .size:           2
        .value_kind:     hidden_remainder_z
      - .offset:         80
        .size:           8
        .value_kind:     hidden_global_offset_x
      - .offset:         88
        .size:           8
        .value_kind:     hidden_global_offset_y
      - .offset:         96
        .size:           8
        .value_kind:     hidden_global_offset_z
      - .offset:         104
        .size:           2
        .value_kind:     hidden_grid_dims
    .group_segment_fixed_size: 768
    .kernarg_segment_align: 8
    .kernarg_segment_size: 296
    .language:       OpenCL C
    .language_version:
      - 2
      - 0
    .max_flat_workgroup_size: 1024
    .name:           _ZN2at6native12_GLOBAL__N_124RowwiseMomentsCUDAKernelIN3c104HalfEfLb0EEEvlT0_PKT_PS5_S9_
    .private_segment_fixed_size: 0
    .sgpr_count:     22
    .sgpr_spill_count: 0
    .symbol:         _ZN2at6native12_GLOBAL__N_124RowwiseMomentsCUDAKernelIN3c104HalfEfLb0EEEvlT0_PKT_PS5_S9_.kd
    .uniform_work_group_size: 1
    .uses_dynamic_stack: false
    .vgpr_count:     18
    .vgpr_spill_count: 0
    .wavefront_size: 32
    .workgroup_processor_mode: 1
  - .args:
      - .offset:         0
        .size:           8
        .value_kind:     by_value
      - .address_space:  global
        .offset:         8
        .size:           8
        .value_kind:     global_buffer
      - .address_space:  global
        .offset:         16
        .size:           8
        .value_kind:     global_buffer
      - .address_space:  global
        .offset:         24
        .size:           8
        .value_kind:     global_buffer
      - .address_space:  global
        .offset:         32
        .size:           8
        .value_kind:     global_buffer
      - .address_space:  global
        .offset:         40
        .size:           8
        .value_kind:     global_buffer
      - .address_space:  global
        .offset:         48
        .size:           8
        .value_kind:     global_buffer
      - .offset:         56
        .size:           4
        .value_kind:     hidden_block_count_x
      - .offset:         60
        .size:           4
        .value_kind:     hidden_block_count_y
      - .offset:         64
        .size:           4
        .value_kind:     hidden_block_count_z
      - .offset:         68
        .size:           2
        .value_kind:     hidden_group_size_x
      - .offset:         70
        .size:           2
        .value_kind:     hidden_group_size_y
      - .offset:         72
        .size:           2
        .value_kind:     hidden_group_size_z
      - .offset:         74
        .size:           2
        .value_kind:     hidden_remainder_x
      - .offset:         76
        .size:           2
        .value_kind:     hidden_remainder_y
      - .offset:         78
        .size:           2
        .value_kind:     hidden_remainder_z
      - .offset:         96
        .size:           8
        .value_kind:     hidden_global_offset_x
      - .offset:         104
        .size:           8
        .value_kind:     hidden_global_offset_y
      - .offset:         112
        .size:           8
        .value_kind:     hidden_global_offset_z
      - .offset:         120
        .size:           2
        .value_kind:     hidden_grid_dims
    .group_segment_fixed_size: 0
    .kernarg_segment_align: 8
    .kernarg_segment_size: 312
    .language:       OpenCL C
    .language_version:
      - 2
      - 0
    .max_flat_workgroup_size: 1024
    .name:           _ZN2at6native12_GLOBAL__N_126LayerNormForwardCUDAKernelIN3c104HalfEfLb0EEEvlPKT_PKT0_SA_S7_S7_PS5_
    .private_segment_fixed_size: 0
    .sgpr_count:     24
    .sgpr_spill_count: 0
    .symbol:         _ZN2at6native12_GLOBAL__N_126LayerNormForwardCUDAKernelIN3c104HalfEfLb0EEEvlPKT_PKT0_SA_S7_S7_PS5_.kd
    .uniform_work_group_size: 1
    .uses_dynamic_stack: false
    .vgpr_count:     9
    .vgpr_spill_count: 0
    .wavefront_size: 32
    .workgroup_processor_mode: 1
  - .args:
      - .offset:         0
        .size:           4
        .value_kind:     by_value
      - .offset:         4
        .size:           4
        .value_kind:     by_value
      - .actual_access:  read_only
        .address_space:  global
        .offset:         8
        .size:           8
        .value_kind:     global_buffer
      - .address_space:  global
        .offset:         16
        .size:           8
        .value_kind:     global_buffer
      - .address_space:  global
        .offset:         24
        .size:           8
        .value_kind:     global_buffer
      - .address_space:  global
        .offset:         32
        .size:           8
        .value_kind:     global_buffer
      - .address_space:  global
        .offset:         40
        .size:           8
        .value_kind:     global_buffer
      - .address_space:  global
        .offset:         48
        .size:           8
        .value_kind:     global_buffer
      - .offset:         56
        .size:           4
        .value_kind:     hidden_block_count_x
      - .offset:         60
        .size:           4
        .value_kind:     hidden_block_count_y
      - .offset:         64
        .size:           4
        .value_kind:     hidden_block_count_z
      - .offset:         68
        .size:           2
        .value_kind:     hidden_group_size_x
      - .offset:         70
        .size:           2
        .value_kind:     hidden_group_size_y
      - .offset:         72
        .size:           2
        .value_kind:     hidden_group_size_z
      - .offset:         74
        .size:           2
        .value_kind:     hidden_remainder_x
      - .offset:         76
        .size:           2
        .value_kind:     hidden_remainder_y
      - .offset:         78
        .size:           2
        .value_kind:     hidden_remainder_z
      - .offset:         96
        .size:           8
        .value_kind:     hidden_global_offset_x
      - .offset:         104
        .size:           8
        .value_kind:     hidden_global_offset_y
      - .offset:         112
        .size:           8
        .value_kind:     hidden_global_offset_z
      - .offset:         120
        .size:           2
        .value_kind:     hidden_grid_dims
      - .offset:         176
        .size:           4
        .value_kind:     hidden_dynamic_lds_size
    .group_segment_fixed_size: 0
    .kernarg_segment_align: 8
    .kernarg_segment_size: 312
    .language:       OpenCL C
    .language_version:
      - 2
      - 0
    .max_flat_workgroup_size: 1024
    .name:           _ZN2at6native12_GLOBAL__N_128vectorized_layer_norm_kernelIN3c108BFloat16EfLb0EEEviT0_PKT_S8_S8_PS5_S9_PS6_
    .private_segment_fixed_size: 0
    .sgpr_count:     26
    .sgpr_spill_count: 0
    .symbol:         _ZN2at6native12_GLOBAL__N_128vectorized_layer_norm_kernelIN3c108BFloat16EfLb0EEEviT0_PKT_S8_S8_PS5_S9_PS6_.kd
    .uniform_work_group_size: 1
    .uses_dynamic_stack: false
    .vgpr_count:     32
    .vgpr_spill_count: 0
    .wavefront_size: 32
    .workgroup_processor_mode: 1
  - .args:
      - .offset:         0
        .size:           8
        .value_kind:     by_value
      - .offset:         8
        .size:           4
        .value_kind:     by_value
      - .address_space:  global
        .offset:         16
        .size:           8
        .value_kind:     global_buffer
      - .address_space:  global
        .offset:         24
        .size:           8
        .value_kind:     global_buffer
      - .address_space:  global
        .offset:         32
        .size:           8
        .value_kind:     global_buffer
      - .offset:         40
        .size:           4
        .value_kind:     hidden_block_count_x
      - .offset:         44
        .size:           4
        .value_kind:     hidden_block_count_y
      - .offset:         48
        .size:           4
        .value_kind:     hidden_block_count_z
      - .offset:         52
        .size:           2
        .value_kind:     hidden_group_size_x
      - .offset:         54
        .size:           2
        .value_kind:     hidden_group_size_y
      - .offset:         56
        .size:           2
        .value_kind:     hidden_group_size_z
      - .offset:         58
        .size:           2
        .value_kind:     hidden_remainder_x
      - .offset:         60
        .size:           2
        .value_kind:     hidden_remainder_y
      - .offset:         62
        .size:           2
        .value_kind:     hidden_remainder_z
      - .offset:         80
        .size:           8
        .value_kind:     hidden_global_offset_x
      - .offset:         88
        .size:           8
        .value_kind:     hidden_global_offset_y
      - .offset:         96
        .size:           8
        .value_kind:     hidden_global_offset_z
      - .offset:         104
        .size:           2
        .value_kind:     hidden_grid_dims
    .group_segment_fixed_size: 768
    .kernarg_segment_align: 8
    .kernarg_segment_size: 296
    .language:       OpenCL C
    .language_version:
      - 2
      - 0
    .max_flat_workgroup_size: 1024
    .name:           _ZN2at6native12_GLOBAL__N_124RowwiseMomentsCUDAKernelIN3c108BFloat16EfLb0EEEvlT0_PKT_PS5_S9_
    .private_segment_fixed_size: 0
    .sgpr_count:     22
    .sgpr_spill_count: 0
    .symbol:         _ZN2at6native12_GLOBAL__N_124RowwiseMomentsCUDAKernelIN3c108BFloat16EfLb0EEEvlT0_PKT_PS5_S9_.kd
    .uniform_work_group_size: 1
    .uses_dynamic_stack: false
    .vgpr_count:     18
    .vgpr_spill_count: 0
    .wavefront_size: 32
    .workgroup_processor_mode: 1
  - .args:
      - .offset:         0
        .size:           8
        .value_kind:     by_value
      - .address_space:  global
        .offset:         8
        .size:           8
        .value_kind:     global_buffer
      - .address_space:  global
        .offset:         16
        .size:           8
        .value_kind:     global_buffer
      - .address_space:  global
        .offset:         24
        .size:           8
        .value_kind:     global_buffer
      - .address_space:  global
        .offset:         32
        .size:           8
        .value_kind:     global_buffer
      - .address_space:  global
        .offset:         40
        .size:           8
        .value_kind:     global_buffer
      - .address_space:  global
        .offset:         48
        .size:           8
        .value_kind:     global_buffer
      - .offset:         56
        .size:           4
        .value_kind:     hidden_block_count_x
      - .offset:         60
        .size:           4
        .value_kind:     hidden_block_count_y
      - .offset:         64
        .size:           4
        .value_kind:     hidden_block_count_z
      - .offset:         68
        .size:           2
        .value_kind:     hidden_group_size_x
      - .offset:         70
        .size:           2
        .value_kind:     hidden_group_size_y
      - .offset:         72
        .size:           2
        .value_kind:     hidden_group_size_z
      - .offset:         74
        .size:           2
        .value_kind:     hidden_remainder_x
      - .offset:         76
        .size:           2
        .value_kind:     hidden_remainder_y
      - .offset:         78
        .size:           2
        .value_kind:     hidden_remainder_z
      - .offset:         96
        .size:           8
        .value_kind:     hidden_global_offset_x
      - .offset:         104
        .size:           8
        .value_kind:     hidden_global_offset_y
      - .offset:         112
        .size:           8
        .value_kind:     hidden_global_offset_z
      - .offset:         120
        .size:           2
        .value_kind:     hidden_grid_dims
    .group_segment_fixed_size: 0
    .kernarg_segment_align: 8
    .kernarg_segment_size: 312
    .language:       OpenCL C
    .language_version:
      - 2
      - 0
    .max_flat_workgroup_size: 1024
    .name:           _ZN2at6native12_GLOBAL__N_126LayerNormForwardCUDAKernelIN3c108BFloat16EfLb0EEEvlPKT_PKT0_SA_S7_S7_PS5_
    .private_segment_fixed_size: 0
    .sgpr_count:     24
    .sgpr_spill_count: 0
    .symbol:         _ZN2at6native12_GLOBAL__N_126LayerNormForwardCUDAKernelIN3c108BFloat16EfLb0EEEvlPKT_PKT0_SA_S7_S7_PS5_.kd
    .uniform_work_group_size: 1
    .uses_dynamic_stack: false
    .vgpr_count:     8
    .vgpr_spill_count: 0
    .wavefront_size: 32
    .workgroup_processor_mode: 1
  - .args:
      - .offset:         0
        .size:           4
        .value_kind:     by_value
      - .offset:         8
        .size:           8
        .value_kind:     by_value
      - .actual_access:  read_only
        .address_space:  global
        .offset:         16
        .size:           8
        .value_kind:     global_buffer
      - .address_space:  global
        .offset:         24
        .size:           8
        .value_kind:     global_buffer
      - .address_space:  global
        .offset:         32
        .size:           8
        .value_kind:     global_buffer
      - .address_space:  global
        .offset:         40
        .size:           8
        .value_kind:     global_buffer
      - .address_space:  global
        .offset:         48
        .size:           8
        .value_kind:     global_buffer
      - .address_space:  global
        .offset:         56
        .size:           8
        .value_kind:     global_buffer
    .group_segment_fixed_size: 0
    .kernarg_segment_align: 8
    .kernarg_segment_size: 64
    .language:       OpenCL C
    .language_version:
      - 2
      - 0
    .max_flat_workgroup_size: 1024
    .name:           _ZN2at6native12_GLOBAL__N_128vectorized_layer_norm_kernelIddLb1EEEviT0_PKT_S6_S6_PS3_S7_PS4_
    .private_segment_fixed_size: 0
    .sgpr_count:     1
    .sgpr_spill_count: 0
    .symbol:         _ZN2at6native12_GLOBAL__N_128vectorized_layer_norm_kernelIddLb1EEEviT0_PKT_S6_S6_PS3_S7_PS4_.kd
    .uniform_work_group_size: 1
    .uses_dynamic_stack: false
    .vgpr_count:     0
    .vgpr_spill_count: 0
    .wavefront_size: 32
    .workgroup_processor_mode: 1
  - .args:
      - .offset:         0
        .size:           8
        .value_kind:     by_value
      - .offset:         8
        .size:           8
        .value_kind:     by_value
      - .address_space:  global
        .offset:         16
        .size:           8
        .value_kind:     global_buffer
      - .address_space:  global
        .offset:         24
        .size:           8
        .value_kind:     global_buffer
      - .address_space:  global
        .offset:         32
        .size:           8
        .value_kind:     global_buffer
      - .offset:         40
        .size:           4
        .value_kind:     hidden_block_count_x
      - .offset:         44
        .size:           4
        .value_kind:     hidden_block_count_y
      - .offset:         48
        .size:           4
        .value_kind:     hidden_block_count_z
      - .offset:         52
        .size:           2
        .value_kind:     hidden_group_size_x
      - .offset:         54
        .size:           2
        .value_kind:     hidden_group_size_y
      - .offset:         56
        .size:           2
        .value_kind:     hidden_group_size_z
      - .offset:         58
        .size:           2
        .value_kind:     hidden_remainder_x
      - .offset:         60
        .size:           2
        .value_kind:     hidden_remainder_y
      - .offset:         62
        .size:           2
        .value_kind:     hidden_remainder_z
      - .offset:         80
        .size:           8
        .value_kind:     hidden_global_offset_x
      - .offset:         88
        .size:           8
        .value_kind:     hidden_global_offset_y
      - .offset:         96
        .size:           8
        .value_kind:     hidden_global_offset_z
      - .offset:         104
        .size:           2
        .value_kind:     hidden_grid_dims
    .group_segment_fixed_size: 1024
    .kernarg_segment_align: 8
    .kernarg_segment_size: 296
    .language:       OpenCL C
    .language_version:
      - 2
      - 0
    .max_flat_workgroup_size: 1024
    .name:           _ZN2at6native12_GLOBAL__N_124RowwiseMomentsCUDAKernelIddLb1EEEvlT0_PKT_PS3_S7_
    .private_segment_fixed_size: 0
    .sgpr_count:     18
    .sgpr_spill_count: 0
    .symbol:         _ZN2at6native12_GLOBAL__N_124RowwiseMomentsCUDAKernelIddLb1EEEvlT0_PKT_PS3_S7_.kd
    .uniform_work_group_size: 1
    .uses_dynamic_stack: false
    .vgpr_count:     30
    .vgpr_spill_count: 0
    .wavefront_size: 32
    .workgroup_processor_mode: 1
  - .args:
      - .offset:         0
        .size:           8
        .value_kind:     by_value
      - .address_space:  global
        .offset:         8
        .size:           8
        .value_kind:     global_buffer
      - .address_space:  global
        .offset:         16
        .size:           8
        .value_kind:     global_buffer
      - .address_space:  global
        .offset:         24
        .size:           8
        .value_kind:     global_buffer
      - .address_space:  global
        .offset:         32
        .size:           8
        .value_kind:     global_buffer
      - .address_space:  global
        .offset:         40
        .size:           8
        .value_kind:     global_buffer
      - .address_space:  global
        .offset:         48
        .size:           8
        .value_kind:     global_buffer
      - .offset:         56
        .size:           4
        .value_kind:     hidden_block_count_x
      - .offset:         60
        .size:           4
        .value_kind:     hidden_block_count_y
      - .offset:         64
        .size:           4
        .value_kind:     hidden_block_count_z
      - .offset:         68
        .size:           2
        .value_kind:     hidden_group_size_x
      - .offset:         70
        .size:           2
        .value_kind:     hidden_group_size_y
      - .offset:         72
        .size:           2
        .value_kind:     hidden_group_size_z
      - .offset:         74
        .size:           2
        .value_kind:     hidden_remainder_x
      - .offset:         76
        .size:           2
        .value_kind:     hidden_remainder_y
      - .offset:         78
        .size:           2
        .value_kind:     hidden_remainder_z
      - .offset:         96
        .size:           8
        .value_kind:     hidden_global_offset_x
      - .offset:         104
        .size:           8
        .value_kind:     hidden_global_offset_y
      - .offset:         112
        .size:           8
        .value_kind:     hidden_global_offset_z
      - .offset:         120
        .size:           2
        .value_kind:     hidden_grid_dims
    .group_segment_fixed_size: 0
    .kernarg_segment_align: 8
    .kernarg_segment_size: 312
    .language:       OpenCL C
    .language_version:
      - 2
      - 0
    .max_flat_workgroup_size: 1024
    .name:           _ZN2at6native12_GLOBAL__N_126LayerNormForwardCUDAKernelIddLb1EEEvlPKT_PKT0_S8_S5_S5_PS3_
    .private_segment_fixed_size: 0
    .sgpr_count:     21
    .sgpr_spill_count: 0
    .symbol:         _ZN2at6native12_GLOBAL__N_126LayerNormForwardCUDAKernelIddLb1EEEvlPKT_PKT0_S8_S5_S5_PS3_.kd
    .uniform_work_group_size: 1
    .uses_dynamic_stack: false
    .vgpr_count:     12
    .vgpr_spill_count: 0
    .wavefront_size: 32
    .workgroup_processor_mode: 1
  - .args:
      - .offset:         0
        .size:           4
        .value_kind:     by_value
      - .offset:         4
        .size:           4
        .value_kind:     by_value
      - .actual_access:  read_only
        .address_space:  global
        .offset:         8
        .size:           8
        .value_kind:     global_buffer
      - .address_space:  global
        .offset:         16
        .size:           8
        .value_kind:     global_buffer
      - .address_space:  global
        .offset:         24
        .size:           8
        .value_kind:     global_buffer
      - .address_space:  global
        .offset:         32
        .size:           8
        .value_kind:     global_buffer
      - .address_space:  global
        .offset:         40
        .size:           8
        .value_kind:     global_buffer
      - .address_space:  global
        .offset:         48
        .size:           8
        .value_kind:     global_buffer
      - .offset:         56
        .size:           4
        .value_kind:     hidden_block_count_x
      - .offset:         60
        .size:           4
        .value_kind:     hidden_block_count_y
      - .offset:         64
        .size:           4
        .value_kind:     hidden_block_count_z
      - .offset:         68
        .size:           2
        .value_kind:     hidden_group_size_x
      - .offset:         70
        .size:           2
        .value_kind:     hidden_group_size_y
      - .offset:         72
        .size:           2
        .value_kind:     hidden_group_size_z
      - .offset:         74
        .size:           2
        .value_kind:     hidden_remainder_x
      - .offset:         76
        .size:           2
        .value_kind:     hidden_remainder_y
      - .offset:         78
        .size:           2
        .value_kind:     hidden_remainder_z
      - .offset:         96
        .size:           8
        .value_kind:     hidden_global_offset_x
      - .offset:         104
        .size:           8
        .value_kind:     hidden_global_offset_y
      - .offset:         112
        .size:           8
        .value_kind:     hidden_global_offset_z
      - .offset:         120
        .size:           2
        .value_kind:     hidden_grid_dims
      - .offset:         176
        .size:           4
        .value_kind:     hidden_dynamic_lds_size
    .group_segment_fixed_size: 0
    .kernarg_segment_align: 8
    .kernarg_segment_size: 312
    .language:       OpenCL C
    .language_version:
      - 2
      - 0
    .max_flat_workgroup_size: 1024
    .name:           _ZN2at6native12_GLOBAL__N_128vectorized_layer_norm_kernelIffLb1EEEviT0_PKT_S6_S6_PS3_S7_PS4_
    .private_segment_fixed_size: 0
    .sgpr_count:     24
    .sgpr_spill_count: 0
    .symbol:         _ZN2at6native12_GLOBAL__N_128vectorized_layer_norm_kernelIffLb1EEEviT0_PKT_S6_S6_PS3_S7_PS4_.kd
    .uniform_work_group_size: 1
    .uses_dynamic_stack: false
    .vgpr_count:     18
    .vgpr_spill_count: 0
    .wavefront_size: 32
    .workgroup_processor_mode: 1
  - .args:
      - .offset:         0
        .size:           8
        .value_kind:     by_value
      - .offset:         8
        .size:           4
        .value_kind:     by_value
      - .address_space:  global
        .offset:         16
        .size:           8
        .value_kind:     global_buffer
      - .address_space:  global
        .offset:         24
        .size:           8
        .value_kind:     global_buffer
      - .address_space:  global
        .offset:         32
        .size:           8
        .value_kind:     global_buffer
      - .offset:         40
        .size:           4
        .value_kind:     hidden_block_count_x
      - .offset:         44
        .size:           4
        .value_kind:     hidden_block_count_y
      - .offset:         48
        .size:           4
        .value_kind:     hidden_block_count_z
      - .offset:         52
        .size:           2
        .value_kind:     hidden_group_size_x
      - .offset:         54
        .size:           2
        .value_kind:     hidden_group_size_y
      - .offset:         56
        .size:           2
        .value_kind:     hidden_group_size_z
      - .offset:         58
        .size:           2
        .value_kind:     hidden_remainder_x
      - .offset:         60
        .size:           2
        .value_kind:     hidden_remainder_y
      - .offset:         62
        .size:           2
        .value_kind:     hidden_remainder_z
      - .offset:         80
        .size:           8
        .value_kind:     hidden_global_offset_x
      - .offset:         88
        .size:           8
        .value_kind:     hidden_global_offset_y
      - .offset:         96
        .size:           8
        .value_kind:     hidden_global_offset_z
      - .offset:         104
        .size:           2
        .value_kind:     hidden_grid_dims
    .group_segment_fixed_size: 768
    .kernarg_segment_align: 8
    .kernarg_segment_size: 296
    .language:       OpenCL C
    .language_version:
      - 2
      - 0
    .max_flat_workgroup_size: 1024
    .name:           _ZN2at6native12_GLOBAL__N_124RowwiseMomentsCUDAKernelIffLb1EEEvlT0_PKT_PS3_S7_
    .private_segment_fixed_size: 0
    .sgpr_count:     18
    .sgpr_spill_count: 0
    .symbol:         _ZN2at6native12_GLOBAL__N_124RowwiseMomentsCUDAKernelIffLb1EEEvlT0_PKT_PS3_S7_.kd
    .uniform_work_group_size: 1
    .uses_dynamic_stack: false
    .vgpr_count:     18
    .vgpr_spill_count: 0
    .wavefront_size: 32
    .workgroup_processor_mode: 1
  - .args:
      - .offset:         0
        .size:           8
        .value_kind:     by_value
      - .address_space:  global
        .offset:         8
        .size:           8
        .value_kind:     global_buffer
      - .address_space:  global
        .offset:         16
        .size:           8
        .value_kind:     global_buffer
      - .address_space:  global
        .offset:         24
        .size:           8
        .value_kind:     global_buffer
      - .address_space:  global
        .offset:         32
        .size:           8
        .value_kind:     global_buffer
      - .address_space:  global
        .offset:         40
        .size:           8
        .value_kind:     global_buffer
      - .address_space:  global
        .offset:         48
        .size:           8
        .value_kind:     global_buffer
      - .offset:         56
        .size:           4
        .value_kind:     hidden_block_count_x
      - .offset:         60
        .size:           4
        .value_kind:     hidden_block_count_y
      - .offset:         64
        .size:           4
        .value_kind:     hidden_block_count_z
      - .offset:         68
        .size:           2
        .value_kind:     hidden_group_size_x
      - .offset:         70
        .size:           2
        .value_kind:     hidden_group_size_y
      - .offset:         72
        .size:           2
        .value_kind:     hidden_group_size_z
      - .offset:         74
        .size:           2
        .value_kind:     hidden_remainder_x
      - .offset:         76
        .size:           2
        .value_kind:     hidden_remainder_y
      - .offset:         78
        .size:           2
        .value_kind:     hidden_remainder_z
      - .offset:         96
        .size:           8
        .value_kind:     hidden_global_offset_x
      - .offset:         104
        .size:           8
        .value_kind:     hidden_global_offset_y
      - .offset:         112
        .size:           8
        .value_kind:     hidden_global_offset_z
      - .offset:         120
        .size:           2
        .value_kind:     hidden_grid_dims
    .group_segment_fixed_size: 0
    .kernarg_segment_align: 8
    .kernarg_segment_size: 312
    .language:       OpenCL C
    .language_version:
      - 2
      - 0
    .max_flat_workgroup_size: 1024
    .name:           _ZN2at6native12_GLOBAL__N_126LayerNormForwardCUDAKernelIffLb1EEEvlPKT_PKT0_S8_S5_S5_PS3_
    .private_segment_fixed_size: 0
    .sgpr_count:     21
    .sgpr_spill_count: 0
    .symbol:         _ZN2at6native12_GLOBAL__N_126LayerNormForwardCUDAKernelIffLb1EEEvlPKT_PKT0_S8_S5_S5_PS3_.kd
    .uniform_work_group_size: 1
    .uses_dynamic_stack: false
    .vgpr_count:     9
    .vgpr_spill_count: 0
    .wavefront_size: 32
    .workgroup_processor_mode: 1
  - .args:
      - .offset:         0
        .size:           4
        .value_kind:     by_value
      - .offset:         4
        .size:           4
        .value_kind:     by_value
      - .actual_access:  read_only
        .address_space:  global
        .offset:         8
        .size:           8
        .value_kind:     global_buffer
      - .address_space:  global
        .offset:         16
        .size:           8
        .value_kind:     global_buffer
      - .address_space:  global
        .offset:         24
        .size:           8
        .value_kind:     global_buffer
      - .address_space:  global
        .offset:         32
        .size:           8
        .value_kind:     global_buffer
      - .address_space:  global
        .offset:         40
        .size:           8
        .value_kind:     global_buffer
      - .address_space:  global
        .offset:         48
        .size:           8
        .value_kind:     global_buffer
      - .offset:         56
        .size:           4
        .value_kind:     hidden_block_count_x
      - .offset:         60
        .size:           4
        .value_kind:     hidden_block_count_y
      - .offset:         64
        .size:           4
        .value_kind:     hidden_block_count_z
      - .offset:         68
        .size:           2
        .value_kind:     hidden_group_size_x
      - .offset:         70
        .size:           2
        .value_kind:     hidden_group_size_y
      - .offset:         72
        .size:           2
        .value_kind:     hidden_group_size_z
      - .offset:         74
        .size:           2
        .value_kind:     hidden_remainder_x
      - .offset:         76
        .size:           2
        .value_kind:     hidden_remainder_y
      - .offset:         78
        .size:           2
        .value_kind:     hidden_remainder_z
      - .offset:         96
        .size:           8
        .value_kind:     hidden_global_offset_x
      - .offset:         104
        .size:           8
        .value_kind:     hidden_global_offset_y
      - .offset:         112
        .size:           8
        .value_kind:     hidden_global_offset_z
      - .offset:         120
        .size:           2
        .value_kind:     hidden_grid_dims
      - .offset:         176
        .size:           4
        .value_kind:     hidden_dynamic_lds_size
    .group_segment_fixed_size: 0
    .kernarg_segment_align: 8
    .kernarg_segment_size: 312
    .language:       OpenCL C
    .language_version:
      - 2
      - 0
    .max_flat_workgroup_size: 1024
    .name:           _ZN2at6native12_GLOBAL__N_128vectorized_layer_norm_kernelIN3c104HalfEfLb1EEEviT0_PKT_S8_S8_PS5_S9_PS6_
    .private_segment_fixed_size: 0
    .sgpr_count:     24
    .sgpr_spill_count: 0
    .symbol:         _ZN2at6native12_GLOBAL__N_128vectorized_layer_norm_kernelIN3c104HalfEfLb1EEEviT0_PKT_S8_S8_PS5_S9_PS6_.kd
    .uniform_work_group_size: 1
    .uses_dynamic_stack: false
    .vgpr_count:     20
    .vgpr_spill_count: 0
    .wavefront_size: 32
    .workgroup_processor_mode: 1
  - .args:
      - .offset:         0
        .size:           8
        .value_kind:     by_value
      - .offset:         8
        .size:           4
        .value_kind:     by_value
      - .address_space:  global
        .offset:         16
        .size:           8
        .value_kind:     global_buffer
      - .address_space:  global
        .offset:         24
        .size:           8
        .value_kind:     global_buffer
      - .address_space:  global
        .offset:         32
        .size:           8
        .value_kind:     global_buffer
      - .offset:         40
        .size:           4
        .value_kind:     hidden_block_count_x
      - .offset:         44
        .size:           4
        .value_kind:     hidden_block_count_y
      - .offset:         48
        .size:           4
        .value_kind:     hidden_block_count_z
      - .offset:         52
        .size:           2
        .value_kind:     hidden_group_size_x
      - .offset:         54
        .size:           2
        .value_kind:     hidden_group_size_y
      - .offset:         56
        .size:           2
        .value_kind:     hidden_group_size_z
      - .offset:         58
        .size:           2
        .value_kind:     hidden_remainder_x
      - .offset:         60
        .size:           2
        .value_kind:     hidden_remainder_y
      - .offset:         62
        .size:           2
        .value_kind:     hidden_remainder_z
      - .offset:         80
        .size:           8
        .value_kind:     hidden_global_offset_x
      - .offset:         88
        .size:           8
        .value_kind:     hidden_global_offset_y
      - .offset:         96
        .size:           8
        .value_kind:     hidden_global_offset_z
      - .offset:         104
        .size:           2
        .value_kind:     hidden_grid_dims
    .group_segment_fixed_size: 768
    .kernarg_segment_align: 8
    .kernarg_segment_size: 296
    .language:       OpenCL C
    .language_version:
      - 2
      - 0
    .max_flat_workgroup_size: 1024
    .name:           _ZN2at6native12_GLOBAL__N_124RowwiseMomentsCUDAKernelIN3c104HalfEfLb1EEEvlT0_PKT_PS5_S9_
    .private_segment_fixed_size: 0
    .sgpr_count:     18
    .sgpr_spill_count: 0
    .symbol:         _ZN2at6native12_GLOBAL__N_124RowwiseMomentsCUDAKernelIN3c104HalfEfLb1EEEvlT0_PKT_PS5_S9_.kd
    .uniform_work_group_size: 1
    .uses_dynamic_stack: false
    .vgpr_count:     18
    .vgpr_spill_count: 0
    .wavefront_size: 32
    .workgroup_processor_mode: 1
  - .args:
      - .offset:         0
        .size:           8
        .value_kind:     by_value
      - .address_space:  global
        .offset:         8
        .size:           8
        .value_kind:     global_buffer
      - .address_space:  global
        .offset:         16
        .size:           8
        .value_kind:     global_buffer
      - .address_space:  global
        .offset:         24
        .size:           8
        .value_kind:     global_buffer
      - .address_space:  global
        .offset:         32
        .size:           8
        .value_kind:     global_buffer
      - .address_space:  global
        .offset:         40
        .size:           8
        .value_kind:     global_buffer
      - .address_space:  global
        .offset:         48
        .size:           8
        .value_kind:     global_buffer
      - .offset:         56
        .size:           4
        .value_kind:     hidden_block_count_x
      - .offset:         60
        .size:           4
        .value_kind:     hidden_block_count_y
      - .offset:         64
        .size:           4
        .value_kind:     hidden_block_count_z
      - .offset:         68
        .size:           2
        .value_kind:     hidden_group_size_x
      - .offset:         70
        .size:           2
        .value_kind:     hidden_group_size_y
      - .offset:         72
        .size:           2
        .value_kind:     hidden_group_size_z
      - .offset:         74
        .size:           2
        .value_kind:     hidden_remainder_x
      - .offset:         76
        .size:           2
        .value_kind:     hidden_remainder_y
      - .offset:         78
        .size:           2
        .value_kind:     hidden_remainder_z
      - .offset:         96
        .size:           8
        .value_kind:     hidden_global_offset_x
      - .offset:         104
        .size:           8
        .value_kind:     hidden_global_offset_y
      - .offset:         112
        .size:           8
        .value_kind:     hidden_global_offset_z
      - .offset:         120
        .size:           2
        .value_kind:     hidden_grid_dims
    .group_segment_fixed_size: 0
    .kernarg_segment_align: 8
    .kernarg_segment_size: 312
    .language:       OpenCL C
    .language_version:
      - 2
      - 0
    .max_flat_workgroup_size: 1024
    .name:           _ZN2at6native12_GLOBAL__N_126LayerNormForwardCUDAKernelIN3c104HalfEfLb1EEEvlPKT_PKT0_SA_S7_S7_PS5_
    .private_segment_fixed_size: 0
    .sgpr_count:     19
    .sgpr_spill_count: 0
    .symbol:         _ZN2at6native12_GLOBAL__N_126LayerNormForwardCUDAKernelIN3c104HalfEfLb1EEEvlPKT_PKT0_SA_S7_S7_PS5_.kd
    .uniform_work_group_size: 1
    .uses_dynamic_stack: false
    .vgpr_count:     8
    .vgpr_spill_count: 0
    .wavefront_size: 32
    .workgroup_processor_mode: 1
  - .args:
      - .offset:         0
        .size:           4
        .value_kind:     by_value
      - .offset:         4
        .size:           4
        .value_kind:     by_value
      - .actual_access:  read_only
        .address_space:  global
        .offset:         8
        .size:           8
        .value_kind:     global_buffer
      - .address_space:  global
        .offset:         16
        .size:           8
        .value_kind:     global_buffer
      - .address_space:  global
        .offset:         24
        .size:           8
        .value_kind:     global_buffer
      - .address_space:  global
        .offset:         32
        .size:           8
        .value_kind:     global_buffer
      - .address_space:  global
        .offset:         40
        .size:           8
        .value_kind:     global_buffer
      - .address_space:  global
        .offset:         48
        .size:           8
        .value_kind:     global_buffer
      - .offset:         56
        .size:           4
        .value_kind:     hidden_block_count_x
      - .offset:         60
        .size:           4
        .value_kind:     hidden_block_count_y
      - .offset:         64
        .size:           4
        .value_kind:     hidden_block_count_z
      - .offset:         68
        .size:           2
        .value_kind:     hidden_group_size_x
      - .offset:         70
        .size:           2
        .value_kind:     hidden_group_size_y
      - .offset:         72
        .size:           2
        .value_kind:     hidden_group_size_z
      - .offset:         74
        .size:           2
        .value_kind:     hidden_remainder_x
      - .offset:         76
        .size:           2
        .value_kind:     hidden_remainder_y
      - .offset:         78
        .size:           2
        .value_kind:     hidden_remainder_z
      - .offset:         96
        .size:           8
        .value_kind:     hidden_global_offset_x
      - .offset:         104
        .size:           8
        .value_kind:     hidden_global_offset_y
      - .offset:         112
        .size:           8
        .value_kind:     hidden_global_offset_z
      - .offset:         120
        .size:           2
        .value_kind:     hidden_grid_dims
      - .offset:         176
        .size:           4
        .value_kind:     hidden_dynamic_lds_size
    .group_segment_fixed_size: 0
    .kernarg_segment_align: 8
    .kernarg_segment_size: 312
    .language:       OpenCL C
    .language_version:
      - 2
      - 0
    .max_flat_workgroup_size: 1024
    .name:           _ZN2at6native12_GLOBAL__N_128vectorized_layer_norm_kernelIN3c108BFloat16EfLb1EEEviT0_PKT_S8_S8_PS5_S9_PS6_
    .private_segment_fixed_size: 0
    .sgpr_count:     24
    .sgpr_spill_count: 0
    .symbol:         _ZN2at6native12_GLOBAL__N_128vectorized_layer_norm_kernelIN3c108BFloat16EfLb1EEEviT0_PKT_S8_S8_PS5_S9_PS6_.kd
    .uniform_work_group_size: 1
    .uses_dynamic_stack: false
    .vgpr_count:     21
    .vgpr_spill_count: 0
    .wavefront_size: 32
    .workgroup_processor_mode: 1
  - .args:
      - .offset:         0
        .size:           8
        .value_kind:     by_value
      - .offset:         8
        .size:           4
        .value_kind:     by_value
      - .address_space:  global
        .offset:         16
        .size:           8
        .value_kind:     global_buffer
      - .address_space:  global
        .offset:         24
        .size:           8
        .value_kind:     global_buffer
      - .address_space:  global
        .offset:         32
        .size:           8
        .value_kind:     global_buffer
      - .offset:         40
        .size:           4
        .value_kind:     hidden_block_count_x
      - .offset:         44
        .size:           4
        .value_kind:     hidden_block_count_y
      - .offset:         48
        .size:           4
        .value_kind:     hidden_block_count_z
      - .offset:         52
        .size:           2
        .value_kind:     hidden_group_size_x
      - .offset:         54
        .size:           2
        .value_kind:     hidden_group_size_y
      - .offset:         56
        .size:           2
        .value_kind:     hidden_group_size_z
      - .offset:         58
        .size:           2
        .value_kind:     hidden_remainder_x
      - .offset:         60
        .size:           2
        .value_kind:     hidden_remainder_y
      - .offset:         62
        .size:           2
        .value_kind:     hidden_remainder_z
      - .offset:         80
        .size:           8
        .value_kind:     hidden_global_offset_x
      - .offset:         88
        .size:           8
        .value_kind:     hidden_global_offset_y
      - .offset:         96
        .size:           8
        .value_kind:     hidden_global_offset_z
      - .offset:         104
        .size:           2
        .value_kind:     hidden_grid_dims
    .group_segment_fixed_size: 768
    .kernarg_segment_align: 8
    .kernarg_segment_size: 296
    .language:       OpenCL C
    .language_version:
      - 2
      - 0
    .max_flat_workgroup_size: 1024
    .name:           _ZN2at6native12_GLOBAL__N_124RowwiseMomentsCUDAKernelIN3c108BFloat16EfLb1EEEvlT0_PKT_PS5_S9_
    .private_segment_fixed_size: 0
    .sgpr_count:     18
    .sgpr_spill_count: 0
    .symbol:         _ZN2at6native12_GLOBAL__N_124RowwiseMomentsCUDAKernelIN3c108BFloat16EfLb1EEEvlT0_PKT_PS5_S9_.kd
    .uniform_work_group_size: 1
    .uses_dynamic_stack: false
    .vgpr_count:     18
    .vgpr_spill_count: 0
    .wavefront_size: 32
    .workgroup_processor_mode: 1
  - .args:
      - .offset:         0
        .size:           8
        .value_kind:     by_value
      - .address_space:  global
        .offset:         8
        .size:           8
        .value_kind:     global_buffer
      - .address_space:  global
        .offset:         16
        .size:           8
        .value_kind:     global_buffer
      - .address_space:  global
        .offset:         24
        .size:           8
        .value_kind:     global_buffer
      - .address_space:  global
        .offset:         32
        .size:           8
        .value_kind:     global_buffer
      - .address_space:  global
        .offset:         40
        .size:           8
        .value_kind:     global_buffer
      - .address_space:  global
        .offset:         48
        .size:           8
        .value_kind:     global_buffer
      - .offset:         56
        .size:           4
        .value_kind:     hidden_block_count_x
      - .offset:         60
        .size:           4
        .value_kind:     hidden_block_count_y
      - .offset:         64
        .size:           4
        .value_kind:     hidden_block_count_z
      - .offset:         68
        .size:           2
        .value_kind:     hidden_group_size_x
      - .offset:         70
        .size:           2
        .value_kind:     hidden_group_size_y
      - .offset:         72
        .size:           2
        .value_kind:     hidden_group_size_z
      - .offset:         74
        .size:           2
        .value_kind:     hidden_remainder_x
      - .offset:         76
        .size:           2
        .value_kind:     hidden_remainder_y
      - .offset:         78
        .size:           2
        .value_kind:     hidden_remainder_z
      - .offset:         96
        .size:           8
        .value_kind:     hidden_global_offset_x
      - .offset:         104
        .size:           8
        .value_kind:     hidden_global_offset_y
      - .offset:         112
        .size:           8
        .value_kind:     hidden_global_offset_z
      - .offset:         120
        .size:           2
        .value_kind:     hidden_grid_dims
    .group_segment_fixed_size: 0
    .kernarg_segment_align: 8
    .kernarg_segment_size: 312
    .language:       OpenCL C
    .language_version:
      - 2
      - 0
    .max_flat_workgroup_size: 1024
    .name:           _ZN2at6native12_GLOBAL__N_126LayerNormForwardCUDAKernelIN3c108BFloat16EfLb1EEEvlPKT_PKT0_SA_S7_S7_PS5_
    .private_segment_fixed_size: 0
    .sgpr_count:     19
    .sgpr_spill_count: 0
    .symbol:         _ZN2at6native12_GLOBAL__N_126LayerNormForwardCUDAKernelIN3c108BFloat16EfLb1EEEvlPKT_PKT0_SA_S7_S7_PS5_.kd
    .uniform_work_group_size: 1
    .uses_dynamic_stack: false
    .vgpr_count:     8
    .vgpr_spill_count: 0
    .wavefront_size: 32
    .workgroup_processor_mode: 1
  - .args:
      - .actual_access:  read_only
        .address_space:  global
        .offset:         0
        .size:           8
        .value_kind:     global_buffer
      - .actual_access:  read_only
        .address_space:  global
        .offset:         8
        .size:           8
        .value_kind:     global_buffer
      - .offset:         16
        .size:           8
        .value_kind:     by_value
      - .offset:         24
        .size:           8
        .value_kind:     by_value
      - .actual_access:  read_only
        .address_space:  global
        .offset:         32
        .size:           8
        .value_kind:     global_buffer
      - .actual_access:  read_only
        .address_space:  global
        .offset:         40
        .size:           8
        .value_kind:     global_buffer
      - .address_space:  global
        .offset:         48
        .size:           8
        .value_kind:     global_buffer
      - .address_space:  global
        .offset:         56
        .size:           8
        .value_kind:     global_buffer
      - .offset:         64
        .size:           4
        .value_kind:     hidden_block_count_x
      - .offset:         68
        .size:           4
        .value_kind:     hidden_block_count_y
      - .offset:         72
        .size:           4
        .value_kind:     hidden_block_count_z
      - .offset:         76
        .size:           2
        .value_kind:     hidden_group_size_x
      - .offset:         78
        .size:           2
        .value_kind:     hidden_group_size_y
      - .offset:         80
        .size:           2
        .value_kind:     hidden_group_size_z
      - .offset:         82
        .size:           2
        .value_kind:     hidden_remainder_x
      - .offset:         84
        .size:           2
        .value_kind:     hidden_remainder_y
      - .offset:         86
        .size:           2
        .value_kind:     hidden_remainder_z
      - .offset:         104
        .size:           8
        .value_kind:     hidden_global_offset_x
      - .offset:         112
        .size:           8
        .value_kind:     hidden_global_offset_y
      - .offset:         120
        .size:           8
        .value_kind:     hidden_global_offset_z
      - .offset:         128
        .size:           2
        .value_kind:     hidden_grid_dims
      - .offset:         184
        .size:           4
        .value_kind:     hidden_dynamic_lds_size
    .group_segment_fixed_size: 0
    .kernarg_segment_align: 8
    .kernarg_segment_size: 320
    .language:       OpenCL C
    .language_version:
      - 2
      - 0
    .max_flat_workgroup_size: 1024
    .name:           _ZN2at6native12_GLOBAL__N_118cuComputeGradInputIddLb0EEEvPKT_S5_llPKT0_S8_S5_PS3_
    .private_segment_fixed_size: 0
    .sgpr_count:     46
    .sgpr_spill_count: 0
    .symbol:         _ZN2at6native12_GLOBAL__N_118cuComputeGradInputIddLb0EEEvPKT_S5_llPKT0_S8_S5_PS3_.kd
    .uniform_work_group_size: 1
    .uses_dynamic_stack: false
    .vgpr_count:     30
    .vgpr_spill_count: 0
    .wavefront_size: 32
    .workgroup_processor_mode: 1
  - .args:
      - .actual_access:  read_only
        .address_space:  global
        .offset:         0
        .size:           8
        .value_kind:     global_buffer
      - .actual_access:  read_only
        .address_space:  global
        .offset:         8
        .size:           8
        .value_kind:     global_buffer
      - .actual_access:  read_only
        .address_space:  global
        .offset:         16
        .size:           8
        .value_kind:     global_buffer
      - .actual_access:  read_only
        .address_space:  global
        .offset:         24
        .size:           8
        .value_kind:     global_buffer
      - .actual_access:  read_only
        .address_space:  global
        .offset:         32
        .size:           8
        .value_kind:     global_buffer
      - .address_space:  global
        .offset:         40
        .size:           8
        .value_kind:     global_buffer
      - .offset:         48
        .size:           4
        .value_kind:     by_value
      - .offset:         56
        .size:           4
        .value_kind:     hidden_block_count_x
      - .offset:         60
        .size:           4
        .value_kind:     hidden_block_count_y
      - .offset:         64
        .size:           4
        .value_kind:     hidden_block_count_z
      - .offset:         68
        .size:           2
        .value_kind:     hidden_group_size_x
      - .offset:         70
        .size:           2
        .value_kind:     hidden_group_size_y
      - .offset:         72
        .size:           2
        .value_kind:     hidden_group_size_z
      - .offset:         74
        .size:           2
        .value_kind:     hidden_remainder_x
      - .offset:         76
        .size:           2
        .value_kind:     hidden_remainder_y
      - .offset:         78
        .size:           2
        .value_kind:     hidden_remainder_z
      - .offset:         96
        .size:           8
        .value_kind:     hidden_global_offset_x
      - .offset:         104
        .size:           8
        .value_kind:     hidden_global_offset_y
      - .offset:         112
        .size:           8
        .value_kind:     hidden_global_offset_z
      - .offset:         120
        .size:           2
        .value_kind:     hidden_grid_dims
      - .offset:         176
        .size:           4
        .value_kind:     hidden_dynamic_lds_size
    .group_segment_fixed_size: 0
    .kernarg_segment_align: 8
    .kernarg_segment_size: 312
    .language:       OpenCL C
    .language_version:
      - 2
      - 0
    .max_flat_workgroup_size: 1024
    .name:           _ZN2at6native12_GLOBAL__N_128layer_norm_grad_input_kernelIddLb0EEEvPKT_S5_PKT0_S8_S5_PS3_i
    .private_segment_fixed_size: 0
    .sgpr_count:     31
    .sgpr_spill_count: 0
    .symbol:         _ZN2at6native12_GLOBAL__N_128layer_norm_grad_input_kernelIddLb0EEEvPKT_S5_PKT0_S8_S5_PS3_i.kd
    .uniform_work_group_size: 1
    .uses_dynamic_stack: false
    .vgpr_count:     35
    .vgpr_spill_count: 0
    .wavefront_size: 32
    .workgroup_processor_mode: 1
  - .args:
      - .offset:         0
        .size:           8
        .value_kind:     by_value
      - .offset:         8
        .size:           8
        .value_kind:     by_value
      - .address_space:  global
        .offset:         16
        .size:           8
        .value_kind:     global_buffer
      - .address_space:  global
        .offset:         24
        .size:           8
        .value_kind:     global_buffer
      - .address_space:  global
        .offset:         32
        .size:           8
        .value_kind:     global_buffer
      - .address_space:  global
        .offset:         40
        .size:           8
        .value_kind:     global_buffer
      - .address_space:  global
        .offset:         48
        .size:           8
        .value_kind:     global_buffer
      - .address_space:  global
        .offset:         56
        .size:           8
        .value_kind:     global_buffer
      - .offset:         64
        .size:           4
        .value_kind:     hidden_block_count_x
      - .offset:         68
        .size:           4
        .value_kind:     hidden_block_count_y
      - .offset:         72
        .size:           4
        .value_kind:     hidden_block_count_z
      - .offset:         76
        .size:           2
        .value_kind:     hidden_group_size_x
      - .offset:         78
        .size:           2
        .value_kind:     hidden_group_size_y
      - .offset:         80
        .size:           2
        .value_kind:     hidden_group_size_z
      - .offset:         82
        .size:           2
        .value_kind:     hidden_remainder_x
      - .offset:         84
        .size:           2
        .value_kind:     hidden_remainder_y
      - .offset:         86
        .size:           2
        .value_kind:     hidden_remainder_z
      - .offset:         104
        .size:           8
        .value_kind:     hidden_global_offset_x
      - .offset:         112
        .size:           8
        .value_kind:     hidden_global_offset_y
      - .offset:         120
        .size:           8
        .value_kind:     hidden_global_offset_z
      - .offset:         128
        .size:           2
        .value_kind:     hidden_grid_dims
    .group_segment_fixed_size: 0
    .kernarg_segment_align: 8
    .kernarg_segment_size: 320
    .language:       OpenCL C
    .language_version:
      - 2
      - 0
    .max_flat_workgroup_size: 1024
    .name:           _ZN2at6native12_GLOBAL__N_133GammaBetaBackwardSimpleCUDAKernelIddLb0EEEvllPKT_S5_PKT0_S8_PS3_S9_
    .private_segment_fixed_size: 0
    .sgpr_count:     34
    .sgpr_spill_count: 0
    .symbol:         _ZN2at6native12_GLOBAL__N_133GammaBetaBackwardSimpleCUDAKernelIddLb0EEEvllPKT_S5_PKT0_S8_PS3_S9_.kd
    .uniform_work_group_size: 1
    .uses_dynamic_stack: false
    .vgpr_count:     14
    .vgpr_spill_count: 0
    .wavefront_size: 32
    .workgroup_processor_mode: 1
  - .args:
      - .offset:         0
        .size:           8
        .value_kind:     by_value
      - .offset:         8
        .size:           8
        .value_kind:     by_value
      - .actual_access:  read_only
        .address_space:  global
        .offset:         16
        .size:           8
        .value_kind:     global_buffer
      - .actual_access:  read_only
        .address_space:  global
        .offset:         24
        .size:           8
        .value_kind:     global_buffer
      - .actual_access:  read_only
        .address_space:  global
        .offset:         32
        .size:           8
        .value_kind:     global_buffer
      - .actual_access:  read_only
        .address_space:  global
        .offset:         40
        .size:           8
        .value_kind:     global_buffer
      - .actual_access:  write_only
        .address_space:  global
        .offset:         48
        .size:           8
        .value_kind:     global_buffer
      - .actual_access:  write_only
        .address_space:  global
        .offset:         56
        .size:           8
        .value_kind:     global_buffer
      - .offset:         64
        .size:           4
        .value_kind:     hidden_block_count_x
      - .offset:         68
        .size:           4
        .value_kind:     hidden_block_count_y
      - .offset:         72
        .size:           4
        .value_kind:     hidden_block_count_z
      - .offset:         76
        .size:           2
        .value_kind:     hidden_group_size_x
      - .offset:         78
        .size:           2
        .value_kind:     hidden_group_size_y
      - .offset:         80
        .size:           2
        .value_kind:     hidden_group_size_z
      - .offset:         82
        .size:           2
        .value_kind:     hidden_remainder_x
      - .offset:         84
        .size:           2
        .value_kind:     hidden_remainder_y
      - .offset:         86
        .size:           2
        .value_kind:     hidden_remainder_z
      - .offset:         104
        .size:           8
        .value_kind:     hidden_global_offset_x
      - .offset:         112
        .size:           8
        .value_kind:     hidden_global_offset_y
      - .offset:         120
        .size:           8
        .value_kind:     hidden_global_offset_z
      - .offset:         128
        .size:           2
        .value_kind:     hidden_grid_dims
    .group_segment_fixed_size: 0
    .kernarg_segment_align: 8
    .kernarg_segment_size: 320
    .language:       OpenCL C
    .language_version:
      - 2
      - 0
    .max_flat_workgroup_size: 64
    .name:           _ZN2at6native12_GLOBAL__N_135GammaBetaBackwardCUDAKernelTemplateIddLj64ELj1ELj32ELb1ELb1ELb0EEEvllPKT_S5_PKT0_S8_PS3_S9_
    .private_segment_fixed_size: 0
    .sgpr_count:     34
    .sgpr_spill_count: 0
    .symbol:         _ZN2at6native12_GLOBAL__N_135GammaBetaBackwardCUDAKernelTemplateIddLj64ELj1ELj32ELb1ELb1ELb0EEEvllPKT_S5_PKT0_S8_PS3_S9_.kd
    .uniform_work_group_size: 1
    .uses_dynamic_stack: false
    .vgpr_count:     94
    .vgpr_spill_count: 0
    .wavefront_size: 32
    .workgroup_processor_mode: 1
  - .args:
      - .offset:         0
        .size:           8
        .value_kind:     by_value
      - .offset:         8
        .size:           8
        .value_kind:     by_value
      - .actual_access:  read_only
        .address_space:  global
        .offset:         16
        .size:           8
        .value_kind:     global_buffer
      - .actual_access:  read_only
        .address_space:  global
        .offset:         24
        .size:           8
        .value_kind:     global_buffer
      - .actual_access:  read_only
        .address_space:  global
        .offset:         32
        .size:           8
        .value_kind:     global_buffer
      - .actual_access:  read_only
        .address_space:  global
        .offset:         40
        .size:           8
        .value_kind:     global_buffer
      - .actual_access:  write_only
        .address_space:  global
        .offset:         48
        .size:           8
        .value_kind:     global_buffer
      - .actual_access:  write_only
        .address_space:  global
        .offset:         56
        .size:           8
        .value_kind:     global_buffer
      - .offset:         64
        .size:           4
        .value_kind:     hidden_block_count_x
      - .offset:         68
        .size:           4
        .value_kind:     hidden_block_count_y
      - .offset:         72
        .size:           4
        .value_kind:     hidden_block_count_z
      - .offset:         76
        .size:           2
        .value_kind:     hidden_group_size_x
      - .offset:         78
        .size:           2
        .value_kind:     hidden_group_size_y
      - .offset:         80
        .size:           2
        .value_kind:     hidden_group_size_z
      - .offset:         82
        .size:           2
        .value_kind:     hidden_remainder_x
      - .offset:         84
        .size:           2
        .value_kind:     hidden_remainder_y
      - .offset:         86
        .size:           2
        .value_kind:     hidden_remainder_z
      - .offset:         104
        .size:           8
        .value_kind:     hidden_global_offset_x
      - .offset:         112
        .size:           8
        .value_kind:     hidden_global_offset_y
      - .offset:         120
        .size:           8
        .value_kind:     hidden_global_offset_z
      - .offset:         128
        .size:           2
        .value_kind:     hidden_grid_dims
    .group_segment_fixed_size: 0
    .kernarg_segment_align: 8
    .kernarg_segment_size: 320
    .language:       OpenCL C
    .language_version:
      - 2
      - 0
    .max_flat_workgroup_size: 64
    .name:           _ZN2at6native12_GLOBAL__N_135GammaBetaBackwardCUDAKernelTemplateIddLj64ELj1ELj32ELb1ELb0ELb0EEEvllPKT_S5_PKT0_S8_PS3_S9_
    .private_segment_fixed_size: 608
    .sgpr_count:     34
    .sgpr_spill_count: 0
    .symbol:         _ZN2at6native12_GLOBAL__N_135GammaBetaBackwardCUDAKernelTemplateIddLj64ELj1ELj32ELb1ELb0ELb0EEEvllPKT_S5_PKT0_S8_PS3_S9_.kd
    .uniform_work_group_size: 1
    .uses_dynamic_stack: false
    .vgpr_count:     256
    .vgpr_spill_count: 307
    .wavefront_size: 32
    .workgroup_processor_mode: 1
  - .args:
      - .offset:         0
        .size:           8
        .value_kind:     by_value
      - .offset:         8
        .size:           8
        .value_kind:     by_value
      - .actual_access:  read_only
        .address_space:  global
        .offset:         16
        .size:           8
        .value_kind:     global_buffer
      - .actual_access:  read_only
        .address_space:  global
        .offset:         24
        .size:           8
        .value_kind:     global_buffer
      - .actual_access:  read_only
        .address_space:  global
        .offset:         32
        .size:           8
        .value_kind:     global_buffer
      - .actual_access:  read_only
        .address_space:  global
        .offset:         40
        .size:           8
        .value_kind:     global_buffer
      - .actual_access:  write_only
        .address_space:  global
        .offset:         48
        .size:           8
        .value_kind:     global_buffer
      - .actual_access:  write_only
        .address_space:  global
        .offset:         56
        .size:           8
        .value_kind:     global_buffer
      - .offset:         64
        .size:           4
        .value_kind:     hidden_block_count_x
      - .offset:         68
        .size:           4
        .value_kind:     hidden_block_count_y
      - .offset:         72
        .size:           4
        .value_kind:     hidden_block_count_z
      - .offset:         76
        .size:           2
        .value_kind:     hidden_group_size_x
      - .offset:         78
        .size:           2
        .value_kind:     hidden_group_size_y
      - .offset:         80
        .size:           2
        .value_kind:     hidden_group_size_z
      - .offset:         82
        .size:           2
        .value_kind:     hidden_remainder_x
      - .offset:         84
        .size:           2
        .value_kind:     hidden_remainder_y
      - .offset:         86
        .size:           2
        .value_kind:     hidden_remainder_z
      - .offset:         104
        .size:           8
        .value_kind:     hidden_global_offset_x
      - .offset:         112
        .size:           8
        .value_kind:     hidden_global_offset_y
      - .offset:         120
        .size:           8
        .value_kind:     hidden_global_offset_z
      - .offset:         128
        .size:           2
        .value_kind:     hidden_grid_dims
    .group_segment_fixed_size: 0
    .kernarg_segment_align: 8
    .kernarg_segment_size: 320
    .language:       OpenCL C
    .language_version:
      - 2
      - 0
    .max_flat_workgroup_size: 64
    .name:           _ZN2at6native12_GLOBAL__N_135GammaBetaBackwardCUDAKernelTemplateIddLj64ELj1ELj8ELb1ELb1ELb0EEEvllPKT_S5_PKT0_S8_PS3_S9_
    .private_segment_fixed_size: 0
    .sgpr_count:     38
    .sgpr_spill_count: 0
    .symbol:         _ZN2at6native12_GLOBAL__N_135GammaBetaBackwardCUDAKernelTemplateIddLj64ELj1ELj8ELb1ELb1ELb0EEEvllPKT_S5_PKT0_S8_PS3_S9_.kd
    .uniform_work_group_size: 1
    .uses_dynamic_stack: false
    .vgpr_count:     62
    .vgpr_spill_count: 0
    .wavefront_size: 32
    .workgroup_processor_mode: 1
  - .args:
      - .offset:         0
        .size:           8
        .value_kind:     by_value
      - .offset:         8
        .size:           8
        .value_kind:     by_value
      - .actual_access:  read_only
        .address_space:  global
        .offset:         16
        .size:           8
        .value_kind:     global_buffer
      - .actual_access:  read_only
        .address_space:  global
        .offset:         24
        .size:           8
        .value_kind:     global_buffer
      - .actual_access:  read_only
        .address_space:  global
        .offset:         32
        .size:           8
        .value_kind:     global_buffer
      - .actual_access:  read_only
        .address_space:  global
        .offset:         40
        .size:           8
        .value_kind:     global_buffer
      - .actual_access:  write_only
        .address_space:  global
        .offset:         48
        .size:           8
        .value_kind:     global_buffer
      - .actual_access:  write_only
        .address_space:  global
        .offset:         56
        .size:           8
        .value_kind:     global_buffer
      - .offset:         64
        .size:           4
        .value_kind:     hidden_block_count_x
      - .offset:         68
        .size:           4
        .value_kind:     hidden_block_count_y
      - .offset:         72
        .size:           4
        .value_kind:     hidden_block_count_z
      - .offset:         76
        .size:           2
        .value_kind:     hidden_group_size_x
      - .offset:         78
        .size:           2
        .value_kind:     hidden_group_size_y
      - .offset:         80
        .size:           2
        .value_kind:     hidden_group_size_z
      - .offset:         82
        .size:           2
        .value_kind:     hidden_remainder_x
      - .offset:         84
        .size:           2
        .value_kind:     hidden_remainder_y
      - .offset:         86
        .size:           2
        .value_kind:     hidden_remainder_z
      - .offset:         104
        .size:           8
        .value_kind:     hidden_global_offset_x
      - .offset:         112
        .size:           8
        .value_kind:     hidden_global_offset_y
      - .offset:         120
        .size:           8
        .value_kind:     hidden_global_offset_z
      - .offset:         128
        .size:           2
        .value_kind:     hidden_grid_dims
    .group_segment_fixed_size: 0
    .kernarg_segment_align: 8
    .kernarg_segment_size: 320
    .language:       OpenCL C
    .language_version:
      - 2
      - 0
    .max_flat_workgroup_size: 64
    .name:           _ZN2at6native12_GLOBAL__N_135GammaBetaBackwardCUDAKernelTemplateIddLj64ELj1ELj8ELb1ELb0ELb0EEEvllPKT_S5_PKT0_S8_PS3_S9_
    .private_segment_fixed_size: 0
    .sgpr_count:     49
    .sgpr_spill_count: 0
    .symbol:         _ZN2at6native12_GLOBAL__N_135GammaBetaBackwardCUDAKernelTemplateIddLj64ELj1ELj8ELb1ELb0ELb0EEEvllPKT_S5_PKT0_S8_PS3_S9_.kd
    .uniform_work_group_size: 1
    .uses_dynamic_stack: false
    .vgpr_count:     114
    .vgpr_spill_count: 0
    .wavefront_size: 32
    .workgroup_processor_mode: 1
  - .args:
      - .offset:         0
        .size:           8
        .value_kind:     by_value
      - .offset:         8
        .size:           8
        .value_kind:     by_value
      - .actual_access:  read_only
        .address_space:  global
        .offset:         16
        .size:           8
        .value_kind:     global_buffer
      - .actual_access:  read_only
        .address_space:  global
        .offset:         24
        .size:           8
        .value_kind:     global_buffer
      - .actual_access:  read_only
        .address_space:  global
        .offset:         32
        .size:           8
        .value_kind:     global_buffer
      - .actual_access:  read_only
        .address_space:  global
        .offset:         40
        .size:           8
        .value_kind:     global_buffer
      - .actual_access:  write_only
        .address_space:  global
        .offset:         48
        .size:           8
        .value_kind:     global_buffer
      - .actual_access:  write_only
        .address_space:  global
        .offset:         56
        .size:           8
        .value_kind:     global_buffer
      - .offset:         64
        .size:           4
        .value_kind:     hidden_block_count_x
      - .offset:         68
        .size:           4
        .value_kind:     hidden_block_count_y
      - .offset:         72
        .size:           4
        .value_kind:     hidden_block_count_z
      - .offset:         76
        .size:           2
        .value_kind:     hidden_group_size_x
      - .offset:         78
        .size:           2
        .value_kind:     hidden_group_size_y
      - .offset:         80
        .size:           2
        .value_kind:     hidden_group_size_z
      - .offset:         82
        .size:           2
        .value_kind:     hidden_remainder_x
      - .offset:         84
        .size:           2
        .value_kind:     hidden_remainder_y
      - .offset:         86
        .size:           2
        .value_kind:     hidden_remainder_z
      - .offset:         104
        .size:           8
        .value_kind:     hidden_global_offset_x
      - .offset:         112
        .size:           8
        .value_kind:     hidden_global_offset_y
      - .offset:         120
        .size:           8
        .value_kind:     hidden_global_offset_z
      - .offset:         128
        .size:           2
        .value_kind:     hidden_grid_dims
      - .offset:         184
        .size:           4
        .value_kind:     hidden_dynamic_lds_size
    .group_segment_fixed_size: 0
    .kernarg_segment_align: 8
    .kernarg_segment_size: 320
    .language:       OpenCL C
    .language_version:
      - 2
      - 0
    .max_flat_workgroup_size: 512
    .name:           _ZN2at6native12_GLOBAL__N_135GammaBetaBackwardCUDAKernelTemplateIddLj64ELj8ELj64ELb0ELb1ELb0EEEvllPKT_S5_PKT0_S8_PS3_S9_
    .private_segment_fixed_size: 0
    .sgpr_count:     30
    .sgpr_spill_count: 0
    .symbol:         _ZN2at6native12_GLOBAL__N_135GammaBetaBackwardCUDAKernelTemplateIddLj64ELj8ELj64ELb0ELb1ELb0EEEvllPKT_S5_PKT0_S8_PS3_S9_.kd
    .uniform_work_group_size: 1
    .uses_dynamic_stack: false
    .vgpr_count:     62
    .vgpr_spill_count: 0
    .wavefront_size: 32
    .workgroup_processor_mode: 1
  - .args:
      - .offset:         0
        .size:           8
        .value_kind:     by_value
      - .offset:         8
        .size:           8
        .value_kind:     by_value
      - .actual_access:  read_only
        .address_space:  global
        .offset:         16
        .size:           8
        .value_kind:     global_buffer
      - .actual_access:  read_only
        .address_space:  global
        .offset:         24
        .size:           8
        .value_kind:     global_buffer
      - .actual_access:  read_only
        .address_space:  global
        .offset:         32
        .size:           8
        .value_kind:     global_buffer
      - .actual_access:  read_only
        .address_space:  global
        .offset:         40
        .size:           8
        .value_kind:     global_buffer
      - .actual_access:  write_only
        .address_space:  global
        .offset:         48
        .size:           8
        .value_kind:     global_buffer
      - .actual_access:  write_only
        .address_space:  global
        .offset:         56
        .size:           8
        .value_kind:     global_buffer
      - .offset:         64
        .size:           4
        .value_kind:     hidden_block_count_x
      - .offset:         68
        .size:           4
        .value_kind:     hidden_block_count_y
      - .offset:         72
        .size:           4
        .value_kind:     hidden_block_count_z
      - .offset:         76
        .size:           2
        .value_kind:     hidden_group_size_x
      - .offset:         78
        .size:           2
        .value_kind:     hidden_group_size_y
      - .offset:         80
        .size:           2
        .value_kind:     hidden_group_size_z
      - .offset:         82
        .size:           2
        .value_kind:     hidden_remainder_x
      - .offset:         84
        .size:           2
        .value_kind:     hidden_remainder_y
      - .offset:         86
        .size:           2
        .value_kind:     hidden_remainder_z
      - .offset:         104
        .size:           8
        .value_kind:     hidden_global_offset_x
      - .offset:         112
        .size:           8
        .value_kind:     hidden_global_offset_y
      - .offset:         120
        .size:           8
        .value_kind:     hidden_global_offset_z
      - .offset:         128
        .size:           2
        .value_kind:     hidden_grid_dims
      - .offset:         184
        .size:           4
        .value_kind:     hidden_dynamic_lds_size
    .group_segment_fixed_size: 0
    .kernarg_segment_align: 8
    .kernarg_segment_size: 320
    .language:       OpenCL C
    .language_version:
      - 2
      - 0
    .max_flat_workgroup_size: 512
    .name:           _ZN2at6native12_GLOBAL__N_135GammaBetaBackwardCUDAKernelTemplateIddLj64ELj8ELj64ELb0ELb0ELb0EEEvllPKT_S5_PKT0_S8_PS3_S9_
    .private_segment_fixed_size: 0
    .sgpr_count:     49
    .sgpr_spill_count: 0
    .symbol:         _ZN2at6native12_GLOBAL__N_135GammaBetaBackwardCUDAKernelTemplateIddLj64ELj8ELj64ELb0ELb0ELb0EEEvllPKT_S5_PKT0_S8_PS3_S9_.kd
    .uniform_work_group_size: 1
    .uses_dynamic_stack: false
    .vgpr_count:     113
    .vgpr_spill_count: 0
    .wavefront_size: 32
    .workgroup_processor_mode: 1
  - .args:
      - .offset:         0
        .size:           8
        .value_kind:     by_value
      - .offset:         8
        .size:           8
        .value_kind:     by_value
      - .actual_access:  read_only
        .address_space:  global
        .offset:         16
        .size:           8
        .value_kind:     global_buffer
      - .actual_access:  read_only
        .address_space:  global
        .offset:         24
        .size:           8
        .value_kind:     global_buffer
      - .actual_access:  read_only
        .address_space:  global
        .offset:         32
        .size:           8
        .value_kind:     global_buffer
      - .actual_access:  read_only
        .address_space:  global
        .offset:         40
        .size:           8
        .value_kind:     global_buffer
      - .actual_access:  write_only
        .address_space:  global
        .offset:         48
        .size:           8
        .value_kind:     global_buffer
      - .actual_access:  write_only
        .address_space:  global
        .offset:         56
        .size:           8
        .value_kind:     global_buffer
      - .offset:         64
        .size:           4
        .value_kind:     hidden_block_count_x
      - .offset:         68
        .size:           4
        .value_kind:     hidden_block_count_y
      - .offset:         72
        .size:           4
        .value_kind:     hidden_block_count_z
      - .offset:         76
        .size:           2
        .value_kind:     hidden_group_size_x
      - .offset:         78
        .size:           2
        .value_kind:     hidden_group_size_y
      - .offset:         80
        .size:           2
        .value_kind:     hidden_group_size_z
      - .offset:         82
        .size:           2
        .value_kind:     hidden_remainder_x
      - .offset:         84
        .size:           2
        .value_kind:     hidden_remainder_y
      - .offset:         86
        .size:           2
        .value_kind:     hidden_remainder_z
      - .offset:         104
        .size:           8
        .value_kind:     hidden_global_offset_x
      - .offset:         112
        .size:           8
        .value_kind:     hidden_global_offset_y
      - .offset:         120
        .size:           8
        .value_kind:     hidden_global_offset_z
      - .offset:         128
        .size:           2
        .value_kind:     hidden_grid_dims
      - .offset:         184
        .size:           4
        .value_kind:     hidden_dynamic_lds_size
    .group_segment_fixed_size: 0
    .kernarg_segment_align: 8
    .kernarg_segment_size: 320
    .language:       OpenCL C
    .language_version:
      - 2
      - 0
    .max_flat_workgroup_size: 1024
    .name:           _ZN2at6native12_GLOBAL__N_135GammaBetaBackwardCUDAKernelTemplateIddLj64ELj16ELj128ELb0ELb1ELb0EEEvllPKT_S5_PKT0_S8_PS3_S9_
    .private_segment_fixed_size: 0
    .sgpr_count:     30
    .sgpr_spill_count: 0
    .symbol:         _ZN2at6native12_GLOBAL__N_135GammaBetaBackwardCUDAKernelTemplateIddLj64ELj16ELj128ELb0ELb1ELb0EEEvllPKT_S5_PKT0_S8_PS3_S9_.kd
    .uniform_work_group_size: 1
    .uses_dynamic_stack: false
    .vgpr_count:     62
    .vgpr_spill_count: 0
    .wavefront_size: 32
    .workgroup_processor_mode: 1
  - .args:
      - .offset:         0
        .size:           8
        .value_kind:     by_value
      - .offset:         8
        .size:           8
        .value_kind:     by_value
      - .actual_access:  read_only
        .address_space:  global
        .offset:         16
        .size:           8
        .value_kind:     global_buffer
      - .actual_access:  read_only
        .address_space:  global
        .offset:         24
        .size:           8
        .value_kind:     global_buffer
      - .actual_access:  read_only
        .address_space:  global
        .offset:         32
        .size:           8
        .value_kind:     global_buffer
      - .actual_access:  read_only
        .address_space:  global
        .offset:         40
        .size:           8
        .value_kind:     global_buffer
      - .actual_access:  write_only
        .address_space:  global
        .offset:         48
        .size:           8
        .value_kind:     global_buffer
      - .actual_access:  write_only
        .address_space:  global
        .offset:         56
        .size:           8
        .value_kind:     global_buffer
      - .offset:         64
        .size:           4
        .value_kind:     hidden_block_count_x
      - .offset:         68
        .size:           4
        .value_kind:     hidden_block_count_y
      - .offset:         72
        .size:           4
        .value_kind:     hidden_block_count_z
      - .offset:         76
        .size:           2
        .value_kind:     hidden_group_size_x
      - .offset:         78
        .size:           2
        .value_kind:     hidden_group_size_y
      - .offset:         80
        .size:           2
        .value_kind:     hidden_group_size_z
      - .offset:         82
        .size:           2
        .value_kind:     hidden_remainder_x
      - .offset:         84
        .size:           2
        .value_kind:     hidden_remainder_y
      - .offset:         86
        .size:           2
        .value_kind:     hidden_remainder_z
      - .offset:         104
        .size:           8
        .value_kind:     hidden_global_offset_x
      - .offset:         112
        .size:           8
        .value_kind:     hidden_global_offset_y
      - .offset:         120
        .size:           8
        .value_kind:     hidden_global_offset_z
      - .offset:         128
        .size:           2
        .value_kind:     hidden_grid_dims
      - .offset:         184
        .size:           4
        .value_kind:     hidden_dynamic_lds_size
    .group_segment_fixed_size: 0
    .kernarg_segment_align: 8
    .kernarg_segment_size: 320
    .language:       OpenCL C
    .language_version:
      - 2
      - 0
    .max_flat_workgroup_size: 1024
    .name:           _ZN2at6native12_GLOBAL__N_135GammaBetaBackwardCUDAKernelTemplateIddLj64ELj16ELj128ELb0ELb0ELb0EEEvllPKT_S5_PKT0_S8_PS3_S9_
    .private_segment_fixed_size: 0
    .sgpr_count:     49
    .sgpr_spill_count: 0
    .symbol:         _ZN2at6native12_GLOBAL__N_135GammaBetaBackwardCUDAKernelTemplateIddLj64ELj16ELj128ELb0ELb0ELb0EEEvllPKT_S5_PKT0_S8_PS3_S9_.kd
    .uniform_work_group_size: 1
    .uses_dynamic_stack: false
    .vgpr_count:     113
    .vgpr_spill_count: 0
    .wavefront_size: 32
    .workgroup_processor_mode: 1
  - .args:
      - .offset:         0
        .size:           8
        .value_kind:     by_value
      - .offset:         8
        .size:           8
        .value_kind:     by_value
      - .actual_access:  read_only
        .address_space:  global
        .offset:         16
        .size:           8
        .value_kind:     global_buffer
      - .actual_access:  read_only
        .address_space:  global
        .offset:         24
        .size:           8
        .value_kind:     global_buffer
      - .actual_access:  read_only
        .address_space:  global
        .offset:         32
        .size:           8
        .value_kind:     global_buffer
      - .actual_access:  read_only
        .address_space:  global
        .offset:         40
        .size:           8
        .value_kind:     global_buffer
      - .actual_access:  write_only
        .address_space:  global
        .offset:         48
        .size:           8
        .value_kind:     global_buffer
      - .actual_access:  write_only
        .address_space:  global
        .offset:         56
        .size:           8
        .value_kind:     global_buffer
      - .offset:         64
        .size:           4
        .value_kind:     hidden_block_count_x
      - .offset:         68
        .size:           4
        .value_kind:     hidden_block_count_y
      - .offset:         72
        .size:           4
        .value_kind:     hidden_block_count_z
      - .offset:         76
        .size:           2
        .value_kind:     hidden_group_size_x
      - .offset:         78
        .size:           2
        .value_kind:     hidden_group_size_y
      - .offset:         80
        .size:           2
        .value_kind:     hidden_group_size_z
      - .offset:         82
        .size:           2
        .value_kind:     hidden_remainder_x
      - .offset:         84
        .size:           2
        .value_kind:     hidden_remainder_y
      - .offset:         86
        .size:           2
        .value_kind:     hidden_remainder_z
      - .offset:         104
        .size:           8
        .value_kind:     hidden_global_offset_x
      - .offset:         112
        .size:           8
        .value_kind:     hidden_global_offset_y
      - .offset:         120
        .size:           8
        .value_kind:     hidden_global_offset_z
      - .offset:         128
        .size:           2
        .value_kind:     hidden_grid_dims
      - .offset:         184
        .size:           4
        .value_kind:     hidden_dynamic_lds_size
    .group_segment_fixed_size: 0
    .kernarg_segment_align: 8
    .kernarg_segment_size: 320
    .language:       OpenCL C
    .language_version:
      - 2
      - 0
    .max_flat_workgroup_size: 1024
    .name:           _ZN2at6native12_GLOBAL__N_135GammaBetaBackwardCUDAKernelTemplateIddLj64ELj16ELj256ELb0ELb1ELb0EEEvllPKT_S5_PKT0_S8_PS3_S9_
    .private_segment_fixed_size: 0
    .sgpr_count:     30
    .sgpr_spill_count: 0
    .symbol:         _ZN2at6native12_GLOBAL__N_135GammaBetaBackwardCUDAKernelTemplateIddLj64ELj16ELj256ELb0ELb1ELb0EEEvllPKT_S5_PKT0_S8_PS3_S9_.kd
    .uniform_work_group_size: 1
    .uses_dynamic_stack: false
    .vgpr_count:     84
    .vgpr_spill_count: 0
    .wavefront_size: 32
    .workgroup_processor_mode: 1
  - .args:
      - .offset:         0
        .size:           8
        .value_kind:     by_value
      - .offset:         8
        .size:           8
        .value_kind:     by_value
      - .actual_access:  read_only
        .address_space:  global
        .offset:         16
        .size:           8
        .value_kind:     global_buffer
      - .actual_access:  read_only
        .address_space:  global
        .offset:         24
        .size:           8
        .value_kind:     global_buffer
      - .actual_access:  read_only
        .address_space:  global
        .offset:         32
        .size:           8
        .value_kind:     global_buffer
      - .actual_access:  read_only
        .address_space:  global
        .offset:         40
        .size:           8
        .value_kind:     global_buffer
      - .actual_access:  write_only
        .address_space:  global
        .offset:         48
        .size:           8
        .value_kind:     global_buffer
      - .actual_access:  write_only
        .address_space:  global
        .offset:         56
        .size:           8
        .value_kind:     global_buffer
      - .offset:         64
        .size:           4
        .value_kind:     hidden_block_count_x
      - .offset:         68
        .size:           4
        .value_kind:     hidden_block_count_y
      - .offset:         72
        .size:           4
        .value_kind:     hidden_block_count_z
      - .offset:         76
        .size:           2
        .value_kind:     hidden_group_size_x
      - .offset:         78
        .size:           2
        .value_kind:     hidden_group_size_y
      - .offset:         80
        .size:           2
        .value_kind:     hidden_group_size_z
      - .offset:         82
        .size:           2
        .value_kind:     hidden_remainder_x
      - .offset:         84
        .size:           2
        .value_kind:     hidden_remainder_y
      - .offset:         86
        .size:           2
        .value_kind:     hidden_remainder_z
      - .offset:         104
        .size:           8
        .value_kind:     hidden_global_offset_x
      - .offset:         112
        .size:           8
        .value_kind:     hidden_global_offset_y
      - .offset:         120
        .size:           8
        .value_kind:     hidden_global_offset_z
      - .offset:         128
        .size:           2
        .value_kind:     hidden_grid_dims
      - .offset:         184
        .size:           4
        .value_kind:     hidden_dynamic_lds_size
    .group_segment_fixed_size: 0
    .kernarg_segment_align: 8
    .kernarg_segment_size: 320
    .language:       OpenCL C
    .language_version:
      - 2
      - 0
    .max_flat_workgroup_size: 1024
    .name:           _ZN2at6native12_GLOBAL__N_135GammaBetaBackwardCUDAKernelTemplateIddLj64ELj16ELj256ELb0ELb0ELb0EEEvllPKT_S5_PKT0_S8_PS3_S9_
    .private_segment_fixed_size: 84
    .sgpr_count:     70
    .sgpr_spill_count: 0
    .symbol:         _ZN2at6native12_GLOBAL__N_135GammaBetaBackwardCUDAKernelTemplateIddLj64ELj16ELj256ELb0ELb0ELb0EEEvllPKT_S5_PKT0_S8_PS3_S9_.kd
    .uniform_work_group_size: 1
    .uses_dynamic_stack: false
    .vgpr_count:     192
    .vgpr_spill_count: 36
    .wavefront_size: 32
    .workgroup_processor_mode: 1
  - .args:
      - .offset:         0
        .size:           8
        .value_kind:     by_value
      - .offset:         8
        .size:           8
        .value_kind:     by_value
      - .actual_access:  read_only
        .address_space:  global
        .offset:         16
        .size:           8
        .value_kind:     global_buffer
      - .actual_access:  read_only
        .address_space:  global
        .offset:         24
        .size:           8
        .value_kind:     global_buffer
      - .actual_access:  read_only
        .address_space:  global
        .offset:         32
        .size:           8
        .value_kind:     global_buffer
      - .actual_access:  read_only
        .address_space:  global
        .offset:         40
        .size:           8
        .value_kind:     global_buffer
      - .actual_access:  write_only
        .address_space:  global
        .offset:         48
        .size:           8
        .value_kind:     global_buffer
      - .actual_access:  write_only
        .address_space:  global
        .offset:         56
        .size:           8
        .value_kind:     global_buffer
      - .offset:         64
        .size:           4
        .value_kind:     hidden_block_count_x
      - .offset:         68
        .size:           4
        .value_kind:     hidden_block_count_y
      - .offset:         72
        .size:           4
        .value_kind:     hidden_block_count_z
      - .offset:         76
        .size:           2
        .value_kind:     hidden_group_size_x
      - .offset:         78
        .size:           2
        .value_kind:     hidden_group_size_y
      - .offset:         80
        .size:           2
        .value_kind:     hidden_group_size_z
      - .offset:         82
        .size:           2
        .value_kind:     hidden_remainder_x
      - .offset:         84
        .size:           2
        .value_kind:     hidden_remainder_y
      - .offset:         86
        .size:           2
        .value_kind:     hidden_remainder_z
      - .offset:         104
        .size:           8
        .value_kind:     hidden_global_offset_x
      - .offset:         112
        .size:           8
        .value_kind:     hidden_global_offset_y
      - .offset:         120
        .size:           8
        .value_kind:     hidden_global_offset_z
      - .offset:         128
        .size:           2
        .value_kind:     hidden_grid_dims
    .group_segment_fixed_size: 0
    .kernarg_segment_align: 8
    .kernarg_segment_size: 320
    .language:       OpenCL C
    .language_version:
      - 2
      - 0
    .max_flat_workgroup_size: 32
    .name:           _ZN2at6native12_GLOBAL__N_135GammaBetaBackwardCUDAKernelTemplateIddLj32ELj1ELj32ELb1ELb1ELb0EEEvllPKT_S5_PKT0_S8_PS3_S9_
    .private_segment_fixed_size: 0
    .sgpr_count:     34
    .sgpr_spill_count: 0
    .symbol:         _ZN2at6native12_GLOBAL__N_135GammaBetaBackwardCUDAKernelTemplateIddLj32ELj1ELj32ELb1ELb1ELb0EEEvllPKT_S5_PKT0_S8_PS3_S9_.kd
    .uniform_work_group_size: 1
    .uses_dynamic_stack: false
    .vgpr_count:     94
    .vgpr_spill_count: 0
    .wavefront_size: 32
    .workgroup_processor_mode: 1
  - .args:
      - .offset:         0
        .size:           8
        .value_kind:     by_value
      - .offset:         8
        .size:           8
        .value_kind:     by_value
      - .actual_access:  read_only
        .address_space:  global
        .offset:         16
        .size:           8
        .value_kind:     global_buffer
      - .actual_access:  read_only
        .address_space:  global
        .offset:         24
        .size:           8
        .value_kind:     global_buffer
      - .actual_access:  read_only
        .address_space:  global
        .offset:         32
        .size:           8
        .value_kind:     global_buffer
      - .actual_access:  read_only
        .address_space:  global
        .offset:         40
        .size:           8
        .value_kind:     global_buffer
      - .actual_access:  write_only
        .address_space:  global
        .offset:         48
        .size:           8
        .value_kind:     global_buffer
      - .actual_access:  write_only
        .address_space:  global
        .offset:         56
        .size:           8
        .value_kind:     global_buffer
      - .offset:         64
        .size:           4
        .value_kind:     hidden_block_count_x
      - .offset:         68
        .size:           4
        .value_kind:     hidden_block_count_y
      - .offset:         72
        .size:           4
        .value_kind:     hidden_block_count_z
      - .offset:         76
        .size:           2
        .value_kind:     hidden_group_size_x
      - .offset:         78
        .size:           2
        .value_kind:     hidden_group_size_y
      - .offset:         80
        .size:           2
        .value_kind:     hidden_group_size_z
      - .offset:         82
        .size:           2
        .value_kind:     hidden_remainder_x
      - .offset:         84
        .size:           2
        .value_kind:     hidden_remainder_y
      - .offset:         86
        .size:           2
        .value_kind:     hidden_remainder_z
      - .offset:         104
        .size:           8
        .value_kind:     hidden_global_offset_x
      - .offset:         112
        .size:           8
        .value_kind:     hidden_global_offset_y
      - .offset:         120
        .size:           8
        .value_kind:     hidden_global_offset_z
      - .offset:         128
        .size:           2
        .value_kind:     hidden_grid_dims
    .group_segment_fixed_size: 0
    .kernarg_segment_align: 8
    .kernarg_segment_size: 320
    .language:       OpenCL C
    .language_version:
      - 2
      - 0
    .max_flat_workgroup_size: 32
    .name:           _ZN2at6native12_GLOBAL__N_135GammaBetaBackwardCUDAKernelTemplateIddLj32ELj1ELj32ELb1ELb0ELb0EEEvllPKT_S5_PKT0_S8_PS3_S9_
    .private_segment_fixed_size: 608
    .sgpr_count:     34
    .sgpr_spill_count: 0
    .symbol:         _ZN2at6native12_GLOBAL__N_135GammaBetaBackwardCUDAKernelTemplateIddLj32ELj1ELj32ELb1ELb0ELb0EEEvllPKT_S5_PKT0_S8_PS3_S9_.kd
    .uniform_work_group_size: 1
    .uses_dynamic_stack: false
    .vgpr_count:     256
    .vgpr_spill_count: 307
    .wavefront_size: 32
    .workgroup_processor_mode: 1
  - .args:
      - .offset:         0
        .size:           8
        .value_kind:     by_value
      - .offset:         8
        .size:           8
        .value_kind:     by_value
      - .actual_access:  read_only
        .address_space:  global
        .offset:         16
        .size:           8
        .value_kind:     global_buffer
      - .actual_access:  read_only
        .address_space:  global
        .offset:         24
        .size:           8
        .value_kind:     global_buffer
      - .actual_access:  read_only
        .address_space:  global
        .offset:         32
        .size:           8
        .value_kind:     global_buffer
      - .actual_access:  read_only
        .address_space:  global
        .offset:         40
        .size:           8
        .value_kind:     global_buffer
      - .actual_access:  write_only
        .address_space:  global
        .offset:         48
        .size:           8
        .value_kind:     global_buffer
      - .actual_access:  write_only
        .address_space:  global
        .offset:         56
        .size:           8
        .value_kind:     global_buffer
      - .offset:         64
        .size:           4
        .value_kind:     hidden_block_count_x
      - .offset:         68
        .size:           4
        .value_kind:     hidden_block_count_y
      - .offset:         72
        .size:           4
        .value_kind:     hidden_block_count_z
      - .offset:         76
        .size:           2
        .value_kind:     hidden_group_size_x
      - .offset:         78
        .size:           2
        .value_kind:     hidden_group_size_y
      - .offset:         80
        .size:           2
        .value_kind:     hidden_group_size_z
      - .offset:         82
        .size:           2
        .value_kind:     hidden_remainder_x
      - .offset:         84
        .size:           2
        .value_kind:     hidden_remainder_y
      - .offset:         86
        .size:           2
        .value_kind:     hidden_remainder_z
      - .offset:         104
        .size:           8
        .value_kind:     hidden_global_offset_x
      - .offset:         112
        .size:           8
        .value_kind:     hidden_global_offset_y
      - .offset:         120
        .size:           8
        .value_kind:     hidden_global_offset_z
      - .offset:         128
        .size:           2
        .value_kind:     hidden_grid_dims
    .group_segment_fixed_size: 0
    .kernarg_segment_align: 8
    .kernarg_segment_size: 320
    .language:       OpenCL C
    .language_version:
      - 2
      - 0
    .max_flat_workgroup_size: 32
    .name:           _ZN2at6native12_GLOBAL__N_135GammaBetaBackwardCUDAKernelTemplateIddLj32ELj1ELj8ELb1ELb1ELb0EEEvllPKT_S5_PKT0_S8_PS3_S9_
    .private_segment_fixed_size: 0
    .sgpr_count:     38
    .sgpr_spill_count: 0
    .symbol:         _ZN2at6native12_GLOBAL__N_135GammaBetaBackwardCUDAKernelTemplateIddLj32ELj1ELj8ELb1ELb1ELb0EEEvllPKT_S5_PKT0_S8_PS3_S9_.kd
    .uniform_work_group_size: 1
    .uses_dynamic_stack: false
    .vgpr_count:     62
    .vgpr_spill_count: 0
    .wavefront_size: 32
    .workgroup_processor_mode: 1
  - .args:
      - .offset:         0
        .size:           8
        .value_kind:     by_value
      - .offset:         8
        .size:           8
        .value_kind:     by_value
      - .actual_access:  read_only
        .address_space:  global
        .offset:         16
        .size:           8
        .value_kind:     global_buffer
      - .actual_access:  read_only
        .address_space:  global
        .offset:         24
        .size:           8
        .value_kind:     global_buffer
      - .actual_access:  read_only
        .address_space:  global
        .offset:         32
        .size:           8
        .value_kind:     global_buffer
      - .actual_access:  read_only
        .address_space:  global
        .offset:         40
        .size:           8
        .value_kind:     global_buffer
      - .actual_access:  write_only
        .address_space:  global
        .offset:         48
        .size:           8
        .value_kind:     global_buffer
      - .actual_access:  write_only
        .address_space:  global
        .offset:         56
        .size:           8
        .value_kind:     global_buffer
      - .offset:         64
        .size:           4
        .value_kind:     hidden_block_count_x
      - .offset:         68
        .size:           4
        .value_kind:     hidden_block_count_y
      - .offset:         72
        .size:           4
        .value_kind:     hidden_block_count_z
      - .offset:         76
        .size:           2
        .value_kind:     hidden_group_size_x
      - .offset:         78
        .size:           2
        .value_kind:     hidden_group_size_y
      - .offset:         80
        .size:           2
        .value_kind:     hidden_group_size_z
      - .offset:         82
        .size:           2
        .value_kind:     hidden_remainder_x
      - .offset:         84
        .size:           2
        .value_kind:     hidden_remainder_y
      - .offset:         86
        .size:           2
        .value_kind:     hidden_remainder_z
      - .offset:         104
        .size:           8
        .value_kind:     hidden_global_offset_x
      - .offset:         112
        .size:           8
        .value_kind:     hidden_global_offset_y
      - .offset:         120
        .size:           8
        .value_kind:     hidden_global_offset_z
      - .offset:         128
        .size:           2
        .value_kind:     hidden_grid_dims
    .group_segment_fixed_size: 0
    .kernarg_segment_align: 8
    .kernarg_segment_size: 320
    .language:       OpenCL C
    .language_version:
      - 2
      - 0
    .max_flat_workgroup_size: 32
    .name:           _ZN2at6native12_GLOBAL__N_135GammaBetaBackwardCUDAKernelTemplateIddLj32ELj1ELj8ELb1ELb0ELb0EEEvllPKT_S5_PKT0_S8_PS3_S9_
    .private_segment_fixed_size: 0
    .sgpr_count:     49
    .sgpr_spill_count: 0
    .symbol:         _ZN2at6native12_GLOBAL__N_135GammaBetaBackwardCUDAKernelTemplateIddLj32ELj1ELj8ELb1ELb0ELb0EEEvllPKT_S5_PKT0_S8_PS3_S9_.kd
    .uniform_work_group_size: 1
    .uses_dynamic_stack: false
    .vgpr_count:     114
    .vgpr_spill_count: 0
    .wavefront_size: 32
    .workgroup_processor_mode: 1
  - .args:
      - .offset:         0
        .size:           8
        .value_kind:     by_value
      - .offset:         8
        .size:           8
        .value_kind:     by_value
      - .actual_access:  read_only
        .address_space:  global
        .offset:         16
        .size:           8
        .value_kind:     global_buffer
      - .actual_access:  read_only
        .address_space:  global
        .offset:         24
        .size:           8
        .value_kind:     global_buffer
      - .actual_access:  read_only
        .address_space:  global
        .offset:         32
        .size:           8
        .value_kind:     global_buffer
      - .actual_access:  read_only
        .address_space:  global
        .offset:         40
        .size:           8
        .value_kind:     global_buffer
      - .actual_access:  write_only
        .address_space:  global
        .offset:         48
        .size:           8
        .value_kind:     global_buffer
      - .actual_access:  write_only
        .address_space:  global
        .offset:         56
        .size:           8
        .value_kind:     global_buffer
      - .offset:         64
        .size:           4
        .value_kind:     hidden_block_count_x
      - .offset:         68
        .size:           4
        .value_kind:     hidden_block_count_y
      - .offset:         72
        .size:           4
        .value_kind:     hidden_block_count_z
      - .offset:         76
        .size:           2
        .value_kind:     hidden_group_size_x
      - .offset:         78
        .size:           2
        .value_kind:     hidden_group_size_y
      - .offset:         80
        .size:           2
        .value_kind:     hidden_group_size_z
      - .offset:         82
        .size:           2
        .value_kind:     hidden_remainder_x
      - .offset:         84
        .size:           2
        .value_kind:     hidden_remainder_y
      - .offset:         86
        .size:           2
        .value_kind:     hidden_remainder_z
      - .offset:         104
        .size:           8
        .value_kind:     hidden_global_offset_x
      - .offset:         112
        .size:           8
        .value_kind:     hidden_global_offset_y
      - .offset:         120
        .size:           8
        .value_kind:     hidden_global_offset_z
      - .offset:         128
        .size:           2
        .value_kind:     hidden_grid_dims
      - .offset:         184
        .size:           4
        .value_kind:     hidden_dynamic_lds_size
    .group_segment_fixed_size: 0
    .kernarg_segment_align: 8
    .kernarg_segment_size: 320
    .language:       OpenCL C
    .language_version:
      - 2
      - 0
    .max_flat_workgroup_size: 256
    .name:           _ZN2at6native12_GLOBAL__N_135GammaBetaBackwardCUDAKernelTemplateIddLj32ELj8ELj64ELb0ELb1ELb0EEEvllPKT_S5_PKT0_S8_PS3_S9_
    .private_segment_fixed_size: 0
    .sgpr_count:     30
    .sgpr_spill_count: 0
    .symbol:         _ZN2at6native12_GLOBAL__N_135GammaBetaBackwardCUDAKernelTemplateIddLj32ELj8ELj64ELb0ELb1ELb0EEEvllPKT_S5_PKT0_S8_PS3_S9_.kd
    .uniform_work_group_size: 1
    .uses_dynamic_stack: false
    .vgpr_count:     62
    .vgpr_spill_count: 0
    .wavefront_size: 32
    .workgroup_processor_mode: 1
  - .args:
      - .offset:         0
        .size:           8
        .value_kind:     by_value
      - .offset:         8
        .size:           8
        .value_kind:     by_value
      - .actual_access:  read_only
        .address_space:  global
        .offset:         16
        .size:           8
        .value_kind:     global_buffer
      - .actual_access:  read_only
        .address_space:  global
        .offset:         24
        .size:           8
        .value_kind:     global_buffer
      - .actual_access:  read_only
        .address_space:  global
        .offset:         32
        .size:           8
        .value_kind:     global_buffer
      - .actual_access:  read_only
        .address_space:  global
        .offset:         40
        .size:           8
        .value_kind:     global_buffer
      - .actual_access:  write_only
        .address_space:  global
        .offset:         48
        .size:           8
        .value_kind:     global_buffer
      - .actual_access:  write_only
        .address_space:  global
        .offset:         56
        .size:           8
        .value_kind:     global_buffer
      - .offset:         64
        .size:           4
        .value_kind:     hidden_block_count_x
      - .offset:         68
        .size:           4
        .value_kind:     hidden_block_count_y
      - .offset:         72
        .size:           4
        .value_kind:     hidden_block_count_z
      - .offset:         76
        .size:           2
        .value_kind:     hidden_group_size_x
      - .offset:         78
        .size:           2
        .value_kind:     hidden_group_size_y
      - .offset:         80
        .size:           2
        .value_kind:     hidden_group_size_z
      - .offset:         82
        .size:           2
        .value_kind:     hidden_remainder_x
      - .offset:         84
        .size:           2
        .value_kind:     hidden_remainder_y
      - .offset:         86
        .size:           2
        .value_kind:     hidden_remainder_z
      - .offset:         104
        .size:           8
        .value_kind:     hidden_global_offset_x
      - .offset:         112
        .size:           8
        .value_kind:     hidden_global_offset_y
      - .offset:         120
        .size:           8
        .value_kind:     hidden_global_offset_z
      - .offset:         128
        .size:           2
        .value_kind:     hidden_grid_dims
      - .offset:         184
        .size:           4
        .value_kind:     hidden_dynamic_lds_size
    .group_segment_fixed_size: 0
    .kernarg_segment_align: 8
    .kernarg_segment_size: 320
    .language:       OpenCL C
    .language_version:
      - 2
      - 0
    .max_flat_workgroup_size: 256
    .name:           _ZN2at6native12_GLOBAL__N_135GammaBetaBackwardCUDAKernelTemplateIddLj32ELj8ELj64ELb0ELb0ELb0EEEvllPKT_S5_PKT0_S8_PS3_S9_
    .private_segment_fixed_size: 0
    .sgpr_count:     49
    .sgpr_spill_count: 0
    .symbol:         _ZN2at6native12_GLOBAL__N_135GammaBetaBackwardCUDAKernelTemplateIddLj32ELj8ELj64ELb0ELb0ELb0EEEvllPKT_S5_PKT0_S8_PS3_S9_.kd
    .uniform_work_group_size: 1
    .uses_dynamic_stack: false
    .vgpr_count:     113
    .vgpr_spill_count: 0
    .wavefront_size: 32
    .workgroup_processor_mode: 1
  - .args:
      - .offset:         0
        .size:           8
        .value_kind:     by_value
      - .offset:         8
        .size:           8
        .value_kind:     by_value
      - .actual_access:  read_only
        .address_space:  global
        .offset:         16
        .size:           8
        .value_kind:     global_buffer
      - .actual_access:  read_only
        .address_space:  global
        .offset:         24
        .size:           8
        .value_kind:     global_buffer
      - .actual_access:  read_only
        .address_space:  global
        .offset:         32
        .size:           8
        .value_kind:     global_buffer
      - .actual_access:  read_only
        .address_space:  global
        .offset:         40
        .size:           8
        .value_kind:     global_buffer
      - .actual_access:  write_only
        .address_space:  global
        .offset:         48
        .size:           8
        .value_kind:     global_buffer
      - .actual_access:  write_only
        .address_space:  global
        .offset:         56
        .size:           8
        .value_kind:     global_buffer
      - .offset:         64
        .size:           4
        .value_kind:     hidden_block_count_x
      - .offset:         68
        .size:           4
        .value_kind:     hidden_block_count_y
      - .offset:         72
        .size:           4
        .value_kind:     hidden_block_count_z
      - .offset:         76
        .size:           2
        .value_kind:     hidden_group_size_x
      - .offset:         78
        .size:           2
        .value_kind:     hidden_group_size_y
      - .offset:         80
        .size:           2
        .value_kind:     hidden_group_size_z
      - .offset:         82
        .size:           2
        .value_kind:     hidden_remainder_x
      - .offset:         84
        .size:           2
        .value_kind:     hidden_remainder_y
      - .offset:         86
        .size:           2
        .value_kind:     hidden_remainder_z
      - .offset:         104
        .size:           8
        .value_kind:     hidden_global_offset_x
      - .offset:         112
        .size:           8
        .value_kind:     hidden_global_offset_y
      - .offset:         120
        .size:           8
        .value_kind:     hidden_global_offset_z
      - .offset:         128
        .size:           2
        .value_kind:     hidden_grid_dims
      - .offset:         184
        .size:           4
        .value_kind:     hidden_dynamic_lds_size
    .group_segment_fixed_size: 0
    .kernarg_segment_align: 8
    .kernarg_segment_size: 320
    .language:       OpenCL C
    .language_version:
      - 2
      - 0
    .max_flat_workgroup_size: 512
    .name:           _ZN2at6native12_GLOBAL__N_135GammaBetaBackwardCUDAKernelTemplateIddLj32ELj16ELj128ELb0ELb1ELb0EEEvllPKT_S5_PKT0_S8_PS3_S9_
    .private_segment_fixed_size: 0
    .sgpr_count:     30
    .sgpr_spill_count: 0
    .symbol:         _ZN2at6native12_GLOBAL__N_135GammaBetaBackwardCUDAKernelTemplateIddLj32ELj16ELj128ELb0ELb1ELb0EEEvllPKT_S5_PKT0_S8_PS3_S9_.kd
    .uniform_work_group_size: 1
    .uses_dynamic_stack: false
    .vgpr_count:     62
    .vgpr_spill_count: 0
    .wavefront_size: 32
    .workgroup_processor_mode: 1
  - .args:
      - .offset:         0
        .size:           8
        .value_kind:     by_value
      - .offset:         8
        .size:           8
        .value_kind:     by_value
      - .actual_access:  read_only
        .address_space:  global
        .offset:         16
        .size:           8
        .value_kind:     global_buffer
      - .actual_access:  read_only
        .address_space:  global
        .offset:         24
        .size:           8
        .value_kind:     global_buffer
      - .actual_access:  read_only
        .address_space:  global
        .offset:         32
        .size:           8
        .value_kind:     global_buffer
      - .actual_access:  read_only
        .address_space:  global
        .offset:         40
        .size:           8
        .value_kind:     global_buffer
      - .actual_access:  write_only
        .address_space:  global
        .offset:         48
        .size:           8
        .value_kind:     global_buffer
      - .actual_access:  write_only
        .address_space:  global
        .offset:         56
        .size:           8
        .value_kind:     global_buffer
      - .offset:         64
        .size:           4
        .value_kind:     hidden_block_count_x
      - .offset:         68
        .size:           4
        .value_kind:     hidden_block_count_y
      - .offset:         72
        .size:           4
        .value_kind:     hidden_block_count_z
      - .offset:         76
        .size:           2
        .value_kind:     hidden_group_size_x
      - .offset:         78
        .size:           2
        .value_kind:     hidden_group_size_y
      - .offset:         80
        .size:           2
        .value_kind:     hidden_group_size_z
      - .offset:         82
        .size:           2
        .value_kind:     hidden_remainder_x
      - .offset:         84
        .size:           2
        .value_kind:     hidden_remainder_y
      - .offset:         86
        .size:           2
        .value_kind:     hidden_remainder_z
      - .offset:         104
        .size:           8
        .value_kind:     hidden_global_offset_x
      - .offset:         112
        .size:           8
        .value_kind:     hidden_global_offset_y
      - .offset:         120
        .size:           8
        .value_kind:     hidden_global_offset_z
      - .offset:         128
        .size:           2
        .value_kind:     hidden_grid_dims
      - .offset:         184
        .size:           4
        .value_kind:     hidden_dynamic_lds_size
    .group_segment_fixed_size: 0
    .kernarg_segment_align: 8
    .kernarg_segment_size: 320
    .language:       OpenCL C
    .language_version:
      - 2
      - 0
    .max_flat_workgroup_size: 512
    .name:           _ZN2at6native12_GLOBAL__N_135GammaBetaBackwardCUDAKernelTemplateIddLj32ELj16ELj128ELb0ELb0ELb0EEEvllPKT_S5_PKT0_S8_PS3_S9_
    .private_segment_fixed_size: 0
    .sgpr_count:     49
    .sgpr_spill_count: 0
    .symbol:         _ZN2at6native12_GLOBAL__N_135GammaBetaBackwardCUDAKernelTemplateIddLj32ELj16ELj128ELb0ELb0ELb0EEEvllPKT_S5_PKT0_S8_PS3_S9_.kd
    .uniform_work_group_size: 1
    .uses_dynamic_stack: false
    .vgpr_count:     113
    .vgpr_spill_count: 0
    .wavefront_size: 32
    .workgroup_processor_mode: 1
  - .args:
      - .offset:         0
        .size:           8
        .value_kind:     by_value
      - .offset:         8
        .size:           8
        .value_kind:     by_value
      - .actual_access:  read_only
        .address_space:  global
        .offset:         16
        .size:           8
        .value_kind:     global_buffer
      - .actual_access:  read_only
        .address_space:  global
        .offset:         24
        .size:           8
        .value_kind:     global_buffer
      - .actual_access:  read_only
        .address_space:  global
        .offset:         32
        .size:           8
        .value_kind:     global_buffer
      - .actual_access:  read_only
        .address_space:  global
        .offset:         40
        .size:           8
        .value_kind:     global_buffer
      - .actual_access:  write_only
        .address_space:  global
        .offset:         48
        .size:           8
        .value_kind:     global_buffer
      - .actual_access:  write_only
        .address_space:  global
        .offset:         56
        .size:           8
        .value_kind:     global_buffer
      - .offset:         64
        .size:           4
        .value_kind:     hidden_block_count_x
      - .offset:         68
        .size:           4
        .value_kind:     hidden_block_count_y
      - .offset:         72
        .size:           4
        .value_kind:     hidden_block_count_z
      - .offset:         76
        .size:           2
        .value_kind:     hidden_group_size_x
      - .offset:         78
        .size:           2
        .value_kind:     hidden_group_size_y
      - .offset:         80
        .size:           2
        .value_kind:     hidden_group_size_z
      - .offset:         82
        .size:           2
        .value_kind:     hidden_remainder_x
      - .offset:         84
        .size:           2
        .value_kind:     hidden_remainder_y
      - .offset:         86
        .size:           2
        .value_kind:     hidden_remainder_z
      - .offset:         104
        .size:           8
        .value_kind:     hidden_global_offset_x
      - .offset:         112
        .size:           8
        .value_kind:     hidden_global_offset_y
      - .offset:         120
        .size:           8
        .value_kind:     hidden_global_offset_z
      - .offset:         128
        .size:           2
        .value_kind:     hidden_grid_dims
      - .offset:         184
        .size:           4
        .value_kind:     hidden_dynamic_lds_size
    .group_segment_fixed_size: 0
    .kernarg_segment_align: 8
    .kernarg_segment_size: 320
    .language:       OpenCL C
    .language_version:
      - 2
      - 0
    .max_flat_workgroup_size: 1024
    .name:           _ZN2at6native12_GLOBAL__N_135GammaBetaBackwardCUDAKernelTemplateIddLj32ELj32ELj256ELb0ELb1ELb0EEEvllPKT_S5_PKT0_S8_PS3_S9_
    .private_segment_fixed_size: 0
    .sgpr_count:     30
    .sgpr_spill_count: 0
    .symbol:         _ZN2at6native12_GLOBAL__N_135GammaBetaBackwardCUDAKernelTemplateIddLj32ELj32ELj256ELb0ELb1ELb0EEEvllPKT_S5_PKT0_S8_PS3_S9_.kd
    .uniform_work_group_size: 1
    .uses_dynamic_stack: false
    .vgpr_count:     62
    .vgpr_spill_count: 0
    .wavefront_size: 32
    .workgroup_processor_mode: 1
  - .args:
      - .offset:         0
        .size:           8
        .value_kind:     by_value
      - .offset:         8
        .size:           8
        .value_kind:     by_value
      - .actual_access:  read_only
        .address_space:  global
        .offset:         16
        .size:           8
        .value_kind:     global_buffer
      - .actual_access:  read_only
        .address_space:  global
        .offset:         24
        .size:           8
        .value_kind:     global_buffer
      - .actual_access:  read_only
        .address_space:  global
        .offset:         32
        .size:           8
        .value_kind:     global_buffer
      - .actual_access:  read_only
        .address_space:  global
        .offset:         40
        .size:           8
        .value_kind:     global_buffer
      - .actual_access:  write_only
        .address_space:  global
        .offset:         48
        .size:           8
        .value_kind:     global_buffer
      - .actual_access:  write_only
        .address_space:  global
        .offset:         56
        .size:           8
        .value_kind:     global_buffer
      - .offset:         64
        .size:           4
        .value_kind:     hidden_block_count_x
      - .offset:         68
        .size:           4
        .value_kind:     hidden_block_count_y
      - .offset:         72
        .size:           4
        .value_kind:     hidden_block_count_z
      - .offset:         76
        .size:           2
        .value_kind:     hidden_group_size_x
      - .offset:         78
        .size:           2
        .value_kind:     hidden_group_size_y
      - .offset:         80
        .size:           2
        .value_kind:     hidden_group_size_z
      - .offset:         82
        .size:           2
        .value_kind:     hidden_remainder_x
      - .offset:         84
        .size:           2
        .value_kind:     hidden_remainder_y
      - .offset:         86
        .size:           2
        .value_kind:     hidden_remainder_z
      - .offset:         104
        .size:           8
        .value_kind:     hidden_global_offset_x
      - .offset:         112
        .size:           8
        .value_kind:     hidden_global_offset_y
      - .offset:         120
        .size:           8
        .value_kind:     hidden_global_offset_z
      - .offset:         128
        .size:           2
        .value_kind:     hidden_grid_dims
      - .offset:         184
        .size:           4
        .value_kind:     hidden_dynamic_lds_size
    .group_segment_fixed_size: 0
    .kernarg_segment_align: 8
    .kernarg_segment_size: 320
    .language:       OpenCL C
    .language_version:
      - 2
      - 0
    .max_flat_workgroup_size: 1024
    .name:           _ZN2at6native12_GLOBAL__N_135GammaBetaBackwardCUDAKernelTemplateIddLj32ELj32ELj256ELb0ELb0ELb0EEEvllPKT_S5_PKT0_S8_PS3_S9_
    .private_segment_fixed_size: 0
    .sgpr_count:     49
    .sgpr_spill_count: 0
    .symbol:         _ZN2at6native12_GLOBAL__N_135GammaBetaBackwardCUDAKernelTemplateIddLj32ELj32ELj256ELb0ELb0ELb0EEEvllPKT_S5_PKT0_S8_PS3_S9_.kd
    .uniform_work_group_size: 1
    .uses_dynamic_stack: false
    .vgpr_count:     113
    .vgpr_spill_count: 0
    .wavefront_size: 32
    .workgroup_processor_mode: 1
  - .args:
      - .actual_access:  read_only
        .address_space:  global
        .offset:         0
        .size:           8
        .value_kind:     global_buffer
      - .actual_access:  read_only
        .address_space:  global
        .offset:         8
        .size:           8
        .value_kind:     global_buffer
      - .offset:         16
        .size:           8
        .value_kind:     by_value
      - .offset:         24
        .size:           8
        .value_kind:     by_value
      - .actual_access:  read_only
        .address_space:  global
        .offset:         32
        .size:           8
        .value_kind:     global_buffer
      - .actual_access:  read_only
        .address_space:  global
        .offset:         40
        .size:           8
        .value_kind:     global_buffer
      - .address_space:  global
        .offset:         48
        .size:           8
        .value_kind:     global_buffer
      - .address_space:  global
        .offset:         56
        .size:           8
        .value_kind:     global_buffer
      - .offset:         64
        .size:           4
        .value_kind:     hidden_block_count_x
      - .offset:         68
        .size:           4
        .value_kind:     hidden_block_count_y
      - .offset:         72
        .size:           4
        .value_kind:     hidden_block_count_z
      - .offset:         76
        .size:           2
        .value_kind:     hidden_group_size_x
      - .offset:         78
        .size:           2
        .value_kind:     hidden_group_size_y
      - .offset:         80
        .size:           2
        .value_kind:     hidden_group_size_z
      - .offset:         82
        .size:           2
        .value_kind:     hidden_remainder_x
      - .offset:         84
        .size:           2
        .value_kind:     hidden_remainder_y
      - .offset:         86
        .size:           2
        .value_kind:     hidden_remainder_z
      - .offset:         104
        .size:           8
        .value_kind:     hidden_global_offset_x
      - .offset:         112
        .size:           8
        .value_kind:     hidden_global_offset_y
      - .offset:         120
        .size:           8
        .value_kind:     hidden_global_offset_z
      - .offset:         128
        .size:           2
        .value_kind:     hidden_grid_dims
      - .offset:         184
        .size:           4
        .value_kind:     hidden_dynamic_lds_size
    .group_segment_fixed_size: 0
    .kernarg_segment_align: 8
    .kernarg_segment_size: 320
    .language:       OpenCL C
    .language_version:
      - 2
      - 0
    .max_flat_workgroup_size: 1024
    .name:           _ZN2at6native12_GLOBAL__N_118cuComputeGradInputIffLb0EEEvPKT_S5_llPKT0_S8_S5_PS3_
    .private_segment_fixed_size: 0
    .sgpr_count:     44
    .sgpr_spill_count: 0
    .symbol:         _ZN2at6native12_GLOBAL__N_118cuComputeGradInputIffLb0EEEvPKT_S5_llPKT0_S8_S5_PS3_.kd
    .uniform_work_group_size: 1
    .uses_dynamic_stack: false
    .vgpr_count:     25
    .vgpr_spill_count: 0
    .wavefront_size: 32
    .workgroup_processor_mode: 1
  - .args:
      - .actual_access:  read_only
        .address_space:  global
        .offset:         0
        .size:           8
        .value_kind:     global_buffer
      - .actual_access:  read_only
        .address_space:  global
        .offset:         8
        .size:           8
        .value_kind:     global_buffer
      - .actual_access:  read_only
        .address_space:  global
        .offset:         16
        .size:           8
        .value_kind:     global_buffer
      - .actual_access:  read_only
        .address_space:  global
        .offset:         24
        .size:           8
        .value_kind:     global_buffer
      - .actual_access:  read_only
        .address_space:  global
        .offset:         32
        .size:           8
        .value_kind:     global_buffer
      - .address_space:  global
        .offset:         40
        .size:           8
        .value_kind:     global_buffer
      - .offset:         48
        .size:           4
        .value_kind:     by_value
      - .offset:         56
        .size:           4
        .value_kind:     hidden_block_count_x
      - .offset:         60
        .size:           4
        .value_kind:     hidden_block_count_y
      - .offset:         64
        .size:           4
        .value_kind:     hidden_block_count_z
      - .offset:         68
        .size:           2
        .value_kind:     hidden_group_size_x
      - .offset:         70
        .size:           2
        .value_kind:     hidden_group_size_y
      - .offset:         72
        .size:           2
        .value_kind:     hidden_group_size_z
      - .offset:         74
        .size:           2
        .value_kind:     hidden_remainder_x
      - .offset:         76
        .size:           2
        .value_kind:     hidden_remainder_y
      - .offset:         78
        .size:           2
        .value_kind:     hidden_remainder_z
      - .offset:         96
        .size:           8
        .value_kind:     hidden_global_offset_x
      - .offset:         104
        .size:           8
        .value_kind:     hidden_global_offset_y
      - .offset:         112
        .size:           8
        .value_kind:     hidden_global_offset_z
      - .offset:         120
        .size:           2
        .value_kind:     hidden_grid_dims
      - .offset:         176
        .size:           4
        .value_kind:     hidden_dynamic_lds_size
    .group_segment_fixed_size: 0
    .kernarg_segment_align: 8
    .kernarg_segment_size: 312
    .language:       OpenCL C
    .language_version:
      - 2
      - 0
    .max_flat_workgroup_size: 1024
    .name:           _ZN2at6native12_GLOBAL__N_128layer_norm_grad_input_kernelIffLb0EEEvPKT_S5_PKT0_S8_S5_PS3_i
    .private_segment_fixed_size: 0
    .sgpr_count:     29
    .sgpr_spill_count: 0
    .symbol:         _ZN2at6native12_GLOBAL__N_128layer_norm_grad_input_kernelIffLb0EEEvPKT_S5_PKT0_S8_S5_PS3_i.kd
    .uniform_work_group_size: 1
    .uses_dynamic_stack: false
    .vgpr_count:     21
    .vgpr_spill_count: 0
    .wavefront_size: 32
    .workgroup_processor_mode: 1
  - .args:
      - .offset:         0
        .size:           8
        .value_kind:     by_value
      - .offset:         8
        .size:           8
        .value_kind:     by_value
      - .address_space:  global
        .offset:         16
        .size:           8
        .value_kind:     global_buffer
      - .address_space:  global
        .offset:         24
        .size:           8
        .value_kind:     global_buffer
      - .address_space:  global
        .offset:         32
        .size:           8
        .value_kind:     global_buffer
      - .address_space:  global
        .offset:         40
        .size:           8
        .value_kind:     global_buffer
      - .address_space:  global
        .offset:         48
        .size:           8
        .value_kind:     global_buffer
      - .address_space:  global
        .offset:         56
        .size:           8
        .value_kind:     global_buffer
      - .offset:         64
        .size:           4
        .value_kind:     hidden_block_count_x
      - .offset:         68
        .size:           4
        .value_kind:     hidden_block_count_y
      - .offset:         72
        .size:           4
        .value_kind:     hidden_block_count_z
      - .offset:         76
        .size:           2
        .value_kind:     hidden_group_size_x
      - .offset:         78
        .size:           2
        .value_kind:     hidden_group_size_y
      - .offset:         80
        .size:           2
        .value_kind:     hidden_group_size_z
      - .offset:         82
        .size:           2
        .value_kind:     hidden_remainder_x
      - .offset:         84
        .size:           2
        .value_kind:     hidden_remainder_y
      - .offset:         86
        .size:           2
        .value_kind:     hidden_remainder_z
      - .offset:         104
        .size:           8
        .value_kind:     hidden_global_offset_x
      - .offset:         112
        .size:           8
        .value_kind:     hidden_global_offset_y
      - .offset:         120
        .size:           8
        .value_kind:     hidden_global_offset_z
      - .offset:         128
        .size:           2
        .value_kind:     hidden_grid_dims
    .group_segment_fixed_size: 0
    .kernarg_segment_align: 8
    .kernarg_segment_size: 320
    .language:       OpenCL C
    .language_version:
      - 2
      - 0
    .max_flat_workgroup_size: 1024
    .name:           _ZN2at6native12_GLOBAL__N_133GammaBetaBackwardSimpleCUDAKernelIffLb0EEEvllPKT_S5_PKT0_S8_PS3_S9_
    .private_segment_fixed_size: 0
    .sgpr_count:     34
    .sgpr_spill_count: 0
    .symbol:         _ZN2at6native12_GLOBAL__N_133GammaBetaBackwardSimpleCUDAKernelIffLb0EEEvllPKT_S5_PKT0_S8_PS3_S9_.kd
    .uniform_work_group_size: 1
    .uses_dynamic_stack: false
    .vgpr_count:     10
    .vgpr_spill_count: 0
    .wavefront_size: 32
    .workgroup_processor_mode: 1
  - .args:
      - .offset:         0
        .size:           8
        .value_kind:     by_value
      - .offset:         8
        .size:           8
        .value_kind:     by_value
      - .actual_access:  read_only
        .address_space:  global
        .offset:         16
        .size:           8
        .value_kind:     global_buffer
      - .actual_access:  read_only
        .address_space:  global
        .offset:         24
        .size:           8
        .value_kind:     global_buffer
      - .actual_access:  read_only
        .address_space:  global
        .offset:         32
        .size:           8
        .value_kind:     global_buffer
      - .actual_access:  read_only
        .address_space:  global
        .offset:         40
        .size:           8
        .value_kind:     global_buffer
      - .actual_access:  write_only
        .address_space:  global
        .offset:         48
        .size:           8
        .value_kind:     global_buffer
      - .actual_access:  write_only
        .address_space:  global
        .offset:         56
        .size:           8
        .value_kind:     global_buffer
      - .offset:         64
        .size:           4
        .value_kind:     hidden_block_count_x
      - .offset:         68
        .size:           4
        .value_kind:     hidden_block_count_y
      - .offset:         72
        .size:           4
        .value_kind:     hidden_block_count_z
      - .offset:         76
        .size:           2
        .value_kind:     hidden_group_size_x
      - .offset:         78
        .size:           2
        .value_kind:     hidden_group_size_y
      - .offset:         80
        .size:           2
        .value_kind:     hidden_group_size_z
      - .offset:         82
        .size:           2
        .value_kind:     hidden_remainder_x
      - .offset:         84
        .size:           2
        .value_kind:     hidden_remainder_y
      - .offset:         86
        .size:           2
        .value_kind:     hidden_remainder_z
      - .offset:         104
        .size:           8
        .value_kind:     hidden_global_offset_x
      - .offset:         112
        .size:           8
        .value_kind:     hidden_global_offset_y
      - .offset:         120
        .size:           8
        .value_kind:     hidden_global_offset_z
      - .offset:         128
        .size:           2
        .value_kind:     hidden_grid_dims
    .group_segment_fixed_size: 0
    .kernarg_segment_align: 8
    .kernarg_segment_size: 320
    .language:       OpenCL C
    .language_version:
      - 2
      - 0
    .max_flat_workgroup_size: 64
    .name:           _ZN2at6native12_GLOBAL__N_135GammaBetaBackwardCUDAKernelTemplateIffLj64ELj1ELj32ELb1ELb1ELb0EEEvllPKT_S5_PKT0_S8_PS3_S9_
    .private_segment_fixed_size: 0
    .sgpr_count:     34
    .sgpr_spill_count: 0
    .symbol:         _ZN2at6native12_GLOBAL__N_135GammaBetaBackwardCUDAKernelTemplateIffLj64ELj1ELj32ELb1ELb1ELb0EEEvllPKT_S5_PKT0_S8_PS3_S9_.kd
    .uniform_work_group_size: 1
    .uses_dynamic_stack: false
    .vgpr_count:     116
    .vgpr_spill_count: 0
    .wavefront_size: 32
    .workgroup_processor_mode: 1
  - .args:
      - .offset:         0
        .size:           8
        .value_kind:     by_value
      - .offset:         8
        .size:           8
        .value_kind:     by_value
      - .actual_access:  read_only
        .address_space:  global
        .offset:         16
        .size:           8
        .value_kind:     global_buffer
      - .actual_access:  read_only
        .address_space:  global
        .offset:         24
        .size:           8
        .value_kind:     global_buffer
      - .actual_access:  read_only
        .address_space:  global
        .offset:         32
        .size:           8
        .value_kind:     global_buffer
      - .actual_access:  read_only
        .address_space:  global
        .offset:         40
        .size:           8
        .value_kind:     global_buffer
      - .actual_access:  write_only
        .address_space:  global
        .offset:         48
        .size:           8
        .value_kind:     global_buffer
      - .actual_access:  write_only
        .address_space:  global
        .offset:         56
        .size:           8
        .value_kind:     global_buffer
      - .offset:         64
        .size:           4
        .value_kind:     hidden_block_count_x
      - .offset:         68
        .size:           4
        .value_kind:     hidden_block_count_y
      - .offset:         72
        .size:           4
        .value_kind:     hidden_block_count_z
      - .offset:         76
        .size:           2
        .value_kind:     hidden_group_size_x
      - .offset:         78
        .size:           2
        .value_kind:     hidden_group_size_y
      - .offset:         80
        .size:           2
        .value_kind:     hidden_group_size_z
      - .offset:         82
        .size:           2
        .value_kind:     hidden_remainder_x
      - .offset:         84
        .size:           2
        .value_kind:     hidden_remainder_y
      - .offset:         86
        .size:           2
        .value_kind:     hidden_remainder_z
      - .offset:         104
        .size:           8
        .value_kind:     hidden_global_offset_x
      - .offset:         112
        .size:           8
        .value_kind:     hidden_global_offset_y
      - .offset:         120
        .size:           8
        .value_kind:     hidden_global_offset_z
      - .offset:         128
        .size:           2
        .value_kind:     hidden_grid_dims
    .group_segment_fixed_size: 0
    .kernarg_segment_align: 8
    .kernarg_segment_size: 320
    .language:       OpenCL C
    .language_version:
      - 2
      - 0
    .max_flat_workgroup_size: 64
    .name:           _ZN2at6native12_GLOBAL__N_135GammaBetaBackwardCUDAKernelTemplateIffLj64ELj1ELj32ELb1ELb0ELb0EEEvllPKT_S5_PKT0_S8_PS3_S9_
    .private_segment_fixed_size: 320
    .sgpr_count:     38
    .sgpr_spill_count: 0
    .symbol:         _ZN2at6native12_GLOBAL__N_135GammaBetaBackwardCUDAKernelTemplateIffLj64ELj1ELj32ELb1ELb0ELb0EEEvllPKT_S5_PKT0_S8_PS3_S9_.kd
    .uniform_work_group_size: 1
    .uses_dynamic_stack: false
    .vgpr_count:     256
    .vgpr_spill_count: 154
    .wavefront_size: 32
    .workgroup_processor_mode: 1
  - .args:
      - .offset:         0
        .size:           8
        .value_kind:     by_value
      - .offset:         8
        .size:           8
        .value_kind:     by_value
      - .actual_access:  read_only
        .address_space:  global
        .offset:         16
        .size:           8
        .value_kind:     global_buffer
      - .actual_access:  read_only
        .address_space:  global
        .offset:         24
        .size:           8
        .value_kind:     global_buffer
      - .actual_access:  read_only
        .address_space:  global
        .offset:         32
        .size:           8
        .value_kind:     global_buffer
      - .actual_access:  read_only
        .address_space:  global
        .offset:         40
        .size:           8
        .value_kind:     global_buffer
      - .actual_access:  write_only
        .address_space:  global
        .offset:         48
        .size:           8
        .value_kind:     global_buffer
      - .actual_access:  write_only
        .address_space:  global
        .offset:         56
        .size:           8
        .value_kind:     global_buffer
      - .offset:         64
        .size:           4
        .value_kind:     hidden_block_count_x
      - .offset:         68
        .size:           4
        .value_kind:     hidden_block_count_y
      - .offset:         72
        .size:           4
        .value_kind:     hidden_block_count_z
      - .offset:         76
        .size:           2
        .value_kind:     hidden_group_size_x
      - .offset:         78
        .size:           2
        .value_kind:     hidden_group_size_y
      - .offset:         80
        .size:           2
        .value_kind:     hidden_group_size_z
      - .offset:         82
        .size:           2
        .value_kind:     hidden_remainder_x
      - .offset:         84
        .size:           2
        .value_kind:     hidden_remainder_y
      - .offset:         86
        .size:           2
        .value_kind:     hidden_remainder_z
      - .offset:         104
        .size:           8
        .value_kind:     hidden_global_offset_x
      - .offset:         112
        .size:           8
        .value_kind:     hidden_global_offset_y
      - .offset:         120
        .size:           8
        .value_kind:     hidden_global_offset_z
      - .offset:         128
        .size:           2
        .value_kind:     hidden_grid_dims
    .group_segment_fixed_size: 0
    .kernarg_segment_align: 8
    .kernarg_segment_size: 320
    .language:       OpenCL C
    .language_version:
      - 2
      - 0
    .max_flat_workgroup_size: 64
    .name:           _ZN2at6native12_GLOBAL__N_135GammaBetaBackwardCUDAKernelTemplateIffLj64ELj1ELj8ELb1ELb1ELb0EEEvllPKT_S5_PKT0_S8_PS3_S9_
    .private_segment_fixed_size: 0
    .sgpr_count:     38
    .sgpr_spill_count: 0
    .symbol:         _ZN2at6native12_GLOBAL__N_135GammaBetaBackwardCUDAKernelTemplateIffLj64ELj1ELj8ELb1ELb1ELb0EEEvllPKT_S5_PKT0_S8_PS3_S9_.kd
    .uniform_work_group_size: 1
    .uses_dynamic_stack: false
    .vgpr_count:     44
    .vgpr_spill_count: 0
    .wavefront_size: 32
    .workgroup_processor_mode: 1
  - .args:
      - .offset:         0
        .size:           8
        .value_kind:     by_value
      - .offset:         8
        .size:           8
        .value_kind:     by_value
      - .actual_access:  read_only
        .address_space:  global
        .offset:         16
        .size:           8
        .value_kind:     global_buffer
      - .actual_access:  read_only
        .address_space:  global
        .offset:         24
        .size:           8
        .value_kind:     global_buffer
      - .actual_access:  read_only
        .address_space:  global
        .offset:         32
        .size:           8
        .value_kind:     global_buffer
      - .actual_access:  read_only
        .address_space:  global
        .offset:         40
        .size:           8
        .value_kind:     global_buffer
      - .actual_access:  write_only
        .address_space:  global
        .offset:         48
        .size:           8
        .value_kind:     global_buffer
      - .actual_access:  write_only
        .address_space:  global
        .offset:         56
        .size:           8
        .value_kind:     global_buffer
      - .offset:         64
        .size:           4
        .value_kind:     hidden_block_count_x
      - .offset:         68
        .size:           4
        .value_kind:     hidden_block_count_y
      - .offset:         72
        .size:           4
        .value_kind:     hidden_block_count_z
      - .offset:         76
        .size:           2
        .value_kind:     hidden_group_size_x
      - .offset:         78
        .size:           2
        .value_kind:     hidden_group_size_y
      - .offset:         80
        .size:           2
        .value_kind:     hidden_group_size_z
      - .offset:         82
        .size:           2
        .value_kind:     hidden_remainder_x
      - .offset:         84
        .size:           2
        .value_kind:     hidden_remainder_y
      - .offset:         86
        .size:           2
        .value_kind:     hidden_remainder_z
      - .offset:         104
        .size:           8
        .value_kind:     hidden_global_offset_x
      - .offset:         112
        .size:           8
        .value_kind:     hidden_global_offset_y
      - .offset:         120
        .size:           8
        .value_kind:     hidden_global_offset_z
      - .offset:         128
        .size:           2
        .value_kind:     hidden_grid_dims
    .group_segment_fixed_size: 0
    .kernarg_segment_align: 8
    .kernarg_segment_size: 320
    .language:       OpenCL C
    .language_version:
      - 2
      - 0
    .max_flat_workgroup_size: 64
    .name:           _ZN2at6native12_GLOBAL__N_135GammaBetaBackwardCUDAKernelTemplateIffLj64ELj1ELj8ELb1ELb0ELb0EEEvllPKT_S5_PKT0_S8_PS3_S9_
    .private_segment_fixed_size: 0
    .sgpr_count:     43
    .sgpr_spill_count: 0
    .symbol:         _ZN2at6native12_GLOBAL__N_135GammaBetaBackwardCUDAKernelTemplateIffLj64ELj1ELj8ELb1ELb0ELb0EEEvllPKT_S5_PKT0_S8_PS3_S9_.kd
    .uniform_work_group_size: 1
    .uses_dynamic_stack: false
    .vgpr_count:     101
    .vgpr_spill_count: 0
    .wavefront_size: 32
    .workgroup_processor_mode: 1
  - .args:
      - .offset:         0
        .size:           8
        .value_kind:     by_value
      - .offset:         8
        .size:           8
        .value_kind:     by_value
      - .actual_access:  read_only
        .address_space:  global
        .offset:         16
        .size:           8
        .value_kind:     global_buffer
      - .actual_access:  read_only
        .address_space:  global
        .offset:         24
        .size:           8
        .value_kind:     global_buffer
      - .actual_access:  read_only
        .address_space:  global
        .offset:         32
        .size:           8
        .value_kind:     global_buffer
      - .actual_access:  read_only
        .address_space:  global
        .offset:         40
        .size:           8
        .value_kind:     global_buffer
      - .actual_access:  write_only
        .address_space:  global
        .offset:         48
        .size:           8
        .value_kind:     global_buffer
      - .actual_access:  write_only
        .address_space:  global
        .offset:         56
        .size:           8
        .value_kind:     global_buffer
      - .offset:         64
        .size:           4
        .value_kind:     hidden_block_count_x
      - .offset:         68
        .size:           4
        .value_kind:     hidden_block_count_y
      - .offset:         72
        .size:           4
        .value_kind:     hidden_block_count_z
      - .offset:         76
        .size:           2
        .value_kind:     hidden_group_size_x
      - .offset:         78
        .size:           2
        .value_kind:     hidden_group_size_y
      - .offset:         80
        .size:           2
        .value_kind:     hidden_group_size_z
      - .offset:         82
        .size:           2
        .value_kind:     hidden_remainder_x
      - .offset:         84
        .size:           2
        .value_kind:     hidden_remainder_y
      - .offset:         86
        .size:           2
        .value_kind:     hidden_remainder_z
      - .offset:         104
        .size:           8
        .value_kind:     hidden_global_offset_x
      - .offset:         112
        .size:           8
        .value_kind:     hidden_global_offset_y
      - .offset:         120
        .size:           8
        .value_kind:     hidden_global_offset_z
      - .offset:         128
        .size:           2
        .value_kind:     hidden_grid_dims
      - .offset:         184
        .size:           4
        .value_kind:     hidden_dynamic_lds_size
    .group_segment_fixed_size: 0
    .kernarg_segment_align: 8
    .kernarg_segment_size: 320
    .language:       OpenCL C
    .language_version:
      - 2
      - 0
    .max_flat_workgroup_size: 512
    .name:           _ZN2at6native12_GLOBAL__N_135GammaBetaBackwardCUDAKernelTemplateIffLj64ELj8ELj64ELb0ELb1ELb0EEEvllPKT_S5_PKT0_S8_PS3_S9_
    .private_segment_fixed_size: 0
    .sgpr_count:     30
    .sgpr_spill_count: 0
    .symbol:         _ZN2at6native12_GLOBAL__N_135GammaBetaBackwardCUDAKernelTemplateIffLj64ELj8ELj64ELb0ELb1ELb0EEEvllPKT_S5_PKT0_S8_PS3_S9_.kd
    .uniform_work_group_size: 1
    .uses_dynamic_stack: false
    .vgpr_count:     44
    .vgpr_spill_count: 0
    .wavefront_size: 32
    .workgroup_processor_mode: 1
  - .args:
      - .offset:         0
        .size:           8
        .value_kind:     by_value
      - .offset:         8
        .size:           8
        .value_kind:     by_value
      - .actual_access:  read_only
        .address_space:  global
        .offset:         16
        .size:           8
        .value_kind:     global_buffer
      - .actual_access:  read_only
        .address_space:  global
        .offset:         24
        .size:           8
        .value_kind:     global_buffer
      - .actual_access:  read_only
        .address_space:  global
        .offset:         32
        .size:           8
        .value_kind:     global_buffer
      - .actual_access:  read_only
        .address_space:  global
        .offset:         40
        .size:           8
        .value_kind:     global_buffer
      - .actual_access:  write_only
        .address_space:  global
        .offset:         48
        .size:           8
        .value_kind:     global_buffer
      - .actual_access:  write_only
        .address_space:  global
        .offset:         56
        .size:           8
        .value_kind:     global_buffer
      - .offset:         64
        .size:           4
        .value_kind:     hidden_block_count_x
      - .offset:         68
        .size:           4
        .value_kind:     hidden_block_count_y
      - .offset:         72
        .size:           4
        .value_kind:     hidden_block_count_z
      - .offset:         76
        .size:           2
        .value_kind:     hidden_group_size_x
      - .offset:         78
        .size:           2
        .value_kind:     hidden_group_size_y
      - .offset:         80
        .size:           2
        .value_kind:     hidden_group_size_z
      - .offset:         82
        .size:           2
        .value_kind:     hidden_remainder_x
      - .offset:         84
        .size:           2
        .value_kind:     hidden_remainder_y
      - .offset:         86
        .size:           2
        .value_kind:     hidden_remainder_z
      - .offset:         104
        .size:           8
        .value_kind:     hidden_global_offset_x
      - .offset:         112
        .size:           8
        .value_kind:     hidden_global_offset_y
      - .offset:         120
        .size:           8
        .value_kind:     hidden_global_offset_z
      - .offset:         128
        .size:           2
        .value_kind:     hidden_grid_dims
      - .offset:         184
        .size:           4
        .value_kind:     hidden_dynamic_lds_size
    .group_segment_fixed_size: 0
    .kernarg_segment_align: 8
    .kernarg_segment_size: 320
    .language:       OpenCL C
    .language_version:
      - 2
      - 0
    .max_flat_workgroup_size: 512
    .name:           _ZN2at6native12_GLOBAL__N_135GammaBetaBackwardCUDAKernelTemplateIffLj64ELj8ELj64ELb0ELb0ELb0EEEvllPKT_S5_PKT0_S8_PS3_S9_
    .private_segment_fixed_size: 0
    .sgpr_count:     42
    .sgpr_spill_count: 0
    .symbol:         _ZN2at6native12_GLOBAL__N_135GammaBetaBackwardCUDAKernelTemplateIffLj64ELj8ELj64ELb0ELb0ELb0EEEvllPKT_S5_PKT0_S8_PS3_S9_.kd
    .uniform_work_group_size: 1
    .uses_dynamic_stack: false
    .vgpr_count:     94
    .vgpr_spill_count: 0
    .wavefront_size: 32
    .workgroup_processor_mode: 1
  - .args:
      - .offset:         0
        .size:           8
        .value_kind:     by_value
      - .offset:         8
        .size:           8
        .value_kind:     by_value
      - .actual_access:  read_only
        .address_space:  global
        .offset:         16
        .size:           8
        .value_kind:     global_buffer
      - .actual_access:  read_only
        .address_space:  global
        .offset:         24
        .size:           8
        .value_kind:     global_buffer
      - .actual_access:  read_only
        .address_space:  global
        .offset:         32
        .size:           8
        .value_kind:     global_buffer
      - .actual_access:  read_only
        .address_space:  global
        .offset:         40
        .size:           8
        .value_kind:     global_buffer
      - .actual_access:  write_only
        .address_space:  global
        .offset:         48
        .size:           8
        .value_kind:     global_buffer
      - .actual_access:  write_only
        .address_space:  global
        .offset:         56
        .size:           8
        .value_kind:     global_buffer
      - .offset:         64
        .size:           4
        .value_kind:     hidden_block_count_x
      - .offset:         68
        .size:           4
        .value_kind:     hidden_block_count_y
      - .offset:         72
        .size:           4
        .value_kind:     hidden_block_count_z
      - .offset:         76
        .size:           2
        .value_kind:     hidden_group_size_x
      - .offset:         78
        .size:           2
        .value_kind:     hidden_group_size_y
      - .offset:         80
        .size:           2
        .value_kind:     hidden_group_size_z
      - .offset:         82
        .size:           2
        .value_kind:     hidden_remainder_x
      - .offset:         84
        .size:           2
        .value_kind:     hidden_remainder_y
      - .offset:         86
        .size:           2
        .value_kind:     hidden_remainder_z
      - .offset:         104
        .size:           8
        .value_kind:     hidden_global_offset_x
      - .offset:         112
        .size:           8
        .value_kind:     hidden_global_offset_y
      - .offset:         120
        .size:           8
        .value_kind:     hidden_global_offset_z
      - .offset:         128
        .size:           2
        .value_kind:     hidden_grid_dims
      - .offset:         184
        .size:           4
        .value_kind:     hidden_dynamic_lds_size
    .group_segment_fixed_size: 0
    .kernarg_segment_align: 8
    .kernarg_segment_size: 320
    .language:       OpenCL C
    .language_version:
      - 2
      - 0
    .max_flat_workgroup_size: 1024
    .name:           _ZN2at6native12_GLOBAL__N_135GammaBetaBackwardCUDAKernelTemplateIffLj64ELj16ELj128ELb0ELb1ELb0EEEvllPKT_S5_PKT0_S8_PS3_S9_
    .private_segment_fixed_size: 0
    .sgpr_count:     30
    .sgpr_spill_count: 0
    .symbol:         _ZN2at6native12_GLOBAL__N_135GammaBetaBackwardCUDAKernelTemplateIffLj64ELj16ELj128ELb0ELb1ELb0EEEvllPKT_S5_PKT0_S8_PS3_S9_.kd
    .uniform_work_group_size: 1
    .uses_dynamic_stack: false
    .vgpr_count:     44
    .vgpr_spill_count: 0
    .wavefront_size: 32
    .workgroup_processor_mode: 1
  - .args:
      - .offset:         0
        .size:           8
        .value_kind:     by_value
      - .offset:         8
        .size:           8
        .value_kind:     by_value
      - .actual_access:  read_only
        .address_space:  global
        .offset:         16
        .size:           8
        .value_kind:     global_buffer
      - .actual_access:  read_only
        .address_space:  global
        .offset:         24
        .size:           8
        .value_kind:     global_buffer
      - .actual_access:  read_only
        .address_space:  global
        .offset:         32
        .size:           8
        .value_kind:     global_buffer
      - .actual_access:  read_only
        .address_space:  global
        .offset:         40
        .size:           8
        .value_kind:     global_buffer
      - .actual_access:  write_only
        .address_space:  global
        .offset:         48
        .size:           8
        .value_kind:     global_buffer
      - .actual_access:  write_only
        .address_space:  global
        .offset:         56
        .size:           8
        .value_kind:     global_buffer
      - .offset:         64
        .size:           4
        .value_kind:     hidden_block_count_x
      - .offset:         68
        .size:           4
        .value_kind:     hidden_block_count_y
      - .offset:         72
        .size:           4
        .value_kind:     hidden_block_count_z
      - .offset:         76
        .size:           2
        .value_kind:     hidden_group_size_x
      - .offset:         78
        .size:           2
        .value_kind:     hidden_group_size_y
      - .offset:         80
        .size:           2
        .value_kind:     hidden_group_size_z
      - .offset:         82
        .size:           2
        .value_kind:     hidden_remainder_x
      - .offset:         84
        .size:           2
        .value_kind:     hidden_remainder_y
      - .offset:         86
        .size:           2
        .value_kind:     hidden_remainder_z
      - .offset:         104
        .size:           8
        .value_kind:     hidden_global_offset_x
      - .offset:         112
        .size:           8
        .value_kind:     hidden_global_offset_y
      - .offset:         120
        .size:           8
        .value_kind:     hidden_global_offset_z
      - .offset:         128
        .size:           2
        .value_kind:     hidden_grid_dims
      - .offset:         184
        .size:           4
        .value_kind:     hidden_dynamic_lds_size
    .group_segment_fixed_size: 0
    .kernarg_segment_align: 8
    .kernarg_segment_size: 320
    .language:       OpenCL C
    .language_version:
      - 2
      - 0
    .max_flat_workgroup_size: 1024
    .name:           _ZN2at6native12_GLOBAL__N_135GammaBetaBackwardCUDAKernelTemplateIffLj64ELj16ELj128ELb0ELb0ELb0EEEvllPKT_S5_PKT0_S8_PS3_S9_
    .private_segment_fixed_size: 0
    .sgpr_count:     42
    .sgpr_spill_count: 0
    .symbol:         _ZN2at6native12_GLOBAL__N_135GammaBetaBackwardCUDAKernelTemplateIffLj64ELj16ELj128ELb0ELb0ELb0EEEvllPKT_S5_PKT0_S8_PS3_S9_.kd
    .uniform_work_group_size: 1
    .uses_dynamic_stack: false
    .vgpr_count:     94
    .vgpr_spill_count: 0
    .wavefront_size: 32
    .workgroup_processor_mode: 1
  - .args:
      - .offset:         0
        .size:           8
        .value_kind:     by_value
      - .offset:         8
        .size:           8
        .value_kind:     by_value
      - .actual_access:  read_only
        .address_space:  global
        .offset:         16
        .size:           8
        .value_kind:     global_buffer
      - .actual_access:  read_only
        .address_space:  global
        .offset:         24
        .size:           8
        .value_kind:     global_buffer
      - .actual_access:  read_only
        .address_space:  global
        .offset:         32
        .size:           8
        .value_kind:     global_buffer
      - .actual_access:  read_only
        .address_space:  global
        .offset:         40
        .size:           8
        .value_kind:     global_buffer
      - .actual_access:  write_only
        .address_space:  global
        .offset:         48
        .size:           8
        .value_kind:     global_buffer
      - .actual_access:  write_only
        .address_space:  global
        .offset:         56
        .size:           8
        .value_kind:     global_buffer
      - .offset:         64
        .size:           4
        .value_kind:     hidden_block_count_x
      - .offset:         68
        .size:           4
        .value_kind:     hidden_block_count_y
      - .offset:         72
        .size:           4
        .value_kind:     hidden_block_count_z
      - .offset:         76
        .size:           2
        .value_kind:     hidden_group_size_x
      - .offset:         78
        .size:           2
        .value_kind:     hidden_group_size_y
      - .offset:         80
        .size:           2
        .value_kind:     hidden_group_size_z
      - .offset:         82
        .size:           2
        .value_kind:     hidden_remainder_x
      - .offset:         84
        .size:           2
        .value_kind:     hidden_remainder_y
      - .offset:         86
        .size:           2
        .value_kind:     hidden_remainder_z
      - .offset:         104
        .size:           8
        .value_kind:     hidden_global_offset_x
      - .offset:         112
        .size:           8
        .value_kind:     hidden_global_offset_y
      - .offset:         120
        .size:           8
        .value_kind:     hidden_global_offset_z
      - .offset:         128
        .size:           2
        .value_kind:     hidden_grid_dims
      - .offset:         184
        .size:           4
        .value_kind:     hidden_dynamic_lds_size
    .group_segment_fixed_size: 0
    .kernarg_segment_align: 8
    .kernarg_segment_size: 320
    .language:       OpenCL C
    .language_version:
      - 2
      - 0
    .max_flat_workgroup_size: 1024
    .name:           _ZN2at6native12_GLOBAL__N_135GammaBetaBackwardCUDAKernelTemplateIffLj64ELj16ELj256ELb0ELb1ELb0EEEvllPKT_S5_PKT0_S8_PS3_S9_
    .private_segment_fixed_size: 0
    .sgpr_count:     30
    .sgpr_spill_count: 0
    .symbol:         _ZN2at6native12_GLOBAL__N_135GammaBetaBackwardCUDAKernelTemplateIffLj64ELj16ELj256ELb0ELb1ELb0EEEvllPKT_S5_PKT0_S8_PS3_S9_.kd
    .uniform_work_group_size: 1
    .uses_dynamic_stack: false
    .vgpr_count:     68
    .vgpr_spill_count: 0
    .wavefront_size: 32
    .workgroup_processor_mode: 1
  - .args:
      - .offset:         0
        .size:           8
        .value_kind:     by_value
      - .offset:         8
        .size:           8
        .value_kind:     by_value
      - .actual_access:  read_only
        .address_space:  global
        .offset:         16
        .size:           8
        .value_kind:     global_buffer
      - .actual_access:  read_only
        .address_space:  global
        .offset:         24
        .size:           8
        .value_kind:     global_buffer
      - .actual_access:  read_only
        .address_space:  global
        .offset:         32
        .size:           8
        .value_kind:     global_buffer
      - .actual_access:  read_only
        .address_space:  global
        .offset:         40
        .size:           8
        .value_kind:     global_buffer
      - .actual_access:  write_only
        .address_space:  global
        .offset:         48
        .size:           8
        .value_kind:     global_buffer
      - .actual_access:  write_only
        .address_space:  global
        .offset:         56
        .size:           8
        .value_kind:     global_buffer
      - .offset:         64
        .size:           4
        .value_kind:     hidden_block_count_x
      - .offset:         68
        .size:           4
        .value_kind:     hidden_block_count_y
      - .offset:         72
        .size:           4
        .value_kind:     hidden_block_count_z
      - .offset:         76
        .size:           2
        .value_kind:     hidden_group_size_x
      - .offset:         78
        .size:           2
        .value_kind:     hidden_group_size_y
      - .offset:         80
        .size:           2
        .value_kind:     hidden_group_size_z
      - .offset:         82
        .size:           2
        .value_kind:     hidden_remainder_x
      - .offset:         84
        .size:           2
        .value_kind:     hidden_remainder_y
      - .offset:         86
        .size:           2
        .value_kind:     hidden_remainder_z
      - .offset:         104
        .size:           8
        .value_kind:     hidden_global_offset_x
      - .offset:         112
        .size:           8
        .value_kind:     hidden_global_offset_y
      - .offset:         120
        .size:           8
        .value_kind:     hidden_global_offset_z
      - .offset:         128
        .size:           2
        .value_kind:     hidden_grid_dims
      - .offset:         184
        .size:           4
        .value_kind:     hidden_dynamic_lds_size
    .group_segment_fixed_size: 0
    .kernarg_segment_align: 8
    .kernarg_segment_size: 320
    .language:       OpenCL C
    .language_version:
      - 2
      - 0
    .max_flat_workgroup_size: 1024
    .name:           _ZN2at6native12_GLOBAL__N_135GammaBetaBackwardCUDAKernelTemplateIffLj64ELj16ELj256ELb0ELb0ELb0EEEvllPKT_S5_PKT0_S8_PS3_S9_
    .private_segment_fixed_size: 0
    .sgpr_count:     50
    .sgpr_spill_count: 0
    .symbol:         _ZN2at6native12_GLOBAL__N_135GammaBetaBackwardCUDAKernelTemplateIffLj64ELj16ELj256ELb0ELb0ELb0EEEvllPKT_S5_PKT0_S8_PS3_S9_.kd
    .uniform_work_group_size: 1
    .uses_dynamic_stack: false
    .vgpr_count:     188
    .vgpr_spill_count: 0
    .wavefront_size: 32
    .workgroup_processor_mode: 1
  - .args:
      - .offset:         0
        .size:           8
        .value_kind:     by_value
      - .offset:         8
        .size:           8
        .value_kind:     by_value
      - .actual_access:  read_only
        .address_space:  global
        .offset:         16
        .size:           8
        .value_kind:     global_buffer
      - .actual_access:  read_only
        .address_space:  global
        .offset:         24
        .size:           8
        .value_kind:     global_buffer
      - .actual_access:  read_only
        .address_space:  global
        .offset:         32
        .size:           8
        .value_kind:     global_buffer
      - .actual_access:  read_only
        .address_space:  global
        .offset:         40
        .size:           8
        .value_kind:     global_buffer
      - .actual_access:  write_only
        .address_space:  global
        .offset:         48
        .size:           8
        .value_kind:     global_buffer
      - .actual_access:  write_only
        .address_space:  global
        .offset:         56
        .size:           8
        .value_kind:     global_buffer
      - .offset:         64
        .size:           4
        .value_kind:     hidden_block_count_x
      - .offset:         68
        .size:           4
        .value_kind:     hidden_block_count_y
      - .offset:         72
        .size:           4
        .value_kind:     hidden_block_count_z
      - .offset:         76
        .size:           2
        .value_kind:     hidden_group_size_x
      - .offset:         78
        .size:           2
        .value_kind:     hidden_group_size_y
      - .offset:         80
        .size:           2
        .value_kind:     hidden_group_size_z
      - .offset:         82
        .size:           2
        .value_kind:     hidden_remainder_x
      - .offset:         84
        .size:           2
        .value_kind:     hidden_remainder_y
      - .offset:         86
        .size:           2
        .value_kind:     hidden_remainder_z
      - .offset:         104
        .size:           8
        .value_kind:     hidden_global_offset_x
      - .offset:         112
        .size:           8
        .value_kind:     hidden_global_offset_y
      - .offset:         120
        .size:           8
        .value_kind:     hidden_global_offset_z
      - .offset:         128
        .size:           2
        .value_kind:     hidden_grid_dims
    .group_segment_fixed_size: 0
    .kernarg_segment_align: 8
    .kernarg_segment_size: 320
    .language:       OpenCL C
    .language_version:
      - 2
      - 0
    .max_flat_workgroup_size: 32
    .name:           _ZN2at6native12_GLOBAL__N_135GammaBetaBackwardCUDAKernelTemplateIffLj32ELj1ELj32ELb1ELb1ELb0EEEvllPKT_S5_PKT0_S8_PS3_S9_
    .private_segment_fixed_size: 0
    .sgpr_count:     34
    .sgpr_spill_count: 0
    .symbol:         _ZN2at6native12_GLOBAL__N_135GammaBetaBackwardCUDAKernelTemplateIffLj32ELj1ELj32ELb1ELb1ELb0EEEvllPKT_S5_PKT0_S8_PS3_S9_.kd
    .uniform_work_group_size: 1
    .uses_dynamic_stack: false
    .vgpr_count:     116
    .vgpr_spill_count: 0
    .wavefront_size: 32
    .workgroup_processor_mode: 1
  - .args:
      - .offset:         0
        .size:           8
        .value_kind:     by_value
      - .offset:         8
        .size:           8
        .value_kind:     by_value
      - .actual_access:  read_only
        .address_space:  global
        .offset:         16
        .size:           8
        .value_kind:     global_buffer
      - .actual_access:  read_only
        .address_space:  global
        .offset:         24
        .size:           8
        .value_kind:     global_buffer
      - .actual_access:  read_only
        .address_space:  global
        .offset:         32
        .size:           8
        .value_kind:     global_buffer
      - .actual_access:  read_only
        .address_space:  global
        .offset:         40
        .size:           8
        .value_kind:     global_buffer
      - .actual_access:  write_only
        .address_space:  global
        .offset:         48
        .size:           8
        .value_kind:     global_buffer
      - .actual_access:  write_only
        .address_space:  global
        .offset:         56
        .size:           8
        .value_kind:     global_buffer
      - .offset:         64
        .size:           4
        .value_kind:     hidden_block_count_x
      - .offset:         68
        .size:           4
        .value_kind:     hidden_block_count_y
      - .offset:         72
        .size:           4
        .value_kind:     hidden_block_count_z
      - .offset:         76
        .size:           2
        .value_kind:     hidden_group_size_x
      - .offset:         78
        .size:           2
        .value_kind:     hidden_group_size_y
      - .offset:         80
        .size:           2
        .value_kind:     hidden_group_size_z
      - .offset:         82
        .size:           2
        .value_kind:     hidden_remainder_x
      - .offset:         84
        .size:           2
        .value_kind:     hidden_remainder_y
      - .offset:         86
        .size:           2
        .value_kind:     hidden_remainder_z
      - .offset:         104
        .size:           8
        .value_kind:     hidden_global_offset_x
      - .offset:         112
        .size:           8
        .value_kind:     hidden_global_offset_y
      - .offset:         120
        .size:           8
        .value_kind:     hidden_global_offset_z
      - .offset:         128
        .size:           2
        .value_kind:     hidden_grid_dims
    .group_segment_fixed_size: 0
    .kernarg_segment_align: 8
    .kernarg_segment_size: 320
    .language:       OpenCL C
    .language_version:
      - 2
      - 0
    .max_flat_workgroup_size: 32
    .name:           _ZN2at6native12_GLOBAL__N_135GammaBetaBackwardCUDAKernelTemplateIffLj32ELj1ELj32ELb1ELb0ELb0EEEvllPKT_S5_PKT0_S8_PS3_S9_
    .private_segment_fixed_size: 320
    .sgpr_count:     38
    .sgpr_spill_count: 0
    .symbol:         _ZN2at6native12_GLOBAL__N_135GammaBetaBackwardCUDAKernelTemplateIffLj32ELj1ELj32ELb1ELb0ELb0EEEvllPKT_S5_PKT0_S8_PS3_S9_.kd
    .uniform_work_group_size: 1
    .uses_dynamic_stack: false
    .vgpr_count:     256
    .vgpr_spill_count: 154
    .wavefront_size: 32
    .workgroup_processor_mode: 1
  - .args:
      - .offset:         0
        .size:           8
        .value_kind:     by_value
      - .offset:         8
        .size:           8
        .value_kind:     by_value
      - .actual_access:  read_only
        .address_space:  global
        .offset:         16
        .size:           8
        .value_kind:     global_buffer
      - .actual_access:  read_only
        .address_space:  global
        .offset:         24
        .size:           8
        .value_kind:     global_buffer
      - .actual_access:  read_only
        .address_space:  global
        .offset:         32
        .size:           8
        .value_kind:     global_buffer
      - .actual_access:  read_only
        .address_space:  global
        .offset:         40
        .size:           8
        .value_kind:     global_buffer
      - .actual_access:  write_only
        .address_space:  global
        .offset:         48
        .size:           8
        .value_kind:     global_buffer
      - .actual_access:  write_only
        .address_space:  global
        .offset:         56
        .size:           8
        .value_kind:     global_buffer
      - .offset:         64
        .size:           4
        .value_kind:     hidden_block_count_x
      - .offset:         68
        .size:           4
        .value_kind:     hidden_block_count_y
      - .offset:         72
        .size:           4
        .value_kind:     hidden_block_count_z
      - .offset:         76
        .size:           2
        .value_kind:     hidden_group_size_x
      - .offset:         78
        .size:           2
        .value_kind:     hidden_group_size_y
      - .offset:         80
        .size:           2
        .value_kind:     hidden_group_size_z
      - .offset:         82
        .size:           2
        .value_kind:     hidden_remainder_x
      - .offset:         84
        .size:           2
        .value_kind:     hidden_remainder_y
      - .offset:         86
        .size:           2
        .value_kind:     hidden_remainder_z
      - .offset:         104
        .size:           8
        .value_kind:     hidden_global_offset_x
      - .offset:         112
        .size:           8
        .value_kind:     hidden_global_offset_y
      - .offset:         120
        .size:           8
        .value_kind:     hidden_global_offset_z
      - .offset:         128
        .size:           2
        .value_kind:     hidden_grid_dims
    .group_segment_fixed_size: 0
    .kernarg_segment_align: 8
    .kernarg_segment_size: 320
    .language:       OpenCL C
    .language_version:
      - 2
      - 0
    .max_flat_workgroup_size: 32
    .name:           _ZN2at6native12_GLOBAL__N_135GammaBetaBackwardCUDAKernelTemplateIffLj32ELj1ELj8ELb1ELb1ELb0EEEvllPKT_S5_PKT0_S8_PS3_S9_
    .private_segment_fixed_size: 0
    .sgpr_count:     38
    .sgpr_spill_count: 0
    .symbol:         _ZN2at6native12_GLOBAL__N_135GammaBetaBackwardCUDAKernelTemplateIffLj32ELj1ELj8ELb1ELb1ELb0EEEvllPKT_S5_PKT0_S8_PS3_S9_.kd
    .uniform_work_group_size: 1
    .uses_dynamic_stack: false
    .vgpr_count:     44
    .vgpr_spill_count: 0
    .wavefront_size: 32
    .workgroup_processor_mode: 1
  - .args:
      - .offset:         0
        .size:           8
        .value_kind:     by_value
      - .offset:         8
        .size:           8
        .value_kind:     by_value
      - .actual_access:  read_only
        .address_space:  global
        .offset:         16
        .size:           8
        .value_kind:     global_buffer
      - .actual_access:  read_only
        .address_space:  global
        .offset:         24
        .size:           8
        .value_kind:     global_buffer
      - .actual_access:  read_only
        .address_space:  global
        .offset:         32
        .size:           8
        .value_kind:     global_buffer
      - .actual_access:  read_only
        .address_space:  global
        .offset:         40
        .size:           8
        .value_kind:     global_buffer
      - .actual_access:  write_only
        .address_space:  global
        .offset:         48
        .size:           8
        .value_kind:     global_buffer
      - .actual_access:  write_only
        .address_space:  global
        .offset:         56
        .size:           8
        .value_kind:     global_buffer
      - .offset:         64
        .size:           4
        .value_kind:     hidden_block_count_x
      - .offset:         68
        .size:           4
        .value_kind:     hidden_block_count_y
      - .offset:         72
        .size:           4
        .value_kind:     hidden_block_count_z
      - .offset:         76
        .size:           2
        .value_kind:     hidden_group_size_x
      - .offset:         78
        .size:           2
        .value_kind:     hidden_group_size_y
      - .offset:         80
        .size:           2
        .value_kind:     hidden_group_size_z
      - .offset:         82
        .size:           2
        .value_kind:     hidden_remainder_x
      - .offset:         84
        .size:           2
        .value_kind:     hidden_remainder_y
      - .offset:         86
        .size:           2
        .value_kind:     hidden_remainder_z
      - .offset:         104
        .size:           8
        .value_kind:     hidden_global_offset_x
      - .offset:         112
        .size:           8
        .value_kind:     hidden_global_offset_y
      - .offset:         120
        .size:           8
        .value_kind:     hidden_global_offset_z
      - .offset:         128
        .size:           2
        .value_kind:     hidden_grid_dims
    .group_segment_fixed_size: 0
    .kernarg_segment_align: 8
    .kernarg_segment_size: 320
    .language:       OpenCL C
    .language_version:
      - 2
      - 0
    .max_flat_workgroup_size: 32
    .name:           _ZN2at6native12_GLOBAL__N_135GammaBetaBackwardCUDAKernelTemplateIffLj32ELj1ELj8ELb1ELb0ELb0EEEvllPKT_S5_PKT0_S8_PS3_S9_
    .private_segment_fixed_size: 0
    .sgpr_count:     43
    .sgpr_spill_count: 0
    .symbol:         _ZN2at6native12_GLOBAL__N_135GammaBetaBackwardCUDAKernelTemplateIffLj32ELj1ELj8ELb1ELb0ELb0EEEvllPKT_S5_PKT0_S8_PS3_S9_.kd
    .uniform_work_group_size: 1
    .uses_dynamic_stack: false
    .vgpr_count:     101
    .vgpr_spill_count: 0
    .wavefront_size: 32
    .workgroup_processor_mode: 1
  - .args:
      - .offset:         0
        .size:           8
        .value_kind:     by_value
      - .offset:         8
        .size:           8
        .value_kind:     by_value
      - .actual_access:  read_only
        .address_space:  global
        .offset:         16
        .size:           8
        .value_kind:     global_buffer
      - .actual_access:  read_only
        .address_space:  global
        .offset:         24
        .size:           8
        .value_kind:     global_buffer
      - .actual_access:  read_only
        .address_space:  global
        .offset:         32
        .size:           8
        .value_kind:     global_buffer
      - .actual_access:  read_only
        .address_space:  global
        .offset:         40
        .size:           8
        .value_kind:     global_buffer
      - .actual_access:  write_only
        .address_space:  global
        .offset:         48
        .size:           8
        .value_kind:     global_buffer
      - .actual_access:  write_only
        .address_space:  global
        .offset:         56
        .size:           8
        .value_kind:     global_buffer
      - .offset:         64
        .size:           4
        .value_kind:     hidden_block_count_x
      - .offset:         68
        .size:           4
        .value_kind:     hidden_block_count_y
      - .offset:         72
        .size:           4
        .value_kind:     hidden_block_count_z
      - .offset:         76
        .size:           2
        .value_kind:     hidden_group_size_x
      - .offset:         78
        .size:           2
        .value_kind:     hidden_group_size_y
      - .offset:         80
        .size:           2
        .value_kind:     hidden_group_size_z
      - .offset:         82
        .size:           2
        .value_kind:     hidden_remainder_x
      - .offset:         84
        .size:           2
        .value_kind:     hidden_remainder_y
      - .offset:         86
        .size:           2
        .value_kind:     hidden_remainder_z
      - .offset:         104
        .size:           8
        .value_kind:     hidden_global_offset_x
      - .offset:         112
        .size:           8
        .value_kind:     hidden_global_offset_y
      - .offset:         120
        .size:           8
        .value_kind:     hidden_global_offset_z
      - .offset:         128
        .size:           2
        .value_kind:     hidden_grid_dims
      - .offset:         184
        .size:           4
        .value_kind:     hidden_dynamic_lds_size
    .group_segment_fixed_size: 0
    .kernarg_segment_align: 8
    .kernarg_segment_size: 320
    .language:       OpenCL C
    .language_version:
      - 2
      - 0
    .max_flat_workgroup_size: 256
    .name:           _ZN2at6native12_GLOBAL__N_135GammaBetaBackwardCUDAKernelTemplateIffLj32ELj8ELj64ELb0ELb1ELb0EEEvllPKT_S5_PKT0_S8_PS3_S9_
    .private_segment_fixed_size: 0
    .sgpr_count:     30
    .sgpr_spill_count: 0
    .symbol:         _ZN2at6native12_GLOBAL__N_135GammaBetaBackwardCUDAKernelTemplateIffLj32ELj8ELj64ELb0ELb1ELb0EEEvllPKT_S5_PKT0_S8_PS3_S9_.kd
    .uniform_work_group_size: 1
    .uses_dynamic_stack: false
    .vgpr_count:     44
    .vgpr_spill_count: 0
    .wavefront_size: 32
    .workgroup_processor_mode: 1
  - .args:
      - .offset:         0
        .size:           8
        .value_kind:     by_value
      - .offset:         8
        .size:           8
        .value_kind:     by_value
      - .actual_access:  read_only
        .address_space:  global
        .offset:         16
        .size:           8
        .value_kind:     global_buffer
      - .actual_access:  read_only
        .address_space:  global
        .offset:         24
        .size:           8
        .value_kind:     global_buffer
      - .actual_access:  read_only
        .address_space:  global
        .offset:         32
        .size:           8
        .value_kind:     global_buffer
      - .actual_access:  read_only
        .address_space:  global
        .offset:         40
        .size:           8
        .value_kind:     global_buffer
      - .actual_access:  write_only
        .address_space:  global
        .offset:         48
        .size:           8
        .value_kind:     global_buffer
      - .actual_access:  write_only
        .address_space:  global
        .offset:         56
        .size:           8
        .value_kind:     global_buffer
      - .offset:         64
        .size:           4
        .value_kind:     hidden_block_count_x
      - .offset:         68
        .size:           4
        .value_kind:     hidden_block_count_y
      - .offset:         72
        .size:           4
        .value_kind:     hidden_block_count_z
      - .offset:         76
        .size:           2
        .value_kind:     hidden_group_size_x
      - .offset:         78
        .size:           2
        .value_kind:     hidden_group_size_y
      - .offset:         80
        .size:           2
        .value_kind:     hidden_group_size_z
      - .offset:         82
        .size:           2
        .value_kind:     hidden_remainder_x
      - .offset:         84
        .size:           2
        .value_kind:     hidden_remainder_y
      - .offset:         86
        .size:           2
        .value_kind:     hidden_remainder_z
      - .offset:         104
        .size:           8
        .value_kind:     hidden_global_offset_x
      - .offset:         112
        .size:           8
        .value_kind:     hidden_global_offset_y
      - .offset:         120
        .size:           8
        .value_kind:     hidden_global_offset_z
      - .offset:         128
        .size:           2
        .value_kind:     hidden_grid_dims
      - .offset:         184
        .size:           4
        .value_kind:     hidden_dynamic_lds_size
    .group_segment_fixed_size: 0
    .kernarg_segment_align: 8
    .kernarg_segment_size: 320
    .language:       OpenCL C
    .language_version:
      - 2
      - 0
    .max_flat_workgroup_size: 256
    .name:           _ZN2at6native12_GLOBAL__N_135GammaBetaBackwardCUDAKernelTemplateIffLj32ELj8ELj64ELb0ELb0ELb0EEEvllPKT_S5_PKT0_S8_PS3_S9_
    .private_segment_fixed_size: 0
    .sgpr_count:     42
    .sgpr_spill_count: 0
    .symbol:         _ZN2at6native12_GLOBAL__N_135GammaBetaBackwardCUDAKernelTemplateIffLj32ELj8ELj64ELb0ELb0ELb0EEEvllPKT_S5_PKT0_S8_PS3_S9_.kd
    .uniform_work_group_size: 1
    .uses_dynamic_stack: false
    .vgpr_count:     94
    .vgpr_spill_count: 0
    .wavefront_size: 32
    .workgroup_processor_mode: 1
  - .args:
      - .offset:         0
        .size:           8
        .value_kind:     by_value
      - .offset:         8
        .size:           8
        .value_kind:     by_value
      - .actual_access:  read_only
        .address_space:  global
        .offset:         16
        .size:           8
        .value_kind:     global_buffer
      - .actual_access:  read_only
        .address_space:  global
        .offset:         24
        .size:           8
        .value_kind:     global_buffer
      - .actual_access:  read_only
        .address_space:  global
        .offset:         32
        .size:           8
        .value_kind:     global_buffer
      - .actual_access:  read_only
        .address_space:  global
        .offset:         40
        .size:           8
        .value_kind:     global_buffer
      - .actual_access:  write_only
        .address_space:  global
        .offset:         48
        .size:           8
        .value_kind:     global_buffer
      - .actual_access:  write_only
        .address_space:  global
        .offset:         56
        .size:           8
        .value_kind:     global_buffer
      - .offset:         64
        .size:           4
        .value_kind:     hidden_block_count_x
      - .offset:         68
        .size:           4
        .value_kind:     hidden_block_count_y
      - .offset:         72
        .size:           4
        .value_kind:     hidden_block_count_z
      - .offset:         76
        .size:           2
        .value_kind:     hidden_group_size_x
      - .offset:         78
        .size:           2
        .value_kind:     hidden_group_size_y
      - .offset:         80
        .size:           2
        .value_kind:     hidden_group_size_z
      - .offset:         82
        .size:           2
        .value_kind:     hidden_remainder_x
      - .offset:         84
        .size:           2
        .value_kind:     hidden_remainder_y
      - .offset:         86
        .size:           2
        .value_kind:     hidden_remainder_z
      - .offset:         104
        .size:           8
        .value_kind:     hidden_global_offset_x
      - .offset:         112
        .size:           8
        .value_kind:     hidden_global_offset_y
      - .offset:         120
        .size:           8
        .value_kind:     hidden_global_offset_z
      - .offset:         128
        .size:           2
        .value_kind:     hidden_grid_dims
      - .offset:         184
        .size:           4
        .value_kind:     hidden_dynamic_lds_size
    .group_segment_fixed_size: 0
    .kernarg_segment_align: 8
    .kernarg_segment_size: 320
    .language:       OpenCL C
    .language_version:
      - 2
      - 0
    .max_flat_workgroup_size: 512
    .name:           _ZN2at6native12_GLOBAL__N_135GammaBetaBackwardCUDAKernelTemplateIffLj32ELj16ELj128ELb0ELb1ELb0EEEvllPKT_S5_PKT0_S8_PS3_S9_
    .private_segment_fixed_size: 0
    .sgpr_count:     30
    .sgpr_spill_count: 0
    .symbol:         _ZN2at6native12_GLOBAL__N_135GammaBetaBackwardCUDAKernelTemplateIffLj32ELj16ELj128ELb0ELb1ELb0EEEvllPKT_S5_PKT0_S8_PS3_S9_.kd
    .uniform_work_group_size: 1
    .uses_dynamic_stack: false
    .vgpr_count:     44
    .vgpr_spill_count: 0
    .wavefront_size: 32
    .workgroup_processor_mode: 1
  - .args:
      - .offset:         0
        .size:           8
        .value_kind:     by_value
      - .offset:         8
        .size:           8
        .value_kind:     by_value
      - .actual_access:  read_only
        .address_space:  global
        .offset:         16
        .size:           8
        .value_kind:     global_buffer
      - .actual_access:  read_only
        .address_space:  global
        .offset:         24
        .size:           8
        .value_kind:     global_buffer
      - .actual_access:  read_only
        .address_space:  global
        .offset:         32
        .size:           8
        .value_kind:     global_buffer
      - .actual_access:  read_only
        .address_space:  global
        .offset:         40
        .size:           8
        .value_kind:     global_buffer
      - .actual_access:  write_only
        .address_space:  global
        .offset:         48
        .size:           8
        .value_kind:     global_buffer
      - .actual_access:  write_only
        .address_space:  global
        .offset:         56
        .size:           8
        .value_kind:     global_buffer
      - .offset:         64
        .size:           4
        .value_kind:     hidden_block_count_x
      - .offset:         68
        .size:           4
        .value_kind:     hidden_block_count_y
      - .offset:         72
        .size:           4
        .value_kind:     hidden_block_count_z
      - .offset:         76
        .size:           2
        .value_kind:     hidden_group_size_x
      - .offset:         78
        .size:           2
        .value_kind:     hidden_group_size_y
      - .offset:         80
        .size:           2
        .value_kind:     hidden_group_size_z
      - .offset:         82
        .size:           2
        .value_kind:     hidden_remainder_x
      - .offset:         84
        .size:           2
        .value_kind:     hidden_remainder_y
      - .offset:         86
        .size:           2
        .value_kind:     hidden_remainder_z
      - .offset:         104
        .size:           8
        .value_kind:     hidden_global_offset_x
      - .offset:         112
        .size:           8
        .value_kind:     hidden_global_offset_y
      - .offset:         120
        .size:           8
        .value_kind:     hidden_global_offset_z
      - .offset:         128
        .size:           2
        .value_kind:     hidden_grid_dims
      - .offset:         184
        .size:           4
        .value_kind:     hidden_dynamic_lds_size
    .group_segment_fixed_size: 0
    .kernarg_segment_align: 8
    .kernarg_segment_size: 320
    .language:       OpenCL C
    .language_version:
      - 2
      - 0
    .max_flat_workgroup_size: 512
    .name:           _ZN2at6native12_GLOBAL__N_135GammaBetaBackwardCUDAKernelTemplateIffLj32ELj16ELj128ELb0ELb0ELb0EEEvllPKT_S5_PKT0_S8_PS3_S9_
    .private_segment_fixed_size: 0
    .sgpr_count:     42
    .sgpr_spill_count: 0
    .symbol:         _ZN2at6native12_GLOBAL__N_135GammaBetaBackwardCUDAKernelTemplateIffLj32ELj16ELj128ELb0ELb0ELb0EEEvllPKT_S5_PKT0_S8_PS3_S9_.kd
    .uniform_work_group_size: 1
    .uses_dynamic_stack: false
    .vgpr_count:     94
    .vgpr_spill_count: 0
    .wavefront_size: 32
    .workgroup_processor_mode: 1
  - .args:
      - .offset:         0
        .size:           8
        .value_kind:     by_value
      - .offset:         8
        .size:           8
        .value_kind:     by_value
      - .actual_access:  read_only
        .address_space:  global
        .offset:         16
        .size:           8
        .value_kind:     global_buffer
      - .actual_access:  read_only
        .address_space:  global
        .offset:         24
        .size:           8
        .value_kind:     global_buffer
      - .actual_access:  read_only
        .address_space:  global
        .offset:         32
        .size:           8
        .value_kind:     global_buffer
      - .actual_access:  read_only
        .address_space:  global
        .offset:         40
        .size:           8
        .value_kind:     global_buffer
      - .actual_access:  write_only
        .address_space:  global
        .offset:         48
        .size:           8
        .value_kind:     global_buffer
      - .actual_access:  write_only
        .address_space:  global
        .offset:         56
        .size:           8
        .value_kind:     global_buffer
      - .offset:         64
        .size:           4
        .value_kind:     hidden_block_count_x
      - .offset:         68
        .size:           4
        .value_kind:     hidden_block_count_y
      - .offset:         72
        .size:           4
        .value_kind:     hidden_block_count_z
      - .offset:         76
        .size:           2
        .value_kind:     hidden_group_size_x
      - .offset:         78
        .size:           2
        .value_kind:     hidden_group_size_y
      - .offset:         80
        .size:           2
        .value_kind:     hidden_group_size_z
      - .offset:         82
        .size:           2
        .value_kind:     hidden_remainder_x
      - .offset:         84
        .size:           2
        .value_kind:     hidden_remainder_y
      - .offset:         86
        .size:           2
        .value_kind:     hidden_remainder_z
      - .offset:         104
        .size:           8
        .value_kind:     hidden_global_offset_x
      - .offset:         112
        .size:           8
        .value_kind:     hidden_global_offset_y
      - .offset:         120
        .size:           8
        .value_kind:     hidden_global_offset_z
      - .offset:         128
        .size:           2
        .value_kind:     hidden_grid_dims
      - .offset:         184
        .size:           4
        .value_kind:     hidden_dynamic_lds_size
    .group_segment_fixed_size: 0
    .kernarg_segment_align: 8
    .kernarg_segment_size: 320
    .language:       OpenCL C
    .language_version:
      - 2
      - 0
    .max_flat_workgroup_size: 1024
    .name:           _ZN2at6native12_GLOBAL__N_135GammaBetaBackwardCUDAKernelTemplateIffLj32ELj32ELj256ELb0ELb1ELb0EEEvllPKT_S5_PKT0_S8_PS3_S9_
    .private_segment_fixed_size: 0
    .sgpr_count:     30
    .sgpr_spill_count: 0
    .symbol:         _ZN2at6native12_GLOBAL__N_135GammaBetaBackwardCUDAKernelTemplateIffLj32ELj32ELj256ELb0ELb1ELb0EEEvllPKT_S5_PKT0_S8_PS3_S9_.kd
    .uniform_work_group_size: 1
    .uses_dynamic_stack: false
    .vgpr_count:     44
    .vgpr_spill_count: 0
    .wavefront_size: 32
    .workgroup_processor_mode: 1
  - .args:
      - .offset:         0
        .size:           8
        .value_kind:     by_value
      - .offset:         8
        .size:           8
        .value_kind:     by_value
      - .actual_access:  read_only
        .address_space:  global
        .offset:         16
        .size:           8
        .value_kind:     global_buffer
      - .actual_access:  read_only
        .address_space:  global
        .offset:         24
        .size:           8
        .value_kind:     global_buffer
      - .actual_access:  read_only
        .address_space:  global
        .offset:         32
        .size:           8
        .value_kind:     global_buffer
      - .actual_access:  read_only
        .address_space:  global
        .offset:         40
        .size:           8
        .value_kind:     global_buffer
      - .actual_access:  write_only
        .address_space:  global
        .offset:         48
        .size:           8
        .value_kind:     global_buffer
      - .actual_access:  write_only
        .address_space:  global
        .offset:         56
        .size:           8
        .value_kind:     global_buffer
      - .offset:         64
        .size:           4
        .value_kind:     hidden_block_count_x
      - .offset:         68
        .size:           4
        .value_kind:     hidden_block_count_y
      - .offset:         72
        .size:           4
        .value_kind:     hidden_block_count_z
      - .offset:         76
        .size:           2
        .value_kind:     hidden_group_size_x
      - .offset:         78
        .size:           2
        .value_kind:     hidden_group_size_y
      - .offset:         80
        .size:           2
        .value_kind:     hidden_group_size_z
      - .offset:         82
        .size:           2
        .value_kind:     hidden_remainder_x
      - .offset:         84
        .size:           2
        .value_kind:     hidden_remainder_y
      - .offset:         86
        .size:           2
        .value_kind:     hidden_remainder_z
      - .offset:         104
        .size:           8
        .value_kind:     hidden_global_offset_x
      - .offset:         112
        .size:           8
        .value_kind:     hidden_global_offset_y
      - .offset:         120
        .size:           8
        .value_kind:     hidden_global_offset_z
      - .offset:         128
        .size:           2
        .value_kind:     hidden_grid_dims
      - .offset:         184
        .size:           4
        .value_kind:     hidden_dynamic_lds_size
    .group_segment_fixed_size: 0
    .kernarg_segment_align: 8
    .kernarg_segment_size: 320
    .language:       OpenCL C
    .language_version:
      - 2
      - 0
    .max_flat_workgroup_size: 1024
    .name:           _ZN2at6native12_GLOBAL__N_135GammaBetaBackwardCUDAKernelTemplateIffLj32ELj32ELj256ELb0ELb0ELb0EEEvllPKT_S5_PKT0_S8_PS3_S9_
    .private_segment_fixed_size: 0
    .sgpr_count:     42
    .sgpr_spill_count: 0
    .symbol:         _ZN2at6native12_GLOBAL__N_135GammaBetaBackwardCUDAKernelTemplateIffLj32ELj32ELj256ELb0ELb0ELb0EEEvllPKT_S5_PKT0_S8_PS3_S9_.kd
    .uniform_work_group_size: 1
    .uses_dynamic_stack: false
    .vgpr_count:     94
    .vgpr_spill_count: 0
    .wavefront_size: 32
    .workgroup_processor_mode: 1
  - .args:
      - .actual_access:  read_only
        .address_space:  global
        .offset:         0
        .size:           8
        .value_kind:     global_buffer
      - .actual_access:  read_only
        .address_space:  global
        .offset:         8
        .size:           8
        .value_kind:     global_buffer
      - .offset:         16
        .size:           8
        .value_kind:     by_value
      - .offset:         24
        .size:           8
        .value_kind:     by_value
      - .actual_access:  read_only
        .address_space:  global
        .offset:         32
        .size:           8
        .value_kind:     global_buffer
      - .actual_access:  read_only
        .address_space:  global
        .offset:         40
        .size:           8
        .value_kind:     global_buffer
      - .address_space:  global
        .offset:         48
        .size:           8
        .value_kind:     global_buffer
      - .address_space:  global
        .offset:         56
        .size:           8
        .value_kind:     global_buffer
      - .offset:         64
        .size:           4
        .value_kind:     hidden_block_count_x
      - .offset:         68
        .size:           4
        .value_kind:     hidden_block_count_y
      - .offset:         72
        .size:           4
        .value_kind:     hidden_block_count_z
      - .offset:         76
        .size:           2
        .value_kind:     hidden_group_size_x
      - .offset:         78
        .size:           2
        .value_kind:     hidden_group_size_y
      - .offset:         80
        .size:           2
        .value_kind:     hidden_group_size_z
      - .offset:         82
        .size:           2
        .value_kind:     hidden_remainder_x
      - .offset:         84
        .size:           2
        .value_kind:     hidden_remainder_y
      - .offset:         86
        .size:           2
        .value_kind:     hidden_remainder_z
      - .offset:         104
        .size:           8
        .value_kind:     hidden_global_offset_x
      - .offset:         112
        .size:           8
        .value_kind:     hidden_global_offset_y
      - .offset:         120
        .size:           8
        .value_kind:     hidden_global_offset_z
      - .offset:         128
        .size:           2
        .value_kind:     hidden_grid_dims
      - .offset:         184
        .size:           4
        .value_kind:     hidden_dynamic_lds_size
    .group_segment_fixed_size: 0
    .kernarg_segment_align: 8
    .kernarg_segment_size: 320
    .language:       OpenCL C
    .language_version:
      - 2
      - 0
    .max_flat_workgroup_size: 1024
    .name:           _ZN2at6native12_GLOBAL__N_118cuComputeGradInputIN3c104HalfEfLb0EEEvPKT_S7_llPKT0_SA_S7_PS5_
    .private_segment_fixed_size: 0
    .sgpr_count:     45
    .sgpr_spill_count: 0
    .symbol:         _ZN2at6native12_GLOBAL__N_118cuComputeGradInputIN3c104HalfEfLb0EEEvPKT_S7_llPKT0_SA_S7_PS5_.kd
    .uniform_work_group_size: 1
    .uses_dynamic_stack: false
    .vgpr_count:     25
    .vgpr_spill_count: 0
    .wavefront_size: 32
    .workgroup_processor_mode: 1
  - .args:
      - .actual_access:  read_only
        .address_space:  global
        .offset:         0
        .size:           8
        .value_kind:     global_buffer
      - .actual_access:  read_only
        .address_space:  global
        .offset:         8
        .size:           8
        .value_kind:     global_buffer
      - .actual_access:  read_only
        .address_space:  global
        .offset:         16
        .size:           8
        .value_kind:     global_buffer
      - .actual_access:  read_only
        .address_space:  global
        .offset:         24
        .size:           8
        .value_kind:     global_buffer
      - .actual_access:  read_only
        .address_space:  global
        .offset:         32
        .size:           8
        .value_kind:     global_buffer
      - .address_space:  global
        .offset:         40
        .size:           8
        .value_kind:     global_buffer
      - .offset:         48
        .size:           4
        .value_kind:     by_value
      - .offset:         56
        .size:           4
        .value_kind:     hidden_block_count_x
      - .offset:         60
        .size:           4
        .value_kind:     hidden_block_count_y
      - .offset:         64
        .size:           4
        .value_kind:     hidden_block_count_z
      - .offset:         68
        .size:           2
        .value_kind:     hidden_group_size_x
      - .offset:         70
        .size:           2
        .value_kind:     hidden_group_size_y
      - .offset:         72
        .size:           2
        .value_kind:     hidden_group_size_z
      - .offset:         74
        .size:           2
        .value_kind:     hidden_remainder_x
      - .offset:         76
        .size:           2
        .value_kind:     hidden_remainder_y
      - .offset:         78
        .size:           2
        .value_kind:     hidden_remainder_z
      - .offset:         96
        .size:           8
        .value_kind:     hidden_global_offset_x
      - .offset:         104
        .size:           8
        .value_kind:     hidden_global_offset_y
      - .offset:         112
        .size:           8
        .value_kind:     hidden_global_offset_z
      - .offset:         120
        .size:           2
        .value_kind:     hidden_grid_dims
      - .offset:         176
        .size:           4
        .value_kind:     hidden_dynamic_lds_size
    .group_segment_fixed_size: 0
    .kernarg_segment_align: 8
    .kernarg_segment_size: 312
    .language:       OpenCL C
    .language_version:
      - 2
      - 0
    .max_flat_workgroup_size: 1024
    .name:           _ZN2at6native12_GLOBAL__N_128layer_norm_grad_input_kernelIN3c104HalfEfLb0EEEvPKT_S7_PKT0_SA_S7_PS5_i
    .private_segment_fixed_size: 0
    .sgpr_count:     29
    .sgpr_spill_count: 0
    .symbol:         _ZN2at6native12_GLOBAL__N_128layer_norm_grad_input_kernelIN3c104HalfEfLb0EEEvPKT_S7_PKT0_SA_S7_PS5_i.kd
    .uniform_work_group_size: 1
    .uses_dynamic_stack: false
    .vgpr_count:     22
    .vgpr_spill_count: 0
    .wavefront_size: 32
    .workgroup_processor_mode: 1
  - .args:
      - .offset:         0
        .size:           8
        .value_kind:     by_value
      - .offset:         8
        .size:           8
        .value_kind:     by_value
      - .address_space:  global
        .offset:         16
        .size:           8
        .value_kind:     global_buffer
      - .address_space:  global
        .offset:         24
        .size:           8
        .value_kind:     global_buffer
      - .address_space:  global
        .offset:         32
        .size:           8
        .value_kind:     global_buffer
      - .address_space:  global
        .offset:         40
        .size:           8
        .value_kind:     global_buffer
      - .address_space:  global
        .offset:         48
        .size:           8
        .value_kind:     global_buffer
      - .address_space:  global
        .offset:         56
        .size:           8
        .value_kind:     global_buffer
      - .offset:         64
        .size:           4
        .value_kind:     hidden_block_count_x
      - .offset:         68
        .size:           4
        .value_kind:     hidden_block_count_y
      - .offset:         72
        .size:           4
        .value_kind:     hidden_block_count_z
      - .offset:         76
        .size:           2
        .value_kind:     hidden_group_size_x
      - .offset:         78
        .size:           2
        .value_kind:     hidden_group_size_y
      - .offset:         80
        .size:           2
        .value_kind:     hidden_group_size_z
      - .offset:         82
        .size:           2
        .value_kind:     hidden_remainder_x
      - .offset:         84
        .size:           2
        .value_kind:     hidden_remainder_y
      - .offset:         86
        .size:           2
        .value_kind:     hidden_remainder_z
      - .offset:         104
        .size:           8
        .value_kind:     hidden_global_offset_x
      - .offset:         112
        .size:           8
        .value_kind:     hidden_global_offset_y
      - .offset:         120
        .size:           8
        .value_kind:     hidden_global_offset_z
      - .offset:         128
        .size:           2
        .value_kind:     hidden_grid_dims
    .group_segment_fixed_size: 0
    .kernarg_segment_align: 8
    .kernarg_segment_size: 320
    .language:       OpenCL C
    .language_version:
      - 2
      - 0
    .max_flat_workgroup_size: 1024
    .name:           _ZN2at6native12_GLOBAL__N_133GammaBetaBackwardSimpleCUDAKernelIN3c104HalfEfLb0EEEvllPKT_S7_PKT0_SA_PS5_SB_
    .private_segment_fixed_size: 0
    .sgpr_count:     34
    .sgpr_spill_count: 0
    .symbol:         _ZN2at6native12_GLOBAL__N_133GammaBetaBackwardSimpleCUDAKernelIN3c104HalfEfLb0EEEvllPKT_S7_PKT0_SA_PS5_SB_.kd
    .uniform_work_group_size: 1
    .uses_dynamic_stack: false
    .vgpr_count:     10
    .vgpr_spill_count: 0
    .wavefront_size: 32
    .workgroup_processor_mode: 1
  - .args:
      - .offset:         0
        .size:           8
        .value_kind:     by_value
      - .offset:         8
        .size:           8
        .value_kind:     by_value
      - .actual_access:  read_only
        .address_space:  global
        .offset:         16
        .size:           8
        .value_kind:     global_buffer
      - .actual_access:  read_only
        .address_space:  global
        .offset:         24
        .size:           8
        .value_kind:     global_buffer
      - .actual_access:  read_only
        .address_space:  global
        .offset:         32
        .size:           8
        .value_kind:     global_buffer
      - .actual_access:  read_only
        .address_space:  global
        .offset:         40
        .size:           8
        .value_kind:     global_buffer
      - .actual_access:  write_only
        .address_space:  global
        .offset:         48
        .size:           8
        .value_kind:     global_buffer
      - .actual_access:  write_only
        .address_space:  global
        .offset:         56
        .size:           8
        .value_kind:     global_buffer
      - .offset:         64
        .size:           4
        .value_kind:     hidden_block_count_x
      - .offset:         68
        .size:           4
        .value_kind:     hidden_block_count_y
      - .offset:         72
        .size:           4
        .value_kind:     hidden_block_count_z
      - .offset:         76
        .size:           2
        .value_kind:     hidden_group_size_x
      - .offset:         78
        .size:           2
        .value_kind:     hidden_group_size_y
      - .offset:         80
        .size:           2
        .value_kind:     hidden_group_size_z
      - .offset:         82
        .size:           2
        .value_kind:     hidden_remainder_x
      - .offset:         84
        .size:           2
        .value_kind:     hidden_remainder_y
      - .offset:         86
        .size:           2
        .value_kind:     hidden_remainder_z
      - .offset:         104
        .size:           8
        .value_kind:     hidden_global_offset_x
      - .offset:         112
        .size:           8
        .value_kind:     hidden_global_offset_y
      - .offset:         120
        .size:           8
        .value_kind:     hidden_global_offset_z
      - .offset:         128
        .size:           2
        .value_kind:     hidden_grid_dims
    .group_segment_fixed_size: 0
    .kernarg_segment_align: 8
    .kernarg_segment_size: 320
    .language:       OpenCL C
    .language_version:
      - 2
      - 0
    .max_flat_workgroup_size: 64
    .name:           _ZN2at6native12_GLOBAL__N_135GammaBetaBackwardCUDAKernelTemplateIN3c104HalfEfLj64ELj1ELj32ELb1ELb1ELb0EEEvllPKT_S7_PKT0_SA_PS5_SB_
    .private_segment_fixed_size: 0
    .sgpr_count:     34
    .sgpr_spill_count: 0
    .symbol:         _ZN2at6native12_GLOBAL__N_135GammaBetaBackwardCUDAKernelTemplateIN3c104HalfEfLj64ELj1ELj32ELb1ELb1ELb0EEEvllPKT_S7_PKT0_SA_PS5_SB_.kd
    .uniform_work_group_size: 1
    .uses_dynamic_stack: false
    .vgpr_count:     115
    .vgpr_spill_count: 0
    .wavefront_size: 32
    .workgroup_processor_mode: 1
  - .args:
      - .offset:         0
        .size:           8
        .value_kind:     by_value
      - .offset:         8
        .size:           8
        .value_kind:     by_value
      - .actual_access:  read_only
        .address_space:  global
        .offset:         16
        .size:           8
        .value_kind:     global_buffer
      - .actual_access:  read_only
        .address_space:  global
        .offset:         24
        .size:           8
        .value_kind:     global_buffer
      - .actual_access:  read_only
        .address_space:  global
        .offset:         32
        .size:           8
        .value_kind:     global_buffer
      - .actual_access:  read_only
        .address_space:  global
        .offset:         40
        .size:           8
        .value_kind:     global_buffer
      - .actual_access:  write_only
        .address_space:  global
        .offset:         48
        .size:           8
        .value_kind:     global_buffer
      - .actual_access:  write_only
        .address_space:  global
        .offset:         56
        .size:           8
        .value_kind:     global_buffer
      - .offset:         64
        .size:           4
        .value_kind:     hidden_block_count_x
      - .offset:         68
        .size:           4
        .value_kind:     hidden_block_count_y
      - .offset:         72
        .size:           4
        .value_kind:     hidden_block_count_z
      - .offset:         76
        .size:           2
        .value_kind:     hidden_group_size_x
      - .offset:         78
        .size:           2
        .value_kind:     hidden_group_size_y
      - .offset:         80
        .size:           2
        .value_kind:     hidden_group_size_z
      - .offset:         82
        .size:           2
        .value_kind:     hidden_remainder_x
      - .offset:         84
        .size:           2
        .value_kind:     hidden_remainder_y
      - .offset:         86
        .size:           2
        .value_kind:     hidden_remainder_z
      - .offset:         104
        .size:           8
        .value_kind:     hidden_global_offset_x
      - .offset:         112
        .size:           8
        .value_kind:     hidden_global_offset_y
      - .offset:         120
        .size:           8
        .value_kind:     hidden_global_offset_z
      - .offset:         128
        .size:           2
        .value_kind:     hidden_grid_dims
    .group_segment_fixed_size: 0
    .kernarg_segment_align: 8
    .kernarg_segment_size: 320
    .language:       OpenCL C
    .language_version:
      - 2
      - 0
    .max_flat_workgroup_size: 64
    .name:           _ZN2at6native12_GLOBAL__N_135GammaBetaBackwardCUDAKernelTemplateIN3c104HalfEfLj64ELj1ELj32ELb1ELb0ELb0EEEvllPKT_S7_PKT0_SA_PS5_SB_
    .private_segment_fixed_size: 316
    .sgpr_count:     38
    .sgpr_spill_count: 0
    .symbol:         _ZN2at6native12_GLOBAL__N_135GammaBetaBackwardCUDAKernelTemplateIN3c104HalfEfLj64ELj1ELj32ELb1ELb0ELb0EEEvllPKT_S7_PKT0_SA_PS5_SB_.kd
    .uniform_work_group_size: 1
    .uses_dynamic_stack: false
    .vgpr_count:     256
    .vgpr_spill_count: 152
    .wavefront_size: 32
    .workgroup_processor_mode: 1
  - .args:
      - .offset:         0
        .size:           8
        .value_kind:     by_value
      - .offset:         8
        .size:           8
        .value_kind:     by_value
      - .actual_access:  read_only
        .address_space:  global
        .offset:         16
        .size:           8
        .value_kind:     global_buffer
      - .actual_access:  read_only
        .address_space:  global
        .offset:         24
        .size:           8
        .value_kind:     global_buffer
      - .actual_access:  read_only
        .address_space:  global
        .offset:         32
        .size:           8
        .value_kind:     global_buffer
      - .actual_access:  read_only
        .address_space:  global
        .offset:         40
        .size:           8
        .value_kind:     global_buffer
      - .actual_access:  write_only
        .address_space:  global
        .offset:         48
        .size:           8
        .value_kind:     global_buffer
      - .actual_access:  write_only
        .address_space:  global
        .offset:         56
        .size:           8
        .value_kind:     global_buffer
      - .offset:         64
        .size:           4
        .value_kind:     hidden_block_count_x
      - .offset:         68
        .size:           4
        .value_kind:     hidden_block_count_y
      - .offset:         72
        .size:           4
        .value_kind:     hidden_block_count_z
      - .offset:         76
        .size:           2
        .value_kind:     hidden_group_size_x
      - .offset:         78
        .size:           2
        .value_kind:     hidden_group_size_y
      - .offset:         80
        .size:           2
        .value_kind:     hidden_group_size_z
      - .offset:         82
        .size:           2
        .value_kind:     hidden_remainder_x
      - .offset:         84
        .size:           2
        .value_kind:     hidden_remainder_y
      - .offset:         86
        .size:           2
        .value_kind:     hidden_remainder_z
      - .offset:         104
        .size:           8
        .value_kind:     hidden_global_offset_x
      - .offset:         112
        .size:           8
        .value_kind:     hidden_global_offset_y
      - .offset:         120
        .size:           8
        .value_kind:     hidden_global_offset_z
      - .offset:         128
        .size:           2
        .value_kind:     hidden_grid_dims
    .group_segment_fixed_size: 0
    .kernarg_segment_align: 8
    .kernarg_segment_size: 320
    .language:       OpenCL C
    .language_version:
      - 2
      - 0
    .max_flat_workgroup_size: 64
    .name:           _ZN2at6native12_GLOBAL__N_135GammaBetaBackwardCUDAKernelTemplateIN3c104HalfEfLj64ELj1ELj8ELb1ELb1ELb0EEEvllPKT_S7_PKT0_SA_PS5_SB_
    .private_segment_fixed_size: 0
    .sgpr_count:     38
    .sgpr_spill_count: 0
    .symbol:         _ZN2at6native12_GLOBAL__N_135GammaBetaBackwardCUDAKernelTemplateIN3c104HalfEfLj64ELj1ELj8ELb1ELb1ELb0EEEvllPKT_S7_PKT0_SA_PS5_SB_.kd
    .uniform_work_group_size: 1
    .uses_dynamic_stack: false
    .vgpr_count:     50
    .vgpr_spill_count: 0
    .wavefront_size: 32
    .workgroup_processor_mode: 1
  - .args:
      - .offset:         0
        .size:           8
        .value_kind:     by_value
      - .offset:         8
        .size:           8
        .value_kind:     by_value
      - .actual_access:  read_only
        .address_space:  global
        .offset:         16
        .size:           8
        .value_kind:     global_buffer
      - .actual_access:  read_only
        .address_space:  global
        .offset:         24
        .size:           8
        .value_kind:     global_buffer
      - .actual_access:  read_only
        .address_space:  global
        .offset:         32
        .size:           8
        .value_kind:     global_buffer
      - .actual_access:  read_only
        .address_space:  global
        .offset:         40
        .size:           8
        .value_kind:     global_buffer
      - .actual_access:  write_only
        .address_space:  global
        .offset:         48
        .size:           8
        .value_kind:     global_buffer
      - .actual_access:  write_only
        .address_space:  global
        .offset:         56
        .size:           8
        .value_kind:     global_buffer
      - .offset:         64
        .size:           4
        .value_kind:     hidden_block_count_x
      - .offset:         68
        .size:           4
        .value_kind:     hidden_block_count_y
      - .offset:         72
        .size:           4
        .value_kind:     hidden_block_count_z
      - .offset:         76
        .size:           2
        .value_kind:     hidden_group_size_x
      - .offset:         78
        .size:           2
        .value_kind:     hidden_group_size_y
      - .offset:         80
        .size:           2
        .value_kind:     hidden_group_size_z
      - .offset:         82
        .size:           2
        .value_kind:     hidden_remainder_x
      - .offset:         84
        .size:           2
        .value_kind:     hidden_remainder_y
      - .offset:         86
        .size:           2
        .value_kind:     hidden_remainder_z
      - .offset:         104
        .size:           8
        .value_kind:     hidden_global_offset_x
      - .offset:         112
        .size:           8
        .value_kind:     hidden_global_offset_y
      - .offset:         120
        .size:           8
        .value_kind:     hidden_global_offset_z
      - .offset:         128
        .size:           2
        .value_kind:     hidden_grid_dims
    .group_segment_fixed_size: 0
    .kernarg_segment_align: 8
    .kernarg_segment_size: 320
    .language:       OpenCL C
    .language_version:
      - 2
      - 0
    .max_flat_workgroup_size: 64
    .name:           _ZN2at6native12_GLOBAL__N_135GammaBetaBackwardCUDAKernelTemplateIN3c104HalfEfLj64ELj1ELj8ELb1ELb0ELb0EEEvllPKT_S7_PKT0_SA_PS5_SB_
    .private_segment_fixed_size: 0
    .sgpr_count:     43
    .sgpr_spill_count: 0
    .symbol:         _ZN2at6native12_GLOBAL__N_135GammaBetaBackwardCUDAKernelTemplateIN3c104HalfEfLj64ELj1ELj8ELb1ELb0ELb0EEEvllPKT_S7_PKT0_SA_PS5_SB_.kd
    .uniform_work_group_size: 1
    .uses_dynamic_stack: false
    .vgpr_count:     101
    .vgpr_spill_count: 0
    .wavefront_size: 32
    .workgroup_processor_mode: 1
  - .args:
      - .offset:         0
        .size:           8
        .value_kind:     by_value
      - .offset:         8
        .size:           8
        .value_kind:     by_value
      - .actual_access:  read_only
        .address_space:  global
        .offset:         16
        .size:           8
        .value_kind:     global_buffer
      - .actual_access:  read_only
        .address_space:  global
        .offset:         24
        .size:           8
        .value_kind:     global_buffer
      - .actual_access:  read_only
        .address_space:  global
        .offset:         32
        .size:           8
        .value_kind:     global_buffer
      - .actual_access:  read_only
        .address_space:  global
        .offset:         40
        .size:           8
        .value_kind:     global_buffer
      - .actual_access:  write_only
        .address_space:  global
        .offset:         48
        .size:           8
        .value_kind:     global_buffer
      - .actual_access:  write_only
        .address_space:  global
        .offset:         56
        .size:           8
        .value_kind:     global_buffer
      - .offset:         64
        .size:           4
        .value_kind:     hidden_block_count_x
      - .offset:         68
        .size:           4
        .value_kind:     hidden_block_count_y
      - .offset:         72
        .size:           4
        .value_kind:     hidden_block_count_z
      - .offset:         76
        .size:           2
        .value_kind:     hidden_group_size_x
      - .offset:         78
        .size:           2
        .value_kind:     hidden_group_size_y
      - .offset:         80
        .size:           2
        .value_kind:     hidden_group_size_z
      - .offset:         82
        .size:           2
        .value_kind:     hidden_remainder_x
      - .offset:         84
        .size:           2
        .value_kind:     hidden_remainder_y
      - .offset:         86
        .size:           2
        .value_kind:     hidden_remainder_z
      - .offset:         104
        .size:           8
        .value_kind:     hidden_global_offset_x
      - .offset:         112
        .size:           8
        .value_kind:     hidden_global_offset_y
      - .offset:         120
        .size:           8
        .value_kind:     hidden_global_offset_z
      - .offset:         128
        .size:           2
        .value_kind:     hidden_grid_dims
      - .offset:         184
        .size:           4
        .value_kind:     hidden_dynamic_lds_size
    .group_segment_fixed_size: 0
    .kernarg_segment_align: 8
    .kernarg_segment_size: 320
    .language:       OpenCL C
    .language_version:
      - 2
      - 0
    .max_flat_workgroup_size: 512
    .name:           _ZN2at6native12_GLOBAL__N_135GammaBetaBackwardCUDAKernelTemplateIN3c104HalfEfLj64ELj8ELj64ELb0ELb1ELb0EEEvllPKT_S7_PKT0_SA_PS5_SB_
    .private_segment_fixed_size: 0
    .sgpr_count:     30
    .sgpr_spill_count: 0
    .symbol:         _ZN2at6native12_GLOBAL__N_135GammaBetaBackwardCUDAKernelTemplateIN3c104HalfEfLj64ELj8ELj64ELb0ELb1ELb0EEEvllPKT_S7_PKT0_SA_PS5_SB_.kd
    .uniform_work_group_size: 1
    .uses_dynamic_stack: false
    .vgpr_count:     50
    .vgpr_spill_count: 0
    .wavefront_size: 32
    .workgroup_processor_mode: 1
  - .args:
      - .offset:         0
        .size:           8
        .value_kind:     by_value
      - .offset:         8
        .size:           8
        .value_kind:     by_value
      - .actual_access:  read_only
        .address_space:  global
        .offset:         16
        .size:           8
        .value_kind:     global_buffer
      - .actual_access:  read_only
        .address_space:  global
        .offset:         24
        .size:           8
        .value_kind:     global_buffer
      - .actual_access:  read_only
        .address_space:  global
        .offset:         32
        .size:           8
        .value_kind:     global_buffer
      - .actual_access:  read_only
        .address_space:  global
        .offset:         40
        .size:           8
        .value_kind:     global_buffer
      - .actual_access:  write_only
        .address_space:  global
        .offset:         48
        .size:           8
        .value_kind:     global_buffer
      - .actual_access:  write_only
        .address_space:  global
        .offset:         56
        .size:           8
        .value_kind:     global_buffer
      - .offset:         64
        .size:           4
        .value_kind:     hidden_block_count_x
      - .offset:         68
        .size:           4
        .value_kind:     hidden_block_count_y
      - .offset:         72
        .size:           4
        .value_kind:     hidden_block_count_z
      - .offset:         76
        .size:           2
        .value_kind:     hidden_group_size_x
      - .offset:         78
        .size:           2
        .value_kind:     hidden_group_size_y
      - .offset:         80
        .size:           2
        .value_kind:     hidden_group_size_z
      - .offset:         82
        .size:           2
        .value_kind:     hidden_remainder_x
      - .offset:         84
        .size:           2
        .value_kind:     hidden_remainder_y
      - .offset:         86
        .size:           2
        .value_kind:     hidden_remainder_z
      - .offset:         104
        .size:           8
        .value_kind:     hidden_global_offset_x
      - .offset:         112
        .size:           8
        .value_kind:     hidden_global_offset_y
      - .offset:         120
        .size:           8
        .value_kind:     hidden_global_offset_z
      - .offset:         128
        .size:           2
        .value_kind:     hidden_grid_dims
      - .offset:         184
        .size:           4
        .value_kind:     hidden_dynamic_lds_size
    .group_segment_fixed_size: 0
    .kernarg_segment_align: 8
    .kernarg_segment_size: 320
    .language:       OpenCL C
    .language_version:
      - 2
      - 0
    .max_flat_workgroup_size: 512
    .name:           _ZN2at6native12_GLOBAL__N_135GammaBetaBackwardCUDAKernelTemplateIN3c104HalfEfLj64ELj8ELj64ELb0ELb0ELb0EEEvllPKT_S7_PKT0_SA_PS5_SB_
    .private_segment_fixed_size: 0
    .sgpr_count:     42
    .sgpr_spill_count: 0
    .symbol:         _ZN2at6native12_GLOBAL__N_135GammaBetaBackwardCUDAKernelTemplateIN3c104HalfEfLj64ELj8ELj64ELb0ELb0ELb0EEEvllPKT_S7_PKT0_SA_PS5_SB_.kd
    .uniform_work_group_size: 1
    .uses_dynamic_stack: false
    .vgpr_count:     96
    .vgpr_spill_count: 0
    .wavefront_size: 32
    .workgroup_processor_mode: 1
  - .args:
      - .offset:         0
        .size:           8
        .value_kind:     by_value
      - .offset:         8
        .size:           8
        .value_kind:     by_value
      - .actual_access:  read_only
        .address_space:  global
        .offset:         16
        .size:           8
        .value_kind:     global_buffer
      - .actual_access:  read_only
        .address_space:  global
        .offset:         24
        .size:           8
        .value_kind:     global_buffer
      - .actual_access:  read_only
        .address_space:  global
        .offset:         32
        .size:           8
        .value_kind:     global_buffer
      - .actual_access:  read_only
        .address_space:  global
        .offset:         40
        .size:           8
        .value_kind:     global_buffer
      - .actual_access:  write_only
        .address_space:  global
        .offset:         48
        .size:           8
        .value_kind:     global_buffer
      - .actual_access:  write_only
        .address_space:  global
        .offset:         56
        .size:           8
        .value_kind:     global_buffer
      - .offset:         64
        .size:           4
        .value_kind:     hidden_block_count_x
      - .offset:         68
        .size:           4
        .value_kind:     hidden_block_count_y
      - .offset:         72
        .size:           4
        .value_kind:     hidden_block_count_z
      - .offset:         76
        .size:           2
        .value_kind:     hidden_group_size_x
      - .offset:         78
        .size:           2
        .value_kind:     hidden_group_size_y
      - .offset:         80
        .size:           2
        .value_kind:     hidden_group_size_z
      - .offset:         82
        .size:           2
        .value_kind:     hidden_remainder_x
      - .offset:         84
        .size:           2
        .value_kind:     hidden_remainder_y
      - .offset:         86
        .size:           2
        .value_kind:     hidden_remainder_z
      - .offset:         104
        .size:           8
        .value_kind:     hidden_global_offset_x
      - .offset:         112
        .size:           8
        .value_kind:     hidden_global_offset_y
      - .offset:         120
        .size:           8
        .value_kind:     hidden_global_offset_z
      - .offset:         128
        .size:           2
        .value_kind:     hidden_grid_dims
      - .offset:         184
        .size:           4
        .value_kind:     hidden_dynamic_lds_size
    .group_segment_fixed_size: 0
    .kernarg_segment_align: 8
    .kernarg_segment_size: 320
    .language:       OpenCL C
    .language_version:
      - 2
      - 0
    .max_flat_workgroup_size: 1024
    .name:           _ZN2at6native12_GLOBAL__N_135GammaBetaBackwardCUDAKernelTemplateIN3c104HalfEfLj64ELj16ELj128ELb0ELb1ELb0EEEvllPKT_S7_PKT0_SA_PS5_SB_
    .private_segment_fixed_size: 0
    .sgpr_count:     30
    .sgpr_spill_count: 0
    .symbol:         _ZN2at6native12_GLOBAL__N_135GammaBetaBackwardCUDAKernelTemplateIN3c104HalfEfLj64ELj16ELj128ELb0ELb1ELb0EEEvllPKT_S7_PKT0_SA_PS5_SB_.kd
    .uniform_work_group_size: 1
    .uses_dynamic_stack: false
    .vgpr_count:     50
    .vgpr_spill_count: 0
    .wavefront_size: 32
    .workgroup_processor_mode: 1
  - .args:
      - .offset:         0
        .size:           8
        .value_kind:     by_value
      - .offset:         8
        .size:           8
        .value_kind:     by_value
      - .actual_access:  read_only
        .address_space:  global
        .offset:         16
        .size:           8
        .value_kind:     global_buffer
      - .actual_access:  read_only
        .address_space:  global
        .offset:         24
        .size:           8
        .value_kind:     global_buffer
      - .actual_access:  read_only
        .address_space:  global
        .offset:         32
        .size:           8
        .value_kind:     global_buffer
      - .actual_access:  read_only
        .address_space:  global
        .offset:         40
        .size:           8
        .value_kind:     global_buffer
      - .actual_access:  write_only
        .address_space:  global
        .offset:         48
        .size:           8
        .value_kind:     global_buffer
      - .actual_access:  write_only
        .address_space:  global
        .offset:         56
        .size:           8
        .value_kind:     global_buffer
      - .offset:         64
        .size:           4
        .value_kind:     hidden_block_count_x
      - .offset:         68
        .size:           4
        .value_kind:     hidden_block_count_y
      - .offset:         72
        .size:           4
        .value_kind:     hidden_block_count_z
      - .offset:         76
        .size:           2
        .value_kind:     hidden_group_size_x
      - .offset:         78
        .size:           2
        .value_kind:     hidden_group_size_y
      - .offset:         80
        .size:           2
        .value_kind:     hidden_group_size_z
      - .offset:         82
        .size:           2
        .value_kind:     hidden_remainder_x
      - .offset:         84
        .size:           2
        .value_kind:     hidden_remainder_y
      - .offset:         86
        .size:           2
        .value_kind:     hidden_remainder_z
      - .offset:         104
        .size:           8
        .value_kind:     hidden_global_offset_x
      - .offset:         112
        .size:           8
        .value_kind:     hidden_global_offset_y
      - .offset:         120
        .size:           8
        .value_kind:     hidden_global_offset_z
      - .offset:         128
        .size:           2
        .value_kind:     hidden_grid_dims
      - .offset:         184
        .size:           4
        .value_kind:     hidden_dynamic_lds_size
    .group_segment_fixed_size: 0
    .kernarg_segment_align: 8
    .kernarg_segment_size: 320
    .language:       OpenCL C
    .language_version:
      - 2
      - 0
    .max_flat_workgroup_size: 1024
    .name:           _ZN2at6native12_GLOBAL__N_135GammaBetaBackwardCUDAKernelTemplateIN3c104HalfEfLj64ELj16ELj128ELb0ELb0ELb0EEEvllPKT_S7_PKT0_SA_PS5_SB_
    .private_segment_fixed_size: 0
    .sgpr_count:     42
    .sgpr_spill_count: 0
    .symbol:         _ZN2at6native12_GLOBAL__N_135GammaBetaBackwardCUDAKernelTemplateIN3c104HalfEfLj64ELj16ELj128ELb0ELb0ELb0EEEvllPKT_S7_PKT0_SA_PS5_SB_.kd
    .uniform_work_group_size: 1
    .uses_dynamic_stack: false
    .vgpr_count:     96
    .vgpr_spill_count: 0
    .wavefront_size: 32
    .workgroup_processor_mode: 1
  - .args:
      - .offset:         0
        .size:           8
        .value_kind:     by_value
      - .offset:         8
        .size:           8
        .value_kind:     by_value
      - .actual_access:  read_only
        .address_space:  global
        .offset:         16
        .size:           8
        .value_kind:     global_buffer
      - .actual_access:  read_only
        .address_space:  global
        .offset:         24
        .size:           8
        .value_kind:     global_buffer
      - .actual_access:  read_only
        .address_space:  global
        .offset:         32
        .size:           8
        .value_kind:     global_buffer
      - .actual_access:  read_only
        .address_space:  global
        .offset:         40
        .size:           8
        .value_kind:     global_buffer
      - .actual_access:  write_only
        .address_space:  global
        .offset:         48
        .size:           8
        .value_kind:     global_buffer
      - .actual_access:  write_only
        .address_space:  global
        .offset:         56
        .size:           8
        .value_kind:     global_buffer
      - .offset:         64
        .size:           4
        .value_kind:     hidden_block_count_x
      - .offset:         68
        .size:           4
        .value_kind:     hidden_block_count_y
      - .offset:         72
        .size:           4
        .value_kind:     hidden_block_count_z
      - .offset:         76
        .size:           2
        .value_kind:     hidden_group_size_x
      - .offset:         78
        .size:           2
        .value_kind:     hidden_group_size_y
      - .offset:         80
        .size:           2
        .value_kind:     hidden_group_size_z
      - .offset:         82
        .size:           2
        .value_kind:     hidden_remainder_x
      - .offset:         84
        .size:           2
        .value_kind:     hidden_remainder_y
      - .offset:         86
        .size:           2
        .value_kind:     hidden_remainder_z
      - .offset:         104
        .size:           8
        .value_kind:     hidden_global_offset_x
      - .offset:         112
        .size:           8
        .value_kind:     hidden_global_offset_y
      - .offset:         120
        .size:           8
        .value_kind:     hidden_global_offset_z
      - .offset:         128
        .size:           2
        .value_kind:     hidden_grid_dims
      - .offset:         184
        .size:           4
        .value_kind:     hidden_dynamic_lds_size
    .group_segment_fixed_size: 0
    .kernarg_segment_align: 8
    .kernarg_segment_size: 320
    .language:       OpenCL C
    .language_version:
      - 2
      - 0
    .max_flat_workgroup_size: 1024
    .name:           _ZN2at6native12_GLOBAL__N_135GammaBetaBackwardCUDAKernelTemplateIN3c104HalfEfLj64ELj16ELj256ELb0ELb1ELb0EEEvllPKT_S7_PKT0_SA_PS5_SB_
    .private_segment_fixed_size: 0
    .sgpr_count:     30
    .sgpr_spill_count: 0
    .symbol:         _ZN2at6native12_GLOBAL__N_135GammaBetaBackwardCUDAKernelTemplateIN3c104HalfEfLj64ELj16ELj256ELb0ELb1ELb0EEEvllPKT_S7_PKT0_SA_PS5_SB_.kd
    .uniform_work_group_size: 1
    .uses_dynamic_stack: false
    .vgpr_count:     90
    .vgpr_spill_count: 0
    .wavefront_size: 32
    .workgroup_processor_mode: 1
  - .args:
      - .offset:         0
        .size:           8
        .value_kind:     by_value
      - .offset:         8
        .size:           8
        .value_kind:     by_value
      - .actual_access:  read_only
        .address_space:  global
        .offset:         16
        .size:           8
        .value_kind:     global_buffer
      - .actual_access:  read_only
        .address_space:  global
        .offset:         24
        .size:           8
        .value_kind:     global_buffer
      - .actual_access:  read_only
        .address_space:  global
        .offset:         32
        .size:           8
        .value_kind:     global_buffer
      - .actual_access:  read_only
        .address_space:  global
        .offset:         40
        .size:           8
        .value_kind:     global_buffer
      - .actual_access:  write_only
        .address_space:  global
        .offset:         48
        .size:           8
        .value_kind:     global_buffer
      - .actual_access:  write_only
        .address_space:  global
        .offset:         56
        .size:           8
        .value_kind:     global_buffer
      - .offset:         64
        .size:           4
        .value_kind:     hidden_block_count_x
      - .offset:         68
        .size:           4
        .value_kind:     hidden_block_count_y
      - .offset:         72
        .size:           4
        .value_kind:     hidden_block_count_z
      - .offset:         76
        .size:           2
        .value_kind:     hidden_group_size_x
      - .offset:         78
        .size:           2
        .value_kind:     hidden_group_size_y
      - .offset:         80
        .size:           2
        .value_kind:     hidden_group_size_z
      - .offset:         82
        .size:           2
        .value_kind:     hidden_remainder_x
      - .offset:         84
        .size:           2
        .value_kind:     hidden_remainder_y
      - .offset:         86
        .size:           2
        .value_kind:     hidden_remainder_z
      - .offset:         104
        .size:           8
        .value_kind:     hidden_global_offset_x
      - .offset:         112
        .size:           8
        .value_kind:     hidden_global_offset_y
      - .offset:         120
        .size:           8
        .value_kind:     hidden_global_offset_z
      - .offset:         128
        .size:           2
        .value_kind:     hidden_grid_dims
      - .offset:         184
        .size:           4
        .value_kind:     hidden_dynamic_lds_size
    .group_segment_fixed_size: 0
    .kernarg_segment_align: 8
    .kernarg_segment_size: 320
    .language:       OpenCL C
    .language_version:
      - 2
      - 0
    .max_flat_workgroup_size: 1024
    .name:           _ZN2at6native12_GLOBAL__N_135GammaBetaBackwardCUDAKernelTemplateIN3c104HalfEfLj64ELj16ELj256ELb0ELb0ELb0EEEvllPKT_S7_PKT0_SA_PS5_SB_
    .private_segment_fixed_size: 0
    .sgpr_count:     50
    .sgpr_spill_count: 0
    .symbol:         _ZN2at6native12_GLOBAL__N_135GammaBetaBackwardCUDAKernelTemplateIN3c104HalfEfLj64ELj16ELj256ELb0ELb0ELb0EEEvllPKT_S7_PKT0_SA_PS5_SB_.kd
    .uniform_work_group_size: 1
    .uses_dynamic_stack: false
    .vgpr_count:     187
    .vgpr_spill_count: 0
    .wavefront_size: 32
    .workgroup_processor_mode: 1
  - .args:
      - .offset:         0
        .size:           8
        .value_kind:     by_value
      - .offset:         8
        .size:           8
        .value_kind:     by_value
      - .actual_access:  read_only
        .address_space:  global
        .offset:         16
        .size:           8
        .value_kind:     global_buffer
      - .actual_access:  read_only
        .address_space:  global
        .offset:         24
        .size:           8
        .value_kind:     global_buffer
      - .actual_access:  read_only
        .address_space:  global
        .offset:         32
        .size:           8
        .value_kind:     global_buffer
      - .actual_access:  read_only
        .address_space:  global
        .offset:         40
        .size:           8
        .value_kind:     global_buffer
      - .actual_access:  write_only
        .address_space:  global
        .offset:         48
        .size:           8
        .value_kind:     global_buffer
      - .actual_access:  write_only
        .address_space:  global
        .offset:         56
        .size:           8
        .value_kind:     global_buffer
      - .offset:         64
        .size:           4
        .value_kind:     hidden_block_count_x
      - .offset:         68
        .size:           4
        .value_kind:     hidden_block_count_y
      - .offset:         72
        .size:           4
        .value_kind:     hidden_block_count_z
      - .offset:         76
        .size:           2
        .value_kind:     hidden_group_size_x
      - .offset:         78
        .size:           2
        .value_kind:     hidden_group_size_y
      - .offset:         80
        .size:           2
        .value_kind:     hidden_group_size_z
      - .offset:         82
        .size:           2
        .value_kind:     hidden_remainder_x
      - .offset:         84
        .size:           2
        .value_kind:     hidden_remainder_y
      - .offset:         86
        .size:           2
        .value_kind:     hidden_remainder_z
      - .offset:         104
        .size:           8
        .value_kind:     hidden_global_offset_x
      - .offset:         112
        .size:           8
        .value_kind:     hidden_global_offset_y
      - .offset:         120
        .size:           8
        .value_kind:     hidden_global_offset_z
      - .offset:         128
        .size:           2
        .value_kind:     hidden_grid_dims
    .group_segment_fixed_size: 0
    .kernarg_segment_align: 8
    .kernarg_segment_size: 320
    .language:       OpenCL C
    .language_version:
      - 2
      - 0
    .max_flat_workgroup_size: 32
    .name:           _ZN2at6native12_GLOBAL__N_135GammaBetaBackwardCUDAKernelTemplateIN3c104HalfEfLj32ELj1ELj32ELb1ELb1ELb0EEEvllPKT_S7_PKT0_SA_PS5_SB_
    .private_segment_fixed_size: 0
    .sgpr_count:     34
    .sgpr_spill_count: 0
    .symbol:         _ZN2at6native12_GLOBAL__N_135GammaBetaBackwardCUDAKernelTemplateIN3c104HalfEfLj32ELj1ELj32ELb1ELb1ELb0EEEvllPKT_S7_PKT0_SA_PS5_SB_.kd
    .uniform_work_group_size: 1
    .uses_dynamic_stack: false
    .vgpr_count:     115
    .vgpr_spill_count: 0
    .wavefront_size: 32
    .workgroup_processor_mode: 1
  - .args:
      - .offset:         0
        .size:           8
        .value_kind:     by_value
      - .offset:         8
        .size:           8
        .value_kind:     by_value
      - .actual_access:  read_only
        .address_space:  global
        .offset:         16
        .size:           8
        .value_kind:     global_buffer
      - .actual_access:  read_only
        .address_space:  global
        .offset:         24
        .size:           8
        .value_kind:     global_buffer
      - .actual_access:  read_only
        .address_space:  global
        .offset:         32
        .size:           8
        .value_kind:     global_buffer
      - .actual_access:  read_only
        .address_space:  global
        .offset:         40
        .size:           8
        .value_kind:     global_buffer
      - .actual_access:  write_only
        .address_space:  global
        .offset:         48
        .size:           8
        .value_kind:     global_buffer
      - .actual_access:  write_only
        .address_space:  global
        .offset:         56
        .size:           8
        .value_kind:     global_buffer
      - .offset:         64
        .size:           4
        .value_kind:     hidden_block_count_x
      - .offset:         68
        .size:           4
        .value_kind:     hidden_block_count_y
      - .offset:         72
        .size:           4
        .value_kind:     hidden_block_count_z
      - .offset:         76
        .size:           2
        .value_kind:     hidden_group_size_x
      - .offset:         78
        .size:           2
        .value_kind:     hidden_group_size_y
      - .offset:         80
        .size:           2
        .value_kind:     hidden_group_size_z
      - .offset:         82
        .size:           2
        .value_kind:     hidden_remainder_x
      - .offset:         84
        .size:           2
        .value_kind:     hidden_remainder_y
      - .offset:         86
        .size:           2
        .value_kind:     hidden_remainder_z
      - .offset:         104
        .size:           8
        .value_kind:     hidden_global_offset_x
      - .offset:         112
        .size:           8
        .value_kind:     hidden_global_offset_y
      - .offset:         120
        .size:           8
        .value_kind:     hidden_global_offset_z
      - .offset:         128
        .size:           2
        .value_kind:     hidden_grid_dims
    .group_segment_fixed_size: 0
    .kernarg_segment_align: 8
    .kernarg_segment_size: 320
    .language:       OpenCL C
    .language_version:
      - 2
      - 0
    .max_flat_workgroup_size: 32
    .name:           _ZN2at6native12_GLOBAL__N_135GammaBetaBackwardCUDAKernelTemplateIN3c104HalfEfLj32ELj1ELj32ELb1ELb0ELb0EEEvllPKT_S7_PKT0_SA_PS5_SB_
    .private_segment_fixed_size: 316
    .sgpr_count:     38
    .sgpr_spill_count: 0
    .symbol:         _ZN2at6native12_GLOBAL__N_135GammaBetaBackwardCUDAKernelTemplateIN3c104HalfEfLj32ELj1ELj32ELb1ELb0ELb0EEEvllPKT_S7_PKT0_SA_PS5_SB_.kd
    .uniform_work_group_size: 1
    .uses_dynamic_stack: false
    .vgpr_count:     256
    .vgpr_spill_count: 152
    .wavefront_size: 32
    .workgroup_processor_mode: 1
  - .args:
      - .offset:         0
        .size:           8
        .value_kind:     by_value
      - .offset:         8
        .size:           8
        .value_kind:     by_value
      - .actual_access:  read_only
        .address_space:  global
        .offset:         16
        .size:           8
        .value_kind:     global_buffer
      - .actual_access:  read_only
        .address_space:  global
        .offset:         24
        .size:           8
        .value_kind:     global_buffer
      - .actual_access:  read_only
        .address_space:  global
        .offset:         32
        .size:           8
        .value_kind:     global_buffer
      - .actual_access:  read_only
        .address_space:  global
        .offset:         40
        .size:           8
        .value_kind:     global_buffer
      - .actual_access:  write_only
        .address_space:  global
        .offset:         48
        .size:           8
        .value_kind:     global_buffer
      - .actual_access:  write_only
        .address_space:  global
        .offset:         56
        .size:           8
        .value_kind:     global_buffer
      - .offset:         64
        .size:           4
        .value_kind:     hidden_block_count_x
      - .offset:         68
        .size:           4
        .value_kind:     hidden_block_count_y
      - .offset:         72
        .size:           4
        .value_kind:     hidden_block_count_z
      - .offset:         76
        .size:           2
        .value_kind:     hidden_group_size_x
      - .offset:         78
        .size:           2
        .value_kind:     hidden_group_size_y
      - .offset:         80
        .size:           2
        .value_kind:     hidden_group_size_z
      - .offset:         82
        .size:           2
        .value_kind:     hidden_remainder_x
      - .offset:         84
        .size:           2
        .value_kind:     hidden_remainder_y
      - .offset:         86
        .size:           2
        .value_kind:     hidden_remainder_z
      - .offset:         104
        .size:           8
        .value_kind:     hidden_global_offset_x
      - .offset:         112
        .size:           8
        .value_kind:     hidden_global_offset_y
      - .offset:         120
        .size:           8
        .value_kind:     hidden_global_offset_z
      - .offset:         128
        .size:           2
        .value_kind:     hidden_grid_dims
    .group_segment_fixed_size: 0
    .kernarg_segment_align: 8
    .kernarg_segment_size: 320
    .language:       OpenCL C
    .language_version:
      - 2
      - 0
    .max_flat_workgroup_size: 32
    .name:           _ZN2at6native12_GLOBAL__N_135GammaBetaBackwardCUDAKernelTemplateIN3c104HalfEfLj32ELj1ELj8ELb1ELb1ELb0EEEvllPKT_S7_PKT0_SA_PS5_SB_
    .private_segment_fixed_size: 0
    .sgpr_count:     38
    .sgpr_spill_count: 0
    .symbol:         _ZN2at6native12_GLOBAL__N_135GammaBetaBackwardCUDAKernelTemplateIN3c104HalfEfLj32ELj1ELj8ELb1ELb1ELb0EEEvllPKT_S7_PKT0_SA_PS5_SB_.kd
    .uniform_work_group_size: 1
    .uses_dynamic_stack: false
    .vgpr_count:     50
    .vgpr_spill_count: 0
    .wavefront_size: 32
    .workgroup_processor_mode: 1
  - .args:
      - .offset:         0
        .size:           8
        .value_kind:     by_value
      - .offset:         8
        .size:           8
        .value_kind:     by_value
      - .actual_access:  read_only
        .address_space:  global
        .offset:         16
        .size:           8
        .value_kind:     global_buffer
      - .actual_access:  read_only
        .address_space:  global
        .offset:         24
        .size:           8
        .value_kind:     global_buffer
      - .actual_access:  read_only
        .address_space:  global
        .offset:         32
        .size:           8
        .value_kind:     global_buffer
      - .actual_access:  read_only
        .address_space:  global
        .offset:         40
        .size:           8
        .value_kind:     global_buffer
      - .actual_access:  write_only
        .address_space:  global
        .offset:         48
        .size:           8
        .value_kind:     global_buffer
      - .actual_access:  write_only
        .address_space:  global
        .offset:         56
        .size:           8
        .value_kind:     global_buffer
      - .offset:         64
        .size:           4
        .value_kind:     hidden_block_count_x
      - .offset:         68
        .size:           4
        .value_kind:     hidden_block_count_y
      - .offset:         72
        .size:           4
        .value_kind:     hidden_block_count_z
      - .offset:         76
        .size:           2
        .value_kind:     hidden_group_size_x
      - .offset:         78
        .size:           2
        .value_kind:     hidden_group_size_y
      - .offset:         80
        .size:           2
        .value_kind:     hidden_group_size_z
      - .offset:         82
        .size:           2
        .value_kind:     hidden_remainder_x
      - .offset:         84
        .size:           2
        .value_kind:     hidden_remainder_y
      - .offset:         86
        .size:           2
        .value_kind:     hidden_remainder_z
      - .offset:         104
        .size:           8
        .value_kind:     hidden_global_offset_x
      - .offset:         112
        .size:           8
        .value_kind:     hidden_global_offset_y
      - .offset:         120
        .size:           8
        .value_kind:     hidden_global_offset_z
      - .offset:         128
        .size:           2
        .value_kind:     hidden_grid_dims
    .group_segment_fixed_size: 0
    .kernarg_segment_align: 8
    .kernarg_segment_size: 320
    .language:       OpenCL C
    .language_version:
      - 2
      - 0
    .max_flat_workgroup_size: 32
    .name:           _ZN2at6native12_GLOBAL__N_135GammaBetaBackwardCUDAKernelTemplateIN3c104HalfEfLj32ELj1ELj8ELb1ELb0ELb0EEEvllPKT_S7_PKT0_SA_PS5_SB_
    .private_segment_fixed_size: 0
    .sgpr_count:     43
    .sgpr_spill_count: 0
    .symbol:         _ZN2at6native12_GLOBAL__N_135GammaBetaBackwardCUDAKernelTemplateIN3c104HalfEfLj32ELj1ELj8ELb1ELb0ELb0EEEvllPKT_S7_PKT0_SA_PS5_SB_.kd
    .uniform_work_group_size: 1
    .uses_dynamic_stack: false
    .vgpr_count:     101
    .vgpr_spill_count: 0
    .wavefront_size: 32
    .workgroup_processor_mode: 1
  - .args:
      - .offset:         0
        .size:           8
        .value_kind:     by_value
      - .offset:         8
        .size:           8
        .value_kind:     by_value
      - .actual_access:  read_only
        .address_space:  global
        .offset:         16
        .size:           8
        .value_kind:     global_buffer
      - .actual_access:  read_only
        .address_space:  global
        .offset:         24
        .size:           8
        .value_kind:     global_buffer
      - .actual_access:  read_only
        .address_space:  global
        .offset:         32
        .size:           8
        .value_kind:     global_buffer
      - .actual_access:  read_only
        .address_space:  global
        .offset:         40
        .size:           8
        .value_kind:     global_buffer
      - .actual_access:  write_only
        .address_space:  global
        .offset:         48
        .size:           8
        .value_kind:     global_buffer
      - .actual_access:  write_only
        .address_space:  global
        .offset:         56
        .size:           8
        .value_kind:     global_buffer
      - .offset:         64
        .size:           4
        .value_kind:     hidden_block_count_x
      - .offset:         68
        .size:           4
        .value_kind:     hidden_block_count_y
      - .offset:         72
        .size:           4
        .value_kind:     hidden_block_count_z
      - .offset:         76
        .size:           2
        .value_kind:     hidden_group_size_x
      - .offset:         78
        .size:           2
        .value_kind:     hidden_group_size_y
      - .offset:         80
        .size:           2
        .value_kind:     hidden_group_size_z
      - .offset:         82
        .size:           2
        .value_kind:     hidden_remainder_x
      - .offset:         84
        .size:           2
        .value_kind:     hidden_remainder_y
      - .offset:         86
        .size:           2
        .value_kind:     hidden_remainder_z
      - .offset:         104
        .size:           8
        .value_kind:     hidden_global_offset_x
      - .offset:         112
        .size:           8
        .value_kind:     hidden_global_offset_y
      - .offset:         120
        .size:           8
        .value_kind:     hidden_global_offset_z
      - .offset:         128
        .size:           2
        .value_kind:     hidden_grid_dims
      - .offset:         184
        .size:           4
        .value_kind:     hidden_dynamic_lds_size
    .group_segment_fixed_size: 0
    .kernarg_segment_align: 8
    .kernarg_segment_size: 320
    .language:       OpenCL C
    .language_version:
      - 2
      - 0
    .max_flat_workgroup_size: 256
    .name:           _ZN2at6native12_GLOBAL__N_135GammaBetaBackwardCUDAKernelTemplateIN3c104HalfEfLj32ELj8ELj64ELb0ELb1ELb0EEEvllPKT_S7_PKT0_SA_PS5_SB_
    .private_segment_fixed_size: 0
    .sgpr_count:     30
    .sgpr_spill_count: 0
    .symbol:         _ZN2at6native12_GLOBAL__N_135GammaBetaBackwardCUDAKernelTemplateIN3c104HalfEfLj32ELj8ELj64ELb0ELb1ELb0EEEvllPKT_S7_PKT0_SA_PS5_SB_.kd
    .uniform_work_group_size: 1
    .uses_dynamic_stack: false
    .vgpr_count:     50
    .vgpr_spill_count: 0
    .wavefront_size: 32
    .workgroup_processor_mode: 1
  - .args:
      - .offset:         0
        .size:           8
        .value_kind:     by_value
      - .offset:         8
        .size:           8
        .value_kind:     by_value
      - .actual_access:  read_only
        .address_space:  global
        .offset:         16
        .size:           8
        .value_kind:     global_buffer
      - .actual_access:  read_only
        .address_space:  global
        .offset:         24
        .size:           8
        .value_kind:     global_buffer
      - .actual_access:  read_only
        .address_space:  global
        .offset:         32
        .size:           8
        .value_kind:     global_buffer
      - .actual_access:  read_only
        .address_space:  global
        .offset:         40
        .size:           8
        .value_kind:     global_buffer
      - .actual_access:  write_only
        .address_space:  global
        .offset:         48
        .size:           8
        .value_kind:     global_buffer
      - .actual_access:  write_only
        .address_space:  global
        .offset:         56
        .size:           8
        .value_kind:     global_buffer
      - .offset:         64
        .size:           4
        .value_kind:     hidden_block_count_x
      - .offset:         68
        .size:           4
        .value_kind:     hidden_block_count_y
      - .offset:         72
        .size:           4
        .value_kind:     hidden_block_count_z
      - .offset:         76
        .size:           2
        .value_kind:     hidden_group_size_x
      - .offset:         78
        .size:           2
        .value_kind:     hidden_group_size_y
      - .offset:         80
        .size:           2
        .value_kind:     hidden_group_size_z
      - .offset:         82
        .size:           2
        .value_kind:     hidden_remainder_x
      - .offset:         84
        .size:           2
        .value_kind:     hidden_remainder_y
      - .offset:         86
        .size:           2
        .value_kind:     hidden_remainder_z
      - .offset:         104
        .size:           8
        .value_kind:     hidden_global_offset_x
      - .offset:         112
        .size:           8
        .value_kind:     hidden_global_offset_y
      - .offset:         120
        .size:           8
        .value_kind:     hidden_global_offset_z
      - .offset:         128
        .size:           2
        .value_kind:     hidden_grid_dims
      - .offset:         184
        .size:           4
        .value_kind:     hidden_dynamic_lds_size
    .group_segment_fixed_size: 0
    .kernarg_segment_align: 8
    .kernarg_segment_size: 320
    .language:       OpenCL C
    .language_version:
      - 2
      - 0
    .max_flat_workgroup_size: 256
    .name:           _ZN2at6native12_GLOBAL__N_135GammaBetaBackwardCUDAKernelTemplateIN3c104HalfEfLj32ELj8ELj64ELb0ELb0ELb0EEEvllPKT_S7_PKT0_SA_PS5_SB_
    .private_segment_fixed_size: 0
    .sgpr_count:     42
    .sgpr_spill_count: 0
    .symbol:         _ZN2at6native12_GLOBAL__N_135GammaBetaBackwardCUDAKernelTemplateIN3c104HalfEfLj32ELj8ELj64ELb0ELb0ELb0EEEvllPKT_S7_PKT0_SA_PS5_SB_.kd
    .uniform_work_group_size: 1
    .uses_dynamic_stack: false
    .vgpr_count:     96
    .vgpr_spill_count: 0
    .wavefront_size: 32
    .workgroup_processor_mode: 1
  - .args:
      - .offset:         0
        .size:           8
        .value_kind:     by_value
      - .offset:         8
        .size:           8
        .value_kind:     by_value
      - .actual_access:  read_only
        .address_space:  global
        .offset:         16
        .size:           8
        .value_kind:     global_buffer
      - .actual_access:  read_only
        .address_space:  global
        .offset:         24
        .size:           8
        .value_kind:     global_buffer
      - .actual_access:  read_only
        .address_space:  global
        .offset:         32
        .size:           8
        .value_kind:     global_buffer
      - .actual_access:  read_only
        .address_space:  global
        .offset:         40
        .size:           8
        .value_kind:     global_buffer
      - .actual_access:  write_only
        .address_space:  global
        .offset:         48
        .size:           8
        .value_kind:     global_buffer
      - .actual_access:  write_only
        .address_space:  global
        .offset:         56
        .size:           8
        .value_kind:     global_buffer
      - .offset:         64
        .size:           4
        .value_kind:     hidden_block_count_x
      - .offset:         68
        .size:           4
        .value_kind:     hidden_block_count_y
      - .offset:         72
        .size:           4
        .value_kind:     hidden_block_count_z
      - .offset:         76
        .size:           2
        .value_kind:     hidden_group_size_x
      - .offset:         78
        .size:           2
        .value_kind:     hidden_group_size_y
      - .offset:         80
        .size:           2
        .value_kind:     hidden_group_size_z
      - .offset:         82
        .size:           2
        .value_kind:     hidden_remainder_x
      - .offset:         84
        .size:           2
        .value_kind:     hidden_remainder_y
      - .offset:         86
        .size:           2
        .value_kind:     hidden_remainder_z
      - .offset:         104
        .size:           8
        .value_kind:     hidden_global_offset_x
      - .offset:         112
        .size:           8
        .value_kind:     hidden_global_offset_y
      - .offset:         120
        .size:           8
        .value_kind:     hidden_global_offset_z
      - .offset:         128
        .size:           2
        .value_kind:     hidden_grid_dims
      - .offset:         184
        .size:           4
        .value_kind:     hidden_dynamic_lds_size
    .group_segment_fixed_size: 0
    .kernarg_segment_align: 8
    .kernarg_segment_size: 320
    .language:       OpenCL C
    .language_version:
      - 2
      - 0
    .max_flat_workgroup_size: 512
    .name:           _ZN2at6native12_GLOBAL__N_135GammaBetaBackwardCUDAKernelTemplateIN3c104HalfEfLj32ELj16ELj128ELb0ELb1ELb0EEEvllPKT_S7_PKT0_SA_PS5_SB_
    .private_segment_fixed_size: 0
    .sgpr_count:     30
    .sgpr_spill_count: 0
    .symbol:         _ZN2at6native12_GLOBAL__N_135GammaBetaBackwardCUDAKernelTemplateIN3c104HalfEfLj32ELj16ELj128ELb0ELb1ELb0EEEvllPKT_S7_PKT0_SA_PS5_SB_.kd
    .uniform_work_group_size: 1
    .uses_dynamic_stack: false
    .vgpr_count:     50
    .vgpr_spill_count: 0
    .wavefront_size: 32
    .workgroup_processor_mode: 1
  - .args:
      - .offset:         0
        .size:           8
        .value_kind:     by_value
      - .offset:         8
        .size:           8
        .value_kind:     by_value
      - .actual_access:  read_only
        .address_space:  global
        .offset:         16
        .size:           8
        .value_kind:     global_buffer
      - .actual_access:  read_only
        .address_space:  global
        .offset:         24
        .size:           8
        .value_kind:     global_buffer
      - .actual_access:  read_only
        .address_space:  global
        .offset:         32
        .size:           8
        .value_kind:     global_buffer
      - .actual_access:  read_only
        .address_space:  global
        .offset:         40
        .size:           8
        .value_kind:     global_buffer
      - .actual_access:  write_only
        .address_space:  global
        .offset:         48
        .size:           8
        .value_kind:     global_buffer
      - .actual_access:  write_only
        .address_space:  global
        .offset:         56
        .size:           8
        .value_kind:     global_buffer
      - .offset:         64
        .size:           4
        .value_kind:     hidden_block_count_x
      - .offset:         68
        .size:           4
        .value_kind:     hidden_block_count_y
      - .offset:         72
        .size:           4
        .value_kind:     hidden_block_count_z
      - .offset:         76
        .size:           2
        .value_kind:     hidden_group_size_x
      - .offset:         78
        .size:           2
        .value_kind:     hidden_group_size_y
      - .offset:         80
        .size:           2
        .value_kind:     hidden_group_size_z
      - .offset:         82
        .size:           2
        .value_kind:     hidden_remainder_x
      - .offset:         84
        .size:           2
        .value_kind:     hidden_remainder_y
      - .offset:         86
        .size:           2
        .value_kind:     hidden_remainder_z
      - .offset:         104
        .size:           8
        .value_kind:     hidden_global_offset_x
      - .offset:         112
        .size:           8
        .value_kind:     hidden_global_offset_y
      - .offset:         120
        .size:           8
        .value_kind:     hidden_global_offset_z
      - .offset:         128
        .size:           2
        .value_kind:     hidden_grid_dims
      - .offset:         184
        .size:           4
        .value_kind:     hidden_dynamic_lds_size
    .group_segment_fixed_size: 0
    .kernarg_segment_align: 8
    .kernarg_segment_size: 320
    .language:       OpenCL C
    .language_version:
      - 2
      - 0
    .max_flat_workgroup_size: 512
    .name:           _ZN2at6native12_GLOBAL__N_135GammaBetaBackwardCUDAKernelTemplateIN3c104HalfEfLj32ELj16ELj128ELb0ELb0ELb0EEEvllPKT_S7_PKT0_SA_PS5_SB_
    .private_segment_fixed_size: 0
    .sgpr_count:     42
    .sgpr_spill_count: 0
    .symbol:         _ZN2at6native12_GLOBAL__N_135GammaBetaBackwardCUDAKernelTemplateIN3c104HalfEfLj32ELj16ELj128ELb0ELb0ELb0EEEvllPKT_S7_PKT0_SA_PS5_SB_.kd
    .uniform_work_group_size: 1
    .uses_dynamic_stack: false
    .vgpr_count:     96
    .vgpr_spill_count: 0
    .wavefront_size: 32
    .workgroup_processor_mode: 1
  - .args:
      - .offset:         0
        .size:           8
        .value_kind:     by_value
      - .offset:         8
        .size:           8
        .value_kind:     by_value
      - .actual_access:  read_only
        .address_space:  global
        .offset:         16
        .size:           8
        .value_kind:     global_buffer
      - .actual_access:  read_only
        .address_space:  global
        .offset:         24
        .size:           8
        .value_kind:     global_buffer
      - .actual_access:  read_only
        .address_space:  global
        .offset:         32
        .size:           8
        .value_kind:     global_buffer
      - .actual_access:  read_only
        .address_space:  global
        .offset:         40
        .size:           8
        .value_kind:     global_buffer
      - .actual_access:  write_only
        .address_space:  global
        .offset:         48
        .size:           8
        .value_kind:     global_buffer
      - .actual_access:  write_only
        .address_space:  global
        .offset:         56
        .size:           8
        .value_kind:     global_buffer
      - .offset:         64
        .size:           4
        .value_kind:     hidden_block_count_x
      - .offset:         68
        .size:           4
        .value_kind:     hidden_block_count_y
      - .offset:         72
        .size:           4
        .value_kind:     hidden_block_count_z
      - .offset:         76
        .size:           2
        .value_kind:     hidden_group_size_x
      - .offset:         78
        .size:           2
        .value_kind:     hidden_group_size_y
      - .offset:         80
        .size:           2
        .value_kind:     hidden_group_size_z
      - .offset:         82
        .size:           2
        .value_kind:     hidden_remainder_x
      - .offset:         84
        .size:           2
        .value_kind:     hidden_remainder_y
      - .offset:         86
        .size:           2
        .value_kind:     hidden_remainder_z
      - .offset:         104
        .size:           8
        .value_kind:     hidden_global_offset_x
      - .offset:         112
        .size:           8
        .value_kind:     hidden_global_offset_y
      - .offset:         120
        .size:           8
        .value_kind:     hidden_global_offset_z
      - .offset:         128
        .size:           2
        .value_kind:     hidden_grid_dims
      - .offset:         184
        .size:           4
        .value_kind:     hidden_dynamic_lds_size
    .group_segment_fixed_size: 0
    .kernarg_segment_align: 8
    .kernarg_segment_size: 320
    .language:       OpenCL C
    .language_version:
      - 2
      - 0
    .max_flat_workgroup_size: 1024
    .name:           _ZN2at6native12_GLOBAL__N_135GammaBetaBackwardCUDAKernelTemplateIN3c104HalfEfLj32ELj32ELj256ELb0ELb1ELb0EEEvllPKT_S7_PKT0_SA_PS5_SB_
    .private_segment_fixed_size: 0
    .sgpr_count:     30
    .sgpr_spill_count: 0
    .symbol:         _ZN2at6native12_GLOBAL__N_135GammaBetaBackwardCUDAKernelTemplateIN3c104HalfEfLj32ELj32ELj256ELb0ELb1ELb0EEEvllPKT_S7_PKT0_SA_PS5_SB_.kd
    .uniform_work_group_size: 1
    .uses_dynamic_stack: false
    .vgpr_count:     50
    .vgpr_spill_count: 0
    .wavefront_size: 32
    .workgroup_processor_mode: 1
  - .args:
      - .offset:         0
        .size:           8
        .value_kind:     by_value
      - .offset:         8
        .size:           8
        .value_kind:     by_value
      - .actual_access:  read_only
        .address_space:  global
        .offset:         16
        .size:           8
        .value_kind:     global_buffer
      - .actual_access:  read_only
        .address_space:  global
        .offset:         24
        .size:           8
        .value_kind:     global_buffer
      - .actual_access:  read_only
        .address_space:  global
        .offset:         32
        .size:           8
        .value_kind:     global_buffer
      - .actual_access:  read_only
        .address_space:  global
        .offset:         40
        .size:           8
        .value_kind:     global_buffer
      - .actual_access:  write_only
        .address_space:  global
        .offset:         48
        .size:           8
        .value_kind:     global_buffer
      - .actual_access:  write_only
        .address_space:  global
        .offset:         56
        .size:           8
        .value_kind:     global_buffer
      - .offset:         64
        .size:           4
        .value_kind:     hidden_block_count_x
      - .offset:         68
        .size:           4
        .value_kind:     hidden_block_count_y
      - .offset:         72
        .size:           4
        .value_kind:     hidden_block_count_z
      - .offset:         76
        .size:           2
        .value_kind:     hidden_group_size_x
      - .offset:         78
        .size:           2
        .value_kind:     hidden_group_size_y
      - .offset:         80
        .size:           2
        .value_kind:     hidden_group_size_z
      - .offset:         82
        .size:           2
        .value_kind:     hidden_remainder_x
      - .offset:         84
        .size:           2
        .value_kind:     hidden_remainder_y
      - .offset:         86
        .size:           2
        .value_kind:     hidden_remainder_z
      - .offset:         104
        .size:           8
        .value_kind:     hidden_global_offset_x
      - .offset:         112
        .size:           8
        .value_kind:     hidden_global_offset_y
      - .offset:         120
        .size:           8
        .value_kind:     hidden_global_offset_z
      - .offset:         128
        .size:           2
        .value_kind:     hidden_grid_dims
      - .offset:         184
        .size:           4
        .value_kind:     hidden_dynamic_lds_size
    .group_segment_fixed_size: 0
    .kernarg_segment_align: 8
    .kernarg_segment_size: 320
    .language:       OpenCL C
    .language_version:
      - 2
      - 0
    .max_flat_workgroup_size: 1024
    .name:           _ZN2at6native12_GLOBAL__N_135GammaBetaBackwardCUDAKernelTemplateIN3c104HalfEfLj32ELj32ELj256ELb0ELb0ELb0EEEvllPKT_S7_PKT0_SA_PS5_SB_
    .private_segment_fixed_size: 0
    .sgpr_count:     42
    .sgpr_spill_count: 0
    .symbol:         _ZN2at6native12_GLOBAL__N_135GammaBetaBackwardCUDAKernelTemplateIN3c104HalfEfLj32ELj32ELj256ELb0ELb0ELb0EEEvllPKT_S7_PKT0_SA_PS5_SB_.kd
    .uniform_work_group_size: 1
    .uses_dynamic_stack: false
    .vgpr_count:     96
    .vgpr_spill_count: 0
    .wavefront_size: 32
    .workgroup_processor_mode: 1
  - .args:
      - .actual_access:  read_only
        .address_space:  global
        .offset:         0
        .size:           8
        .value_kind:     global_buffer
      - .actual_access:  read_only
        .address_space:  global
        .offset:         8
        .size:           8
        .value_kind:     global_buffer
      - .offset:         16
        .size:           8
        .value_kind:     by_value
      - .offset:         24
        .size:           8
        .value_kind:     by_value
      - .actual_access:  read_only
        .address_space:  global
        .offset:         32
        .size:           8
        .value_kind:     global_buffer
      - .actual_access:  read_only
        .address_space:  global
        .offset:         40
        .size:           8
        .value_kind:     global_buffer
      - .address_space:  global
        .offset:         48
        .size:           8
        .value_kind:     global_buffer
      - .address_space:  global
        .offset:         56
        .size:           8
        .value_kind:     global_buffer
      - .offset:         64
        .size:           4
        .value_kind:     hidden_block_count_x
      - .offset:         68
        .size:           4
        .value_kind:     hidden_block_count_y
      - .offset:         72
        .size:           4
        .value_kind:     hidden_block_count_z
      - .offset:         76
        .size:           2
        .value_kind:     hidden_group_size_x
      - .offset:         78
        .size:           2
        .value_kind:     hidden_group_size_y
      - .offset:         80
        .size:           2
        .value_kind:     hidden_group_size_z
      - .offset:         82
        .size:           2
        .value_kind:     hidden_remainder_x
      - .offset:         84
        .size:           2
        .value_kind:     hidden_remainder_y
      - .offset:         86
        .size:           2
        .value_kind:     hidden_remainder_z
      - .offset:         104
        .size:           8
        .value_kind:     hidden_global_offset_x
      - .offset:         112
        .size:           8
        .value_kind:     hidden_global_offset_y
      - .offset:         120
        .size:           8
        .value_kind:     hidden_global_offset_z
      - .offset:         128
        .size:           2
        .value_kind:     hidden_grid_dims
      - .offset:         184
        .size:           4
        .value_kind:     hidden_dynamic_lds_size
    .group_segment_fixed_size: 0
    .kernarg_segment_align: 8
    .kernarg_segment_size: 320
    .language:       OpenCL C
    .language_version:
      - 2
      - 0
    .max_flat_workgroup_size: 1024
    .name:           _ZN2at6native12_GLOBAL__N_118cuComputeGradInputIN3c108BFloat16EfLb0EEEvPKT_S7_llPKT0_SA_S7_PS5_
    .private_segment_fixed_size: 0
    .sgpr_count:     44
    .sgpr_spill_count: 0
    .symbol:         _ZN2at6native12_GLOBAL__N_118cuComputeGradInputIN3c108BFloat16EfLb0EEEvPKT_S7_llPKT0_SA_S7_PS5_.kd
    .uniform_work_group_size: 1
    .uses_dynamic_stack: false
    .vgpr_count:     24
    .vgpr_spill_count: 0
    .wavefront_size: 32
    .workgroup_processor_mode: 1
  - .args:
      - .actual_access:  read_only
        .address_space:  global
        .offset:         0
        .size:           8
        .value_kind:     global_buffer
      - .actual_access:  read_only
        .address_space:  global
        .offset:         8
        .size:           8
        .value_kind:     global_buffer
      - .actual_access:  read_only
        .address_space:  global
        .offset:         16
        .size:           8
        .value_kind:     global_buffer
      - .actual_access:  read_only
        .address_space:  global
        .offset:         24
        .size:           8
        .value_kind:     global_buffer
      - .actual_access:  read_only
        .address_space:  global
        .offset:         32
        .size:           8
        .value_kind:     global_buffer
      - .address_space:  global
        .offset:         40
        .size:           8
        .value_kind:     global_buffer
      - .offset:         48
        .size:           4
        .value_kind:     by_value
      - .offset:         56
        .size:           4
        .value_kind:     hidden_block_count_x
      - .offset:         60
        .size:           4
        .value_kind:     hidden_block_count_y
      - .offset:         64
        .size:           4
        .value_kind:     hidden_block_count_z
      - .offset:         68
        .size:           2
        .value_kind:     hidden_group_size_x
      - .offset:         70
        .size:           2
        .value_kind:     hidden_group_size_y
      - .offset:         72
        .size:           2
        .value_kind:     hidden_group_size_z
      - .offset:         74
        .size:           2
        .value_kind:     hidden_remainder_x
      - .offset:         76
        .size:           2
        .value_kind:     hidden_remainder_y
      - .offset:         78
        .size:           2
        .value_kind:     hidden_remainder_z
      - .offset:         96
        .size:           8
        .value_kind:     hidden_global_offset_x
      - .offset:         104
        .size:           8
        .value_kind:     hidden_global_offset_y
      - .offset:         112
        .size:           8
        .value_kind:     hidden_global_offset_z
      - .offset:         120
        .size:           2
        .value_kind:     hidden_grid_dims
      - .offset:         176
        .size:           4
        .value_kind:     hidden_dynamic_lds_size
    .group_segment_fixed_size: 0
    .kernarg_segment_align: 8
    .kernarg_segment_size: 312
    .language:       OpenCL C
    .language_version:
      - 2
      - 0
    .max_flat_workgroup_size: 1024
    .name:           _ZN2at6native12_GLOBAL__N_128layer_norm_grad_input_kernelIN3c108BFloat16EfLb0EEEvPKT_S7_PKT0_SA_S7_PS5_i
    .private_segment_fixed_size: 0
    .sgpr_count:     29
    .sgpr_spill_count: 0
    .symbol:         _ZN2at6native12_GLOBAL__N_128layer_norm_grad_input_kernelIN3c108BFloat16EfLb0EEEvPKT_S7_PKT0_SA_S7_PS5_i.kd
    .uniform_work_group_size: 1
    .uses_dynamic_stack: false
    .vgpr_count:     21
    .vgpr_spill_count: 0
    .wavefront_size: 32
    .workgroup_processor_mode: 1
  - .args:
      - .offset:         0
        .size:           8
        .value_kind:     by_value
      - .offset:         8
        .size:           8
        .value_kind:     by_value
      - .address_space:  global
        .offset:         16
        .size:           8
        .value_kind:     global_buffer
      - .address_space:  global
        .offset:         24
        .size:           8
        .value_kind:     global_buffer
      - .address_space:  global
        .offset:         32
        .size:           8
        .value_kind:     global_buffer
      - .address_space:  global
        .offset:         40
        .size:           8
        .value_kind:     global_buffer
      - .address_space:  global
        .offset:         48
        .size:           8
        .value_kind:     global_buffer
      - .address_space:  global
        .offset:         56
        .size:           8
        .value_kind:     global_buffer
      - .offset:         64
        .size:           4
        .value_kind:     hidden_block_count_x
      - .offset:         68
        .size:           4
        .value_kind:     hidden_block_count_y
      - .offset:         72
        .size:           4
        .value_kind:     hidden_block_count_z
      - .offset:         76
        .size:           2
        .value_kind:     hidden_group_size_x
      - .offset:         78
        .size:           2
        .value_kind:     hidden_group_size_y
      - .offset:         80
        .size:           2
        .value_kind:     hidden_group_size_z
      - .offset:         82
        .size:           2
        .value_kind:     hidden_remainder_x
      - .offset:         84
        .size:           2
        .value_kind:     hidden_remainder_y
      - .offset:         86
        .size:           2
        .value_kind:     hidden_remainder_z
      - .offset:         104
        .size:           8
        .value_kind:     hidden_global_offset_x
      - .offset:         112
        .size:           8
        .value_kind:     hidden_global_offset_y
      - .offset:         120
        .size:           8
        .value_kind:     hidden_global_offset_z
      - .offset:         128
        .size:           2
        .value_kind:     hidden_grid_dims
    .group_segment_fixed_size: 0
    .kernarg_segment_align: 8
    .kernarg_segment_size: 320
    .language:       OpenCL C
    .language_version:
      - 2
      - 0
    .max_flat_workgroup_size: 1024
    .name:           _ZN2at6native12_GLOBAL__N_133GammaBetaBackwardSimpleCUDAKernelIN3c108BFloat16EfLb0EEEvllPKT_S7_PKT0_SA_PS5_SB_
    .private_segment_fixed_size: 0
    .sgpr_count:     34
    .sgpr_spill_count: 0
    .symbol:         _ZN2at6native12_GLOBAL__N_133GammaBetaBackwardSimpleCUDAKernelIN3c108BFloat16EfLb0EEEvllPKT_S7_PKT0_SA_PS5_SB_.kd
    .uniform_work_group_size: 1
    .uses_dynamic_stack: false
    .vgpr_count:     10
    .vgpr_spill_count: 0
    .wavefront_size: 32
    .workgroup_processor_mode: 1
  - .args:
      - .offset:         0
        .size:           8
        .value_kind:     by_value
      - .offset:         8
        .size:           8
        .value_kind:     by_value
      - .actual_access:  read_only
        .address_space:  global
        .offset:         16
        .size:           8
        .value_kind:     global_buffer
      - .actual_access:  read_only
        .address_space:  global
        .offset:         24
        .size:           8
        .value_kind:     global_buffer
      - .actual_access:  read_only
        .address_space:  global
        .offset:         32
        .size:           8
        .value_kind:     global_buffer
      - .actual_access:  read_only
        .address_space:  global
        .offset:         40
        .size:           8
        .value_kind:     global_buffer
      - .actual_access:  write_only
        .address_space:  global
        .offset:         48
        .size:           8
        .value_kind:     global_buffer
      - .actual_access:  write_only
        .address_space:  global
        .offset:         56
        .size:           8
        .value_kind:     global_buffer
      - .offset:         64
        .size:           4
        .value_kind:     hidden_block_count_x
      - .offset:         68
        .size:           4
        .value_kind:     hidden_block_count_y
      - .offset:         72
        .size:           4
        .value_kind:     hidden_block_count_z
      - .offset:         76
        .size:           2
        .value_kind:     hidden_group_size_x
      - .offset:         78
        .size:           2
        .value_kind:     hidden_group_size_y
      - .offset:         80
        .size:           2
        .value_kind:     hidden_group_size_z
      - .offset:         82
        .size:           2
        .value_kind:     hidden_remainder_x
      - .offset:         84
        .size:           2
        .value_kind:     hidden_remainder_y
      - .offset:         86
        .size:           2
        .value_kind:     hidden_remainder_z
      - .offset:         104
        .size:           8
        .value_kind:     hidden_global_offset_x
      - .offset:         112
        .size:           8
        .value_kind:     hidden_global_offset_y
      - .offset:         120
        .size:           8
        .value_kind:     hidden_global_offset_z
      - .offset:         128
        .size:           2
        .value_kind:     hidden_grid_dims
    .group_segment_fixed_size: 0
    .kernarg_segment_align: 8
    .kernarg_segment_size: 320
    .language:       OpenCL C
    .language_version:
      - 2
      - 0
    .max_flat_workgroup_size: 64
    .name:           _ZN2at6native12_GLOBAL__N_135GammaBetaBackwardCUDAKernelTemplateIN3c108BFloat16EfLj64ELj1ELj32ELb1ELb1ELb0EEEvllPKT_S7_PKT0_SA_PS5_SB_
    .private_segment_fixed_size: 0
    .sgpr_count:     34
    .sgpr_spill_count: 0
    .symbol:         _ZN2at6native12_GLOBAL__N_135GammaBetaBackwardCUDAKernelTemplateIN3c108BFloat16EfLj64ELj1ELj32ELb1ELb1ELb0EEEvllPKT_S7_PKT0_SA_PS5_SB_.kd
    .uniform_work_group_size: 1
    .uses_dynamic_stack: false
    .vgpr_count:     115
    .vgpr_spill_count: 0
    .wavefront_size: 32
    .workgroup_processor_mode: 1
  - .args:
      - .offset:         0
        .size:           8
        .value_kind:     by_value
      - .offset:         8
        .size:           8
        .value_kind:     by_value
      - .actual_access:  read_only
        .address_space:  global
        .offset:         16
        .size:           8
        .value_kind:     global_buffer
      - .actual_access:  read_only
        .address_space:  global
        .offset:         24
        .size:           8
        .value_kind:     global_buffer
      - .actual_access:  read_only
        .address_space:  global
        .offset:         32
        .size:           8
        .value_kind:     global_buffer
      - .actual_access:  read_only
        .address_space:  global
        .offset:         40
        .size:           8
        .value_kind:     global_buffer
      - .actual_access:  write_only
        .address_space:  global
        .offset:         48
        .size:           8
        .value_kind:     global_buffer
      - .actual_access:  write_only
        .address_space:  global
        .offset:         56
        .size:           8
        .value_kind:     global_buffer
      - .offset:         64
        .size:           4
        .value_kind:     hidden_block_count_x
      - .offset:         68
        .size:           4
        .value_kind:     hidden_block_count_y
      - .offset:         72
        .size:           4
        .value_kind:     hidden_block_count_z
      - .offset:         76
        .size:           2
        .value_kind:     hidden_group_size_x
      - .offset:         78
        .size:           2
        .value_kind:     hidden_group_size_y
      - .offset:         80
        .size:           2
        .value_kind:     hidden_group_size_z
      - .offset:         82
        .size:           2
        .value_kind:     hidden_remainder_x
      - .offset:         84
        .size:           2
        .value_kind:     hidden_remainder_y
      - .offset:         86
        .size:           2
        .value_kind:     hidden_remainder_z
      - .offset:         104
        .size:           8
        .value_kind:     hidden_global_offset_x
      - .offset:         112
        .size:           8
        .value_kind:     hidden_global_offset_y
      - .offset:         120
        .size:           8
        .value_kind:     hidden_global_offset_z
      - .offset:         128
        .size:           2
        .value_kind:     hidden_grid_dims
    .group_segment_fixed_size: 0
    .kernarg_segment_align: 8
    .kernarg_segment_size: 320
    .language:       OpenCL C
    .language_version:
      - 2
      - 0
    .max_flat_workgroup_size: 64
    .name:           _ZN2at6native12_GLOBAL__N_135GammaBetaBackwardCUDAKernelTemplateIN3c108BFloat16EfLj64ELj1ELj32ELb1ELb0ELb0EEEvllPKT_S7_PKT0_SA_PS5_SB_
    .private_segment_fixed_size: 312
    .sgpr_count:     38
    .sgpr_spill_count: 0
    .symbol:         _ZN2at6native12_GLOBAL__N_135GammaBetaBackwardCUDAKernelTemplateIN3c108BFloat16EfLj64ELj1ELj32ELb1ELb0ELb0EEEvllPKT_S7_PKT0_SA_PS5_SB_.kd
    .uniform_work_group_size: 1
    .uses_dynamic_stack: false
    .vgpr_count:     256
    .vgpr_spill_count: 150
    .wavefront_size: 32
    .workgroup_processor_mode: 1
  - .args:
      - .offset:         0
        .size:           8
        .value_kind:     by_value
      - .offset:         8
        .size:           8
        .value_kind:     by_value
      - .actual_access:  read_only
        .address_space:  global
        .offset:         16
        .size:           8
        .value_kind:     global_buffer
      - .actual_access:  read_only
        .address_space:  global
        .offset:         24
        .size:           8
        .value_kind:     global_buffer
      - .actual_access:  read_only
        .address_space:  global
        .offset:         32
        .size:           8
        .value_kind:     global_buffer
      - .actual_access:  read_only
        .address_space:  global
        .offset:         40
        .size:           8
        .value_kind:     global_buffer
      - .actual_access:  write_only
        .address_space:  global
        .offset:         48
        .size:           8
        .value_kind:     global_buffer
      - .actual_access:  write_only
        .address_space:  global
        .offset:         56
        .size:           8
        .value_kind:     global_buffer
      - .offset:         64
        .size:           4
        .value_kind:     hidden_block_count_x
      - .offset:         68
        .size:           4
        .value_kind:     hidden_block_count_y
      - .offset:         72
        .size:           4
        .value_kind:     hidden_block_count_z
      - .offset:         76
        .size:           2
        .value_kind:     hidden_group_size_x
      - .offset:         78
        .size:           2
        .value_kind:     hidden_group_size_y
      - .offset:         80
        .size:           2
        .value_kind:     hidden_group_size_z
      - .offset:         82
        .size:           2
        .value_kind:     hidden_remainder_x
      - .offset:         84
        .size:           2
        .value_kind:     hidden_remainder_y
      - .offset:         86
        .size:           2
        .value_kind:     hidden_remainder_z
      - .offset:         104
        .size:           8
        .value_kind:     hidden_global_offset_x
      - .offset:         112
        .size:           8
        .value_kind:     hidden_global_offset_y
      - .offset:         120
        .size:           8
        .value_kind:     hidden_global_offset_z
      - .offset:         128
        .size:           2
        .value_kind:     hidden_grid_dims
    .group_segment_fixed_size: 0
    .kernarg_segment_align: 8
    .kernarg_segment_size: 320
    .language:       OpenCL C
    .language_version:
      - 2
      - 0
    .max_flat_workgroup_size: 64
    .name:           _ZN2at6native12_GLOBAL__N_135GammaBetaBackwardCUDAKernelTemplateIN3c108BFloat16EfLj64ELj1ELj8ELb1ELb1ELb0EEEvllPKT_S7_PKT0_SA_PS5_SB_
    .private_segment_fixed_size: 0
    .sgpr_count:     38
    .sgpr_spill_count: 0
    .symbol:         _ZN2at6native12_GLOBAL__N_135GammaBetaBackwardCUDAKernelTemplateIN3c108BFloat16EfLj64ELj1ELj8ELb1ELb1ELb0EEEvllPKT_S7_PKT0_SA_PS5_SB_.kd
    .uniform_work_group_size: 1
    .uses_dynamic_stack: false
    .vgpr_count:     50
    .vgpr_spill_count: 0
    .wavefront_size: 32
    .workgroup_processor_mode: 1
  - .args:
      - .offset:         0
        .size:           8
        .value_kind:     by_value
      - .offset:         8
        .size:           8
        .value_kind:     by_value
      - .actual_access:  read_only
        .address_space:  global
        .offset:         16
        .size:           8
        .value_kind:     global_buffer
      - .actual_access:  read_only
        .address_space:  global
        .offset:         24
        .size:           8
        .value_kind:     global_buffer
      - .actual_access:  read_only
        .address_space:  global
        .offset:         32
        .size:           8
        .value_kind:     global_buffer
      - .actual_access:  read_only
        .address_space:  global
        .offset:         40
        .size:           8
        .value_kind:     global_buffer
      - .actual_access:  write_only
        .address_space:  global
        .offset:         48
        .size:           8
        .value_kind:     global_buffer
      - .actual_access:  write_only
        .address_space:  global
        .offset:         56
        .size:           8
        .value_kind:     global_buffer
      - .offset:         64
        .size:           4
        .value_kind:     hidden_block_count_x
      - .offset:         68
        .size:           4
        .value_kind:     hidden_block_count_y
      - .offset:         72
        .size:           4
        .value_kind:     hidden_block_count_z
      - .offset:         76
        .size:           2
        .value_kind:     hidden_group_size_x
      - .offset:         78
        .size:           2
        .value_kind:     hidden_group_size_y
      - .offset:         80
        .size:           2
        .value_kind:     hidden_group_size_z
      - .offset:         82
        .size:           2
        .value_kind:     hidden_remainder_x
      - .offset:         84
        .size:           2
        .value_kind:     hidden_remainder_y
      - .offset:         86
        .size:           2
        .value_kind:     hidden_remainder_z
      - .offset:         104
        .size:           8
        .value_kind:     hidden_global_offset_x
      - .offset:         112
        .size:           8
        .value_kind:     hidden_global_offset_y
      - .offset:         120
        .size:           8
        .value_kind:     hidden_global_offset_z
      - .offset:         128
        .size:           2
        .value_kind:     hidden_grid_dims
    .group_segment_fixed_size: 0
    .kernarg_segment_align: 8
    .kernarg_segment_size: 320
    .language:       OpenCL C
    .language_version:
      - 2
      - 0
    .max_flat_workgroup_size: 64
    .name:           _ZN2at6native12_GLOBAL__N_135GammaBetaBackwardCUDAKernelTemplateIN3c108BFloat16EfLj64ELj1ELj8ELb1ELb0ELb0EEEvllPKT_S7_PKT0_SA_PS5_SB_
    .private_segment_fixed_size: 0
    .sgpr_count:     43
    .sgpr_spill_count: 0
    .symbol:         _ZN2at6native12_GLOBAL__N_135GammaBetaBackwardCUDAKernelTemplateIN3c108BFloat16EfLj64ELj1ELj8ELb1ELb0ELb0EEEvllPKT_S7_PKT0_SA_PS5_SB_.kd
    .uniform_work_group_size: 1
    .uses_dynamic_stack: false
    .vgpr_count:     101
    .vgpr_spill_count: 0
    .wavefront_size: 32
    .workgroup_processor_mode: 1
  - .args:
      - .offset:         0
        .size:           8
        .value_kind:     by_value
      - .offset:         8
        .size:           8
        .value_kind:     by_value
      - .actual_access:  read_only
        .address_space:  global
        .offset:         16
        .size:           8
        .value_kind:     global_buffer
      - .actual_access:  read_only
        .address_space:  global
        .offset:         24
        .size:           8
        .value_kind:     global_buffer
      - .actual_access:  read_only
        .address_space:  global
        .offset:         32
        .size:           8
        .value_kind:     global_buffer
      - .actual_access:  read_only
        .address_space:  global
        .offset:         40
        .size:           8
        .value_kind:     global_buffer
      - .actual_access:  write_only
        .address_space:  global
        .offset:         48
        .size:           8
        .value_kind:     global_buffer
      - .actual_access:  write_only
        .address_space:  global
        .offset:         56
        .size:           8
        .value_kind:     global_buffer
      - .offset:         64
        .size:           4
        .value_kind:     hidden_block_count_x
      - .offset:         68
        .size:           4
        .value_kind:     hidden_block_count_y
      - .offset:         72
        .size:           4
        .value_kind:     hidden_block_count_z
      - .offset:         76
        .size:           2
        .value_kind:     hidden_group_size_x
      - .offset:         78
        .size:           2
        .value_kind:     hidden_group_size_y
      - .offset:         80
        .size:           2
        .value_kind:     hidden_group_size_z
      - .offset:         82
        .size:           2
        .value_kind:     hidden_remainder_x
      - .offset:         84
        .size:           2
        .value_kind:     hidden_remainder_y
      - .offset:         86
        .size:           2
        .value_kind:     hidden_remainder_z
      - .offset:         104
        .size:           8
        .value_kind:     hidden_global_offset_x
      - .offset:         112
        .size:           8
        .value_kind:     hidden_global_offset_y
      - .offset:         120
        .size:           8
        .value_kind:     hidden_global_offset_z
      - .offset:         128
        .size:           2
        .value_kind:     hidden_grid_dims
      - .offset:         184
        .size:           4
        .value_kind:     hidden_dynamic_lds_size
    .group_segment_fixed_size: 0
    .kernarg_segment_align: 8
    .kernarg_segment_size: 320
    .language:       OpenCL C
    .language_version:
      - 2
      - 0
    .max_flat_workgroup_size: 512
    .name:           _ZN2at6native12_GLOBAL__N_135GammaBetaBackwardCUDAKernelTemplateIN3c108BFloat16EfLj64ELj8ELj64ELb0ELb1ELb0EEEvllPKT_S7_PKT0_SA_PS5_SB_
    .private_segment_fixed_size: 0
    .sgpr_count:     30
    .sgpr_spill_count: 0
    .symbol:         _ZN2at6native12_GLOBAL__N_135GammaBetaBackwardCUDAKernelTemplateIN3c108BFloat16EfLj64ELj8ELj64ELb0ELb1ELb0EEEvllPKT_S7_PKT0_SA_PS5_SB_.kd
    .uniform_work_group_size: 1
    .uses_dynamic_stack: false
    .vgpr_count:     50
    .vgpr_spill_count: 0
    .wavefront_size: 32
    .workgroup_processor_mode: 1
  - .args:
      - .offset:         0
        .size:           8
        .value_kind:     by_value
      - .offset:         8
        .size:           8
        .value_kind:     by_value
      - .actual_access:  read_only
        .address_space:  global
        .offset:         16
        .size:           8
        .value_kind:     global_buffer
      - .actual_access:  read_only
        .address_space:  global
        .offset:         24
        .size:           8
        .value_kind:     global_buffer
      - .actual_access:  read_only
        .address_space:  global
        .offset:         32
        .size:           8
        .value_kind:     global_buffer
      - .actual_access:  read_only
        .address_space:  global
        .offset:         40
        .size:           8
        .value_kind:     global_buffer
      - .actual_access:  write_only
        .address_space:  global
        .offset:         48
        .size:           8
        .value_kind:     global_buffer
      - .actual_access:  write_only
        .address_space:  global
        .offset:         56
        .size:           8
        .value_kind:     global_buffer
      - .offset:         64
        .size:           4
        .value_kind:     hidden_block_count_x
      - .offset:         68
        .size:           4
        .value_kind:     hidden_block_count_y
      - .offset:         72
        .size:           4
        .value_kind:     hidden_block_count_z
      - .offset:         76
        .size:           2
        .value_kind:     hidden_group_size_x
      - .offset:         78
        .size:           2
        .value_kind:     hidden_group_size_y
      - .offset:         80
        .size:           2
        .value_kind:     hidden_group_size_z
      - .offset:         82
        .size:           2
        .value_kind:     hidden_remainder_x
      - .offset:         84
        .size:           2
        .value_kind:     hidden_remainder_y
      - .offset:         86
        .size:           2
        .value_kind:     hidden_remainder_z
      - .offset:         104
        .size:           8
        .value_kind:     hidden_global_offset_x
      - .offset:         112
        .size:           8
        .value_kind:     hidden_global_offset_y
      - .offset:         120
        .size:           8
        .value_kind:     hidden_global_offset_z
      - .offset:         128
        .size:           2
        .value_kind:     hidden_grid_dims
      - .offset:         184
        .size:           4
        .value_kind:     hidden_dynamic_lds_size
    .group_segment_fixed_size: 0
    .kernarg_segment_align: 8
    .kernarg_segment_size: 320
    .language:       OpenCL C
    .language_version:
      - 2
      - 0
    .max_flat_workgroup_size: 512
    .name:           _ZN2at6native12_GLOBAL__N_135GammaBetaBackwardCUDAKernelTemplateIN3c108BFloat16EfLj64ELj8ELj64ELb0ELb0ELb0EEEvllPKT_S7_PKT0_SA_PS5_SB_
    .private_segment_fixed_size: 0
    .sgpr_count:     42
    .sgpr_spill_count: 0
    .symbol:         _ZN2at6native12_GLOBAL__N_135GammaBetaBackwardCUDAKernelTemplateIN3c108BFloat16EfLj64ELj8ELj64ELb0ELb0ELb0EEEvllPKT_S7_PKT0_SA_PS5_SB_.kd
    .uniform_work_group_size: 1
    .uses_dynamic_stack: false
    .vgpr_count:     96
    .vgpr_spill_count: 0
    .wavefront_size: 32
    .workgroup_processor_mode: 1
  - .args:
      - .offset:         0
        .size:           8
        .value_kind:     by_value
      - .offset:         8
        .size:           8
        .value_kind:     by_value
      - .actual_access:  read_only
        .address_space:  global
        .offset:         16
        .size:           8
        .value_kind:     global_buffer
      - .actual_access:  read_only
        .address_space:  global
        .offset:         24
        .size:           8
        .value_kind:     global_buffer
      - .actual_access:  read_only
        .address_space:  global
        .offset:         32
        .size:           8
        .value_kind:     global_buffer
      - .actual_access:  read_only
        .address_space:  global
        .offset:         40
        .size:           8
        .value_kind:     global_buffer
      - .actual_access:  write_only
        .address_space:  global
        .offset:         48
        .size:           8
        .value_kind:     global_buffer
      - .actual_access:  write_only
        .address_space:  global
        .offset:         56
        .size:           8
        .value_kind:     global_buffer
      - .offset:         64
        .size:           4
        .value_kind:     hidden_block_count_x
      - .offset:         68
        .size:           4
        .value_kind:     hidden_block_count_y
      - .offset:         72
        .size:           4
        .value_kind:     hidden_block_count_z
      - .offset:         76
        .size:           2
        .value_kind:     hidden_group_size_x
      - .offset:         78
        .size:           2
        .value_kind:     hidden_group_size_y
      - .offset:         80
        .size:           2
        .value_kind:     hidden_group_size_z
      - .offset:         82
        .size:           2
        .value_kind:     hidden_remainder_x
      - .offset:         84
        .size:           2
        .value_kind:     hidden_remainder_y
      - .offset:         86
        .size:           2
        .value_kind:     hidden_remainder_z
      - .offset:         104
        .size:           8
        .value_kind:     hidden_global_offset_x
      - .offset:         112
        .size:           8
        .value_kind:     hidden_global_offset_y
      - .offset:         120
        .size:           8
        .value_kind:     hidden_global_offset_z
      - .offset:         128
        .size:           2
        .value_kind:     hidden_grid_dims
      - .offset:         184
        .size:           4
        .value_kind:     hidden_dynamic_lds_size
    .group_segment_fixed_size: 0
    .kernarg_segment_align: 8
    .kernarg_segment_size: 320
    .language:       OpenCL C
    .language_version:
      - 2
      - 0
    .max_flat_workgroup_size: 1024
    .name:           _ZN2at6native12_GLOBAL__N_135GammaBetaBackwardCUDAKernelTemplateIN3c108BFloat16EfLj64ELj16ELj128ELb0ELb1ELb0EEEvllPKT_S7_PKT0_SA_PS5_SB_
    .private_segment_fixed_size: 0
    .sgpr_count:     30
    .sgpr_spill_count: 0
    .symbol:         _ZN2at6native12_GLOBAL__N_135GammaBetaBackwardCUDAKernelTemplateIN3c108BFloat16EfLj64ELj16ELj128ELb0ELb1ELb0EEEvllPKT_S7_PKT0_SA_PS5_SB_.kd
    .uniform_work_group_size: 1
    .uses_dynamic_stack: false
    .vgpr_count:     50
    .vgpr_spill_count: 0
    .wavefront_size: 32
    .workgroup_processor_mode: 1
  - .args:
      - .offset:         0
        .size:           8
        .value_kind:     by_value
      - .offset:         8
        .size:           8
        .value_kind:     by_value
      - .actual_access:  read_only
        .address_space:  global
        .offset:         16
        .size:           8
        .value_kind:     global_buffer
      - .actual_access:  read_only
        .address_space:  global
        .offset:         24
        .size:           8
        .value_kind:     global_buffer
      - .actual_access:  read_only
        .address_space:  global
        .offset:         32
        .size:           8
        .value_kind:     global_buffer
      - .actual_access:  read_only
        .address_space:  global
        .offset:         40
        .size:           8
        .value_kind:     global_buffer
      - .actual_access:  write_only
        .address_space:  global
        .offset:         48
        .size:           8
        .value_kind:     global_buffer
      - .actual_access:  write_only
        .address_space:  global
        .offset:         56
        .size:           8
        .value_kind:     global_buffer
      - .offset:         64
        .size:           4
        .value_kind:     hidden_block_count_x
      - .offset:         68
        .size:           4
        .value_kind:     hidden_block_count_y
      - .offset:         72
        .size:           4
        .value_kind:     hidden_block_count_z
      - .offset:         76
        .size:           2
        .value_kind:     hidden_group_size_x
      - .offset:         78
        .size:           2
        .value_kind:     hidden_group_size_y
      - .offset:         80
        .size:           2
        .value_kind:     hidden_group_size_z
      - .offset:         82
        .size:           2
        .value_kind:     hidden_remainder_x
      - .offset:         84
        .size:           2
        .value_kind:     hidden_remainder_y
      - .offset:         86
        .size:           2
        .value_kind:     hidden_remainder_z
      - .offset:         104
        .size:           8
        .value_kind:     hidden_global_offset_x
      - .offset:         112
        .size:           8
        .value_kind:     hidden_global_offset_y
      - .offset:         120
        .size:           8
        .value_kind:     hidden_global_offset_z
      - .offset:         128
        .size:           2
        .value_kind:     hidden_grid_dims
      - .offset:         184
        .size:           4
        .value_kind:     hidden_dynamic_lds_size
    .group_segment_fixed_size: 0
    .kernarg_segment_align: 8
    .kernarg_segment_size: 320
    .language:       OpenCL C
    .language_version:
      - 2
      - 0
    .max_flat_workgroup_size: 1024
    .name:           _ZN2at6native12_GLOBAL__N_135GammaBetaBackwardCUDAKernelTemplateIN3c108BFloat16EfLj64ELj16ELj128ELb0ELb0ELb0EEEvllPKT_S7_PKT0_SA_PS5_SB_
    .private_segment_fixed_size: 0
    .sgpr_count:     42
    .sgpr_spill_count: 0
    .symbol:         _ZN2at6native12_GLOBAL__N_135GammaBetaBackwardCUDAKernelTemplateIN3c108BFloat16EfLj64ELj16ELj128ELb0ELb0ELb0EEEvllPKT_S7_PKT0_SA_PS5_SB_.kd
    .uniform_work_group_size: 1
    .uses_dynamic_stack: false
    .vgpr_count:     96
    .vgpr_spill_count: 0
    .wavefront_size: 32
    .workgroup_processor_mode: 1
  - .args:
      - .offset:         0
        .size:           8
        .value_kind:     by_value
      - .offset:         8
        .size:           8
        .value_kind:     by_value
      - .actual_access:  read_only
        .address_space:  global
        .offset:         16
        .size:           8
        .value_kind:     global_buffer
      - .actual_access:  read_only
        .address_space:  global
        .offset:         24
        .size:           8
        .value_kind:     global_buffer
      - .actual_access:  read_only
        .address_space:  global
        .offset:         32
        .size:           8
        .value_kind:     global_buffer
      - .actual_access:  read_only
        .address_space:  global
        .offset:         40
        .size:           8
        .value_kind:     global_buffer
      - .actual_access:  write_only
        .address_space:  global
        .offset:         48
        .size:           8
        .value_kind:     global_buffer
      - .actual_access:  write_only
        .address_space:  global
        .offset:         56
        .size:           8
        .value_kind:     global_buffer
      - .offset:         64
        .size:           4
        .value_kind:     hidden_block_count_x
      - .offset:         68
        .size:           4
        .value_kind:     hidden_block_count_y
      - .offset:         72
        .size:           4
        .value_kind:     hidden_block_count_z
      - .offset:         76
        .size:           2
        .value_kind:     hidden_group_size_x
      - .offset:         78
        .size:           2
        .value_kind:     hidden_group_size_y
      - .offset:         80
        .size:           2
        .value_kind:     hidden_group_size_z
      - .offset:         82
        .size:           2
        .value_kind:     hidden_remainder_x
      - .offset:         84
        .size:           2
        .value_kind:     hidden_remainder_y
      - .offset:         86
        .size:           2
        .value_kind:     hidden_remainder_z
      - .offset:         104
        .size:           8
        .value_kind:     hidden_global_offset_x
      - .offset:         112
        .size:           8
        .value_kind:     hidden_global_offset_y
      - .offset:         120
        .size:           8
        .value_kind:     hidden_global_offset_z
      - .offset:         128
        .size:           2
        .value_kind:     hidden_grid_dims
      - .offset:         184
        .size:           4
        .value_kind:     hidden_dynamic_lds_size
    .group_segment_fixed_size: 0
    .kernarg_segment_align: 8
    .kernarg_segment_size: 320
    .language:       OpenCL C
    .language_version:
      - 2
      - 0
    .max_flat_workgroup_size: 1024
    .name:           _ZN2at6native12_GLOBAL__N_135GammaBetaBackwardCUDAKernelTemplateIN3c108BFloat16EfLj64ELj16ELj256ELb0ELb1ELb0EEEvllPKT_S7_PKT0_SA_PS5_SB_
    .private_segment_fixed_size: 0
    .sgpr_count:     30
    .sgpr_spill_count: 0
    .symbol:         _ZN2at6native12_GLOBAL__N_135GammaBetaBackwardCUDAKernelTemplateIN3c108BFloat16EfLj64ELj16ELj256ELb0ELb1ELb0EEEvllPKT_S7_PKT0_SA_PS5_SB_.kd
    .uniform_work_group_size: 1
    .uses_dynamic_stack: false
    .vgpr_count:     90
    .vgpr_spill_count: 0
    .wavefront_size: 32
    .workgroup_processor_mode: 1
  - .args:
      - .offset:         0
        .size:           8
        .value_kind:     by_value
      - .offset:         8
        .size:           8
        .value_kind:     by_value
      - .actual_access:  read_only
        .address_space:  global
        .offset:         16
        .size:           8
        .value_kind:     global_buffer
      - .actual_access:  read_only
        .address_space:  global
        .offset:         24
        .size:           8
        .value_kind:     global_buffer
      - .actual_access:  read_only
        .address_space:  global
        .offset:         32
        .size:           8
        .value_kind:     global_buffer
      - .actual_access:  read_only
        .address_space:  global
        .offset:         40
        .size:           8
        .value_kind:     global_buffer
      - .actual_access:  write_only
        .address_space:  global
        .offset:         48
        .size:           8
        .value_kind:     global_buffer
      - .actual_access:  write_only
        .address_space:  global
        .offset:         56
        .size:           8
        .value_kind:     global_buffer
      - .offset:         64
        .size:           4
        .value_kind:     hidden_block_count_x
      - .offset:         68
        .size:           4
        .value_kind:     hidden_block_count_y
      - .offset:         72
        .size:           4
        .value_kind:     hidden_block_count_z
      - .offset:         76
        .size:           2
        .value_kind:     hidden_group_size_x
      - .offset:         78
        .size:           2
        .value_kind:     hidden_group_size_y
      - .offset:         80
        .size:           2
        .value_kind:     hidden_group_size_z
      - .offset:         82
        .size:           2
        .value_kind:     hidden_remainder_x
      - .offset:         84
        .size:           2
        .value_kind:     hidden_remainder_y
      - .offset:         86
        .size:           2
        .value_kind:     hidden_remainder_z
      - .offset:         104
        .size:           8
        .value_kind:     hidden_global_offset_x
      - .offset:         112
        .size:           8
        .value_kind:     hidden_global_offset_y
      - .offset:         120
        .size:           8
        .value_kind:     hidden_global_offset_z
      - .offset:         128
        .size:           2
        .value_kind:     hidden_grid_dims
      - .offset:         184
        .size:           4
        .value_kind:     hidden_dynamic_lds_size
    .group_segment_fixed_size: 0
    .kernarg_segment_align: 8
    .kernarg_segment_size: 320
    .language:       OpenCL C
    .language_version:
      - 2
      - 0
    .max_flat_workgroup_size: 1024
    .name:           _ZN2at6native12_GLOBAL__N_135GammaBetaBackwardCUDAKernelTemplateIN3c108BFloat16EfLj64ELj16ELj256ELb0ELb0ELb0EEEvllPKT_S7_PKT0_SA_PS5_SB_
    .private_segment_fixed_size: 0
    .sgpr_count:     50
    .sgpr_spill_count: 0
    .symbol:         _ZN2at6native12_GLOBAL__N_135GammaBetaBackwardCUDAKernelTemplateIN3c108BFloat16EfLj64ELj16ELj256ELb0ELb0ELb0EEEvllPKT_S7_PKT0_SA_PS5_SB_.kd
    .uniform_work_group_size: 1
    .uses_dynamic_stack: false
    .vgpr_count:     187
    .vgpr_spill_count: 0
    .wavefront_size: 32
    .workgroup_processor_mode: 1
  - .args:
      - .offset:         0
        .size:           8
        .value_kind:     by_value
      - .offset:         8
        .size:           8
        .value_kind:     by_value
      - .actual_access:  read_only
        .address_space:  global
        .offset:         16
        .size:           8
        .value_kind:     global_buffer
      - .actual_access:  read_only
        .address_space:  global
        .offset:         24
        .size:           8
        .value_kind:     global_buffer
      - .actual_access:  read_only
        .address_space:  global
        .offset:         32
        .size:           8
        .value_kind:     global_buffer
      - .actual_access:  read_only
        .address_space:  global
        .offset:         40
        .size:           8
        .value_kind:     global_buffer
      - .actual_access:  write_only
        .address_space:  global
        .offset:         48
        .size:           8
        .value_kind:     global_buffer
      - .actual_access:  write_only
        .address_space:  global
        .offset:         56
        .size:           8
        .value_kind:     global_buffer
      - .offset:         64
        .size:           4
        .value_kind:     hidden_block_count_x
      - .offset:         68
        .size:           4
        .value_kind:     hidden_block_count_y
      - .offset:         72
        .size:           4
        .value_kind:     hidden_block_count_z
      - .offset:         76
        .size:           2
        .value_kind:     hidden_group_size_x
      - .offset:         78
        .size:           2
        .value_kind:     hidden_group_size_y
      - .offset:         80
        .size:           2
        .value_kind:     hidden_group_size_z
      - .offset:         82
        .size:           2
        .value_kind:     hidden_remainder_x
      - .offset:         84
        .size:           2
        .value_kind:     hidden_remainder_y
      - .offset:         86
        .size:           2
        .value_kind:     hidden_remainder_z
      - .offset:         104
        .size:           8
        .value_kind:     hidden_global_offset_x
      - .offset:         112
        .size:           8
        .value_kind:     hidden_global_offset_y
      - .offset:         120
        .size:           8
        .value_kind:     hidden_global_offset_z
      - .offset:         128
        .size:           2
        .value_kind:     hidden_grid_dims
    .group_segment_fixed_size: 0
    .kernarg_segment_align: 8
    .kernarg_segment_size: 320
    .language:       OpenCL C
    .language_version:
      - 2
      - 0
    .max_flat_workgroup_size: 32
    .name:           _ZN2at6native12_GLOBAL__N_135GammaBetaBackwardCUDAKernelTemplateIN3c108BFloat16EfLj32ELj1ELj32ELb1ELb1ELb0EEEvllPKT_S7_PKT0_SA_PS5_SB_
    .private_segment_fixed_size: 0
    .sgpr_count:     34
    .sgpr_spill_count: 0
    .symbol:         _ZN2at6native12_GLOBAL__N_135GammaBetaBackwardCUDAKernelTemplateIN3c108BFloat16EfLj32ELj1ELj32ELb1ELb1ELb0EEEvllPKT_S7_PKT0_SA_PS5_SB_.kd
    .uniform_work_group_size: 1
    .uses_dynamic_stack: false
    .vgpr_count:     115
    .vgpr_spill_count: 0
    .wavefront_size: 32
    .workgroup_processor_mode: 1
  - .args:
      - .offset:         0
        .size:           8
        .value_kind:     by_value
      - .offset:         8
        .size:           8
        .value_kind:     by_value
      - .actual_access:  read_only
        .address_space:  global
        .offset:         16
        .size:           8
        .value_kind:     global_buffer
      - .actual_access:  read_only
        .address_space:  global
        .offset:         24
        .size:           8
        .value_kind:     global_buffer
      - .actual_access:  read_only
        .address_space:  global
        .offset:         32
        .size:           8
        .value_kind:     global_buffer
      - .actual_access:  read_only
        .address_space:  global
        .offset:         40
        .size:           8
        .value_kind:     global_buffer
      - .actual_access:  write_only
        .address_space:  global
        .offset:         48
        .size:           8
        .value_kind:     global_buffer
      - .actual_access:  write_only
        .address_space:  global
        .offset:         56
        .size:           8
        .value_kind:     global_buffer
      - .offset:         64
        .size:           4
        .value_kind:     hidden_block_count_x
      - .offset:         68
        .size:           4
        .value_kind:     hidden_block_count_y
      - .offset:         72
        .size:           4
        .value_kind:     hidden_block_count_z
      - .offset:         76
        .size:           2
        .value_kind:     hidden_group_size_x
      - .offset:         78
        .size:           2
        .value_kind:     hidden_group_size_y
      - .offset:         80
        .size:           2
        .value_kind:     hidden_group_size_z
      - .offset:         82
        .size:           2
        .value_kind:     hidden_remainder_x
      - .offset:         84
        .size:           2
        .value_kind:     hidden_remainder_y
      - .offset:         86
        .size:           2
        .value_kind:     hidden_remainder_z
      - .offset:         104
        .size:           8
        .value_kind:     hidden_global_offset_x
      - .offset:         112
        .size:           8
        .value_kind:     hidden_global_offset_y
      - .offset:         120
        .size:           8
        .value_kind:     hidden_global_offset_z
      - .offset:         128
        .size:           2
        .value_kind:     hidden_grid_dims
    .group_segment_fixed_size: 0
    .kernarg_segment_align: 8
    .kernarg_segment_size: 320
    .language:       OpenCL C
    .language_version:
      - 2
      - 0
    .max_flat_workgroup_size: 32
    .name:           _ZN2at6native12_GLOBAL__N_135GammaBetaBackwardCUDAKernelTemplateIN3c108BFloat16EfLj32ELj1ELj32ELb1ELb0ELb0EEEvllPKT_S7_PKT0_SA_PS5_SB_
    .private_segment_fixed_size: 312
    .sgpr_count:     38
    .sgpr_spill_count: 0
    .symbol:         _ZN2at6native12_GLOBAL__N_135GammaBetaBackwardCUDAKernelTemplateIN3c108BFloat16EfLj32ELj1ELj32ELb1ELb0ELb0EEEvllPKT_S7_PKT0_SA_PS5_SB_.kd
    .uniform_work_group_size: 1
    .uses_dynamic_stack: false
    .vgpr_count:     256
    .vgpr_spill_count: 150
    .wavefront_size: 32
    .workgroup_processor_mode: 1
  - .args:
      - .offset:         0
        .size:           8
        .value_kind:     by_value
      - .offset:         8
        .size:           8
        .value_kind:     by_value
      - .actual_access:  read_only
        .address_space:  global
        .offset:         16
        .size:           8
        .value_kind:     global_buffer
      - .actual_access:  read_only
        .address_space:  global
        .offset:         24
        .size:           8
        .value_kind:     global_buffer
      - .actual_access:  read_only
        .address_space:  global
        .offset:         32
        .size:           8
        .value_kind:     global_buffer
      - .actual_access:  read_only
        .address_space:  global
        .offset:         40
        .size:           8
        .value_kind:     global_buffer
      - .actual_access:  write_only
        .address_space:  global
        .offset:         48
        .size:           8
        .value_kind:     global_buffer
      - .actual_access:  write_only
        .address_space:  global
        .offset:         56
        .size:           8
        .value_kind:     global_buffer
      - .offset:         64
        .size:           4
        .value_kind:     hidden_block_count_x
      - .offset:         68
        .size:           4
        .value_kind:     hidden_block_count_y
      - .offset:         72
        .size:           4
        .value_kind:     hidden_block_count_z
      - .offset:         76
        .size:           2
        .value_kind:     hidden_group_size_x
      - .offset:         78
        .size:           2
        .value_kind:     hidden_group_size_y
      - .offset:         80
        .size:           2
        .value_kind:     hidden_group_size_z
      - .offset:         82
        .size:           2
        .value_kind:     hidden_remainder_x
      - .offset:         84
        .size:           2
        .value_kind:     hidden_remainder_y
      - .offset:         86
        .size:           2
        .value_kind:     hidden_remainder_z
      - .offset:         104
        .size:           8
        .value_kind:     hidden_global_offset_x
      - .offset:         112
        .size:           8
        .value_kind:     hidden_global_offset_y
      - .offset:         120
        .size:           8
        .value_kind:     hidden_global_offset_z
      - .offset:         128
        .size:           2
        .value_kind:     hidden_grid_dims
    .group_segment_fixed_size: 0
    .kernarg_segment_align: 8
    .kernarg_segment_size: 320
    .language:       OpenCL C
    .language_version:
      - 2
      - 0
    .max_flat_workgroup_size: 32
    .name:           _ZN2at6native12_GLOBAL__N_135GammaBetaBackwardCUDAKernelTemplateIN3c108BFloat16EfLj32ELj1ELj8ELb1ELb1ELb0EEEvllPKT_S7_PKT0_SA_PS5_SB_
    .private_segment_fixed_size: 0
    .sgpr_count:     38
    .sgpr_spill_count: 0
    .symbol:         _ZN2at6native12_GLOBAL__N_135GammaBetaBackwardCUDAKernelTemplateIN3c108BFloat16EfLj32ELj1ELj8ELb1ELb1ELb0EEEvllPKT_S7_PKT0_SA_PS5_SB_.kd
    .uniform_work_group_size: 1
    .uses_dynamic_stack: false
    .vgpr_count:     50
    .vgpr_spill_count: 0
    .wavefront_size: 32
    .workgroup_processor_mode: 1
  - .args:
      - .offset:         0
        .size:           8
        .value_kind:     by_value
      - .offset:         8
        .size:           8
        .value_kind:     by_value
      - .actual_access:  read_only
        .address_space:  global
        .offset:         16
        .size:           8
        .value_kind:     global_buffer
      - .actual_access:  read_only
        .address_space:  global
        .offset:         24
        .size:           8
        .value_kind:     global_buffer
      - .actual_access:  read_only
        .address_space:  global
        .offset:         32
        .size:           8
        .value_kind:     global_buffer
      - .actual_access:  read_only
        .address_space:  global
        .offset:         40
        .size:           8
        .value_kind:     global_buffer
      - .actual_access:  write_only
        .address_space:  global
        .offset:         48
        .size:           8
        .value_kind:     global_buffer
      - .actual_access:  write_only
        .address_space:  global
        .offset:         56
        .size:           8
        .value_kind:     global_buffer
      - .offset:         64
        .size:           4
        .value_kind:     hidden_block_count_x
      - .offset:         68
        .size:           4
        .value_kind:     hidden_block_count_y
      - .offset:         72
        .size:           4
        .value_kind:     hidden_block_count_z
      - .offset:         76
        .size:           2
        .value_kind:     hidden_group_size_x
      - .offset:         78
        .size:           2
        .value_kind:     hidden_group_size_y
      - .offset:         80
        .size:           2
        .value_kind:     hidden_group_size_z
      - .offset:         82
        .size:           2
        .value_kind:     hidden_remainder_x
      - .offset:         84
        .size:           2
        .value_kind:     hidden_remainder_y
      - .offset:         86
        .size:           2
        .value_kind:     hidden_remainder_z
      - .offset:         104
        .size:           8
        .value_kind:     hidden_global_offset_x
      - .offset:         112
        .size:           8
        .value_kind:     hidden_global_offset_y
      - .offset:         120
        .size:           8
        .value_kind:     hidden_global_offset_z
      - .offset:         128
        .size:           2
        .value_kind:     hidden_grid_dims
    .group_segment_fixed_size: 0
    .kernarg_segment_align: 8
    .kernarg_segment_size: 320
    .language:       OpenCL C
    .language_version:
      - 2
      - 0
    .max_flat_workgroup_size: 32
    .name:           _ZN2at6native12_GLOBAL__N_135GammaBetaBackwardCUDAKernelTemplateIN3c108BFloat16EfLj32ELj1ELj8ELb1ELb0ELb0EEEvllPKT_S7_PKT0_SA_PS5_SB_
    .private_segment_fixed_size: 0
    .sgpr_count:     43
    .sgpr_spill_count: 0
    .symbol:         _ZN2at6native12_GLOBAL__N_135GammaBetaBackwardCUDAKernelTemplateIN3c108BFloat16EfLj32ELj1ELj8ELb1ELb0ELb0EEEvllPKT_S7_PKT0_SA_PS5_SB_.kd
    .uniform_work_group_size: 1
    .uses_dynamic_stack: false
    .vgpr_count:     101
    .vgpr_spill_count: 0
    .wavefront_size: 32
    .workgroup_processor_mode: 1
  - .args:
      - .offset:         0
        .size:           8
        .value_kind:     by_value
      - .offset:         8
        .size:           8
        .value_kind:     by_value
      - .actual_access:  read_only
        .address_space:  global
        .offset:         16
        .size:           8
        .value_kind:     global_buffer
      - .actual_access:  read_only
        .address_space:  global
        .offset:         24
        .size:           8
        .value_kind:     global_buffer
      - .actual_access:  read_only
        .address_space:  global
        .offset:         32
        .size:           8
        .value_kind:     global_buffer
      - .actual_access:  read_only
        .address_space:  global
        .offset:         40
        .size:           8
        .value_kind:     global_buffer
      - .actual_access:  write_only
        .address_space:  global
        .offset:         48
        .size:           8
        .value_kind:     global_buffer
      - .actual_access:  write_only
        .address_space:  global
        .offset:         56
        .size:           8
        .value_kind:     global_buffer
      - .offset:         64
        .size:           4
        .value_kind:     hidden_block_count_x
      - .offset:         68
        .size:           4
        .value_kind:     hidden_block_count_y
      - .offset:         72
        .size:           4
        .value_kind:     hidden_block_count_z
      - .offset:         76
        .size:           2
        .value_kind:     hidden_group_size_x
      - .offset:         78
        .size:           2
        .value_kind:     hidden_group_size_y
      - .offset:         80
        .size:           2
        .value_kind:     hidden_group_size_z
      - .offset:         82
        .size:           2
        .value_kind:     hidden_remainder_x
      - .offset:         84
        .size:           2
        .value_kind:     hidden_remainder_y
      - .offset:         86
        .size:           2
        .value_kind:     hidden_remainder_z
      - .offset:         104
        .size:           8
        .value_kind:     hidden_global_offset_x
      - .offset:         112
        .size:           8
        .value_kind:     hidden_global_offset_y
      - .offset:         120
        .size:           8
        .value_kind:     hidden_global_offset_z
      - .offset:         128
        .size:           2
        .value_kind:     hidden_grid_dims
      - .offset:         184
        .size:           4
        .value_kind:     hidden_dynamic_lds_size
    .group_segment_fixed_size: 0
    .kernarg_segment_align: 8
    .kernarg_segment_size: 320
    .language:       OpenCL C
    .language_version:
      - 2
      - 0
    .max_flat_workgroup_size: 256
    .name:           _ZN2at6native12_GLOBAL__N_135GammaBetaBackwardCUDAKernelTemplateIN3c108BFloat16EfLj32ELj8ELj64ELb0ELb1ELb0EEEvllPKT_S7_PKT0_SA_PS5_SB_
    .private_segment_fixed_size: 0
    .sgpr_count:     30
    .sgpr_spill_count: 0
    .symbol:         _ZN2at6native12_GLOBAL__N_135GammaBetaBackwardCUDAKernelTemplateIN3c108BFloat16EfLj32ELj8ELj64ELb0ELb1ELb0EEEvllPKT_S7_PKT0_SA_PS5_SB_.kd
    .uniform_work_group_size: 1
    .uses_dynamic_stack: false
    .vgpr_count:     50
    .vgpr_spill_count: 0
    .wavefront_size: 32
    .workgroup_processor_mode: 1
  - .args:
      - .offset:         0
        .size:           8
        .value_kind:     by_value
      - .offset:         8
        .size:           8
        .value_kind:     by_value
      - .actual_access:  read_only
        .address_space:  global
        .offset:         16
        .size:           8
        .value_kind:     global_buffer
      - .actual_access:  read_only
        .address_space:  global
        .offset:         24
        .size:           8
        .value_kind:     global_buffer
      - .actual_access:  read_only
        .address_space:  global
        .offset:         32
        .size:           8
        .value_kind:     global_buffer
      - .actual_access:  read_only
        .address_space:  global
        .offset:         40
        .size:           8
        .value_kind:     global_buffer
      - .actual_access:  write_only
        .address_space:  global
        .offset:         48
        .size:           8
        .value_kind:     global_buffer
      - .actual_access:  write_only
        .address_space:  global
        .offset:         56
        .size:           8
        .value_kind:     global_buffer
      - .offset:         64
        .size:           4
        .value_kind:     hidden_block_count_x
      - .offset:         68
        .size:           4
        .value_kind:     hidden_block_count_y
      - .offset:         72
        .size:           4
        .value_kind:     hidden_block_count_z
      - .offset:         76
        .size:           2
        .value_kind:     hidden_group_size_x
      - .offset:         78
        .size:           2
        .value_kind:     hidden_group_size_y
      - .offset:         80
        .size:           2
        .value_kind:     hidden_group_size_z
      - .offset:         82
        .size:           2
        .value_kind:     hidden_remainder_x
      - .offset:         84
        .size:           2
        .value_kind:     hidden_remainder_y
      - .offset:         86
        .size:           2
        .value_kind:     hidden_remainder_z
      - .offset:         104
        .size:           8
        .value_kind:     hidden_global_offset_x
      - .offset:         112
        .size:           8
        .value_kind:     hidden_global_offset_y
      - .offset:         120
        .size:           8
        .value_kind:     hidden_global_offset_z
      - .offset:         128
        .size:           2
        .value_kind:     hidden_grid_dims
      - .offset:         184
        .size:           4
        .value_kind:     hidden_dynamic_lds_size
    .group_segment_fixed_size: 0
    .kernarg_segment_align: 8
    .kernarg_segment_size: 320
    .language:       OpenCL C
    .language_version:
      - 2
      - 0
    .max_flat_workgroup_size: 256
    .name:           _ZN2at6native12_GLOBAL__N_135GammaBetaBackwardCUDAKernelTemplateIN3c108BFloat16EfLj32ELj8ELj64ELb0ELb0ELb0EEEvllPKT_S7_PKT0_SA_PS5_SB_
    .private_segment_fixed_size: 0
    .sgpr_count:     42
    .sgpr_spill_count: 0
    .symbol:         _ZN2at6native12_GLOBAL__N_135GammaBetaBackwardCUDAKernelTemplateIN3c108BFloat16EfLj32ELj8ELj64ELb0ELb0ELb0EEEvllPKT_S7_PKT0_SA_PS5_SB_.kd
    .uniform_work_group_size: 1
    .uses_dynamic_stack: false
    .vgpr_count:     96
    .vgpr_spill_count: 0
    .wavefront_size: 32
    .workgroup_processor_mode: 1
  - .args:
      - .offset:         0
        .size:           8
        .value_kind:     by_value
      - .offset:         8
        .size:           8
        .value_kind:     by_value
      - .actual_access:  read_only
        .address_space:  global
        .offset:         16
        .size:           8
        .value_kind:     global_buffer
      - .actual_access:  read_only
        .address_space:  global
        .offset:         24
        .size:           8
        .value_kind:     global_buffer
      - .actual_access:  read_only
        .address_space:  global
        .offset:         32
        .size:           8
        .value_kind:     global_buffer
      - .actual_access:  read_only
        .address_space:  global
        .offset:         40
        .size:           8
        .value_kind:     global_buffer
      - .actual_access:  write_only
        .address_space:  global
        .offset:         48
        .size:           8
        .value_kind:     global_buffer
      - .actual_access:  write_only
        .address_space:  global
        .offset:         56
        .size:           8
        .value_kind:     global_buffer
      - .offset:         64
        .size:           4
        .value_kind:     hidden_block_count_x
      - .offset:         68
        .size:           4
        .value_kind:     hidden_block_count_y
      - .offset:         72
        .size:           4
        .value_kind:     hidden_block_count_z
      - .offset:         76
        .size:           2
        .value_kind:     hidden_group_size_x
      - .offset:         78
        .size:           2
        .value_kind:     hidden_group_size_y
      - .offset:         80
        .size:           2
        .value_kind:     hidden_group_size_z
      - .offset:         82
        .size:           2
        .value_kind:     hidden_remainder_x
      - .offset:         84
        .size:           2
        .value_kind:     hidden_remainder_y
      - .offset:         86
        .size:           2
        .value_kind:     hidden_remainder_z
      - .offset:         104
        .size:           8
        .value_kind:     hidden_global_offset_x
      - .offset:         112
        .size:           8
        .value_kind:     hidden_global_offset_y
      - .offset:         120
        .size:           8
        .value_kind:     hidden_global_offset_z
      - .offset:         128
        .size:           2
        .value_kind:     hidden_grid_dims
      - .offset:         184
        .size:           4
        .value_kind:     hidden_dynamic_lds_size
    .group_segment_fixed_size: 0
    .kernarg_segment_align: 8
    .kernarg_segment_size: 320
    .language:       OpenCL C
    .language_version:
      - 2
      - 0
    .max_flat_workgroup_size: 512
    .name:           _ZN2at6native12_GLOBAL__N_135GammaBetaBackwardCUDAKernelTemplateIN3c108BFloat16EfLj32ELj16ELj128ELb0ELb1ELb0EEEvllPKT_S7_PKT0_SA_PS5_SB_
    .private_segment_fixed_size: 0
    .sgpr_count:     30
    .sgpr_spill_count: 0
    .symbol:         _ZN2at6native12_GLOBAL__N_135GammaBetaBackwardCUDAKernelTemplateIN3c108BFloat16EfLj32ELj16ELj128ELb0ELb1ELb0EEEvllPKT_S7_PKT0_SA_PS5_SB_.kd
    .uniform_work_group_size: 1
    .uses_dynamic_stack: false
    .vgpr_count:     50
    .vgpr_spill_count: 0
    .wavefront_size: 32
    .workgroup_processor_mode: 1
  - .args:
      - .offset:         0
        .size:           8
        .value_kind:     by_value
      - .offset:         8
        .size:           8
        .value_kind:     by_value
      - .actual_access:  read_only
        .address_space:  global
        .offset:         16
        .size:           8
        .value_kind:     global_buffer
      - .actual_access:  read_only
        .address_space:  global
        .offset:         24
        .size:           8
        .value_kind:     global_buffer
      - .actual_access:  read_only
        .address_space:  global
        .offset:         32
        .size:           8
        .value_kind:     global_buffer
      - .actual_access:  read_only
        .address_space:  global
        .offset:         40
        .size:           8
        .value_kind:     global_buffer
      - .actual_access:  write_only
        .address_space:  global
        .offset:         48
        .size:           8
        .value_kind:     global_buffer
      - .actual_access:  write_only
        .address_space:  global
        .offset:         56
        .size:           8
        .value_kind:     global_buffer
      - .offset:         64
        .size:           4
        .value_kind:     hidden_block_count_x
      - .offset:         68
        .size:           4
        .value_kind:     hidden_block_count_y
      - .offset:         72
        .size:           4
        .value_kind:     hidden_block_count_z
      - .offset:         76
        .size:           2
        .value_kind:     hidden_group_size_x
      - .offset:         78
        .size:           2
        .value_kind:     hidden_group_size_y
      - .offset:         80
        .size:           2
        .value_kind:     hidden_group_size_z
      - .offset:         82
        .size:           2
        .value_kind:     hidden_remainder_x
      - .offset:         84
        .size:           2
        .value_kind:     hidden_remainder_y
      - .offset:         86
        .size:           2
        .value_kind:     hidden_remainder_z
      - .offset:         104
        .size:           8
        .value_kind:     hidden_global_offset_x
      - .offset:         112
        .size:           8
        .value_kind:     hidden_global_offset_y
      - .offset:         120
        .size:           8
        .value_kind:     hidden_global_offset_z
      - .offset:         128
        .size:           2
        .value_kind:     hidden_grid_dims
      - .offset:         184
        .size:           4
        .value_kind:     hidden_dynamic_lds_size
    .group_segment_fixed_size: 0
    .kernarg_segment_align: 8
    .kernarg_segment_size: 320
    .language:       OpenCL C
    .language_version:
      - 2
      - 0
    .max_flat_workgroup_size: 512
    .name:           _ZN2at6native12_GLOBAL__N_135GammaBetaBackwardCUDAKernelTemplateIN3c108BFloat16EfLj32ELj16ELj128ELb0ELb0ELb0EEEvllPKT_S7_PKT0_SA_PS5_SB_
    .private_segment_fixed_size: 0
    .sgpr_count:     42
    .sgpr_spill_count: 0
    .symbol:         _ZN2at6native12_GLOBAL__N_135GammaBetaBackwardCUDAKernelTemplateIN3c108BFloat16EfLj32ELj16ELj128ELb0ELb0ELb0EEEvllPKT_S7_PKT0_SA_PS5_SB_.kd
    .uniform_work_group_size: 1
    .uses_dynamic_stack: false
    .vgpr_count:     96
    .vgpr_spill_count: 0
    .wavefront_size: 32
    .workgroup_processor_mode: 1
  - .args:
      - .offset:         0
        .size:           8
        .value_kind:     by_value
      - .offset:         8
        .size:           8
        .value_kind:     by_value
      - .actual_access:  read_only
        .address_space:  global
        .offset:         16
        .size:           8
        .value_kind:     global_buffer
      - .actual_access:  read_only
        .address_space:  global
        .offset:         24
        .size:           8
        .value_kind:     global_buffer
      - .actual_access:  read_only
        .address_space:  global
        .offset:         32
        .size:           8
        .value_kind:     global_buffer
      - .actual_access:  read_only
        .address_space:  global
        .offset:         40
        .size:           8
        .value_kind:     global_buffer
      - .actual_access:  write_only
        .address_space:  global
        .offset:         48
        .size:           8
        .value_kind:     global_buffer
      - .actual_access:  write_only
        .address_space:  global
        .offset:         56
        .size:           8
        .value_kind:     global_buffer
      - .offset:         64
        .size:           4
        .value_kind:     hidden_block_count_x
      - .offset:         68
        .size:           4
        .value_kind:     hidden_block_count_y
      - .offset:         72
        .size:           4
        .value_kind:     hidden_block_count_z
      - .offset:         76
        .size:           2
        .value_kind:     hidden_group_size_x
      - .offset:         78
        .size:           2
        .value_kind:     hidden_group_size_y
      - .offset:         80
        .size:           2
        .value_kind:     hidden_group_size_z
      - .offset:         82
        .size:           2
        .value_kind:     hidden_remainder_x
      - .offset:         84
        .size:           2
        .value_kind:     hidden_remainder_y
      - .offset:         86
        .size:           2
        .value_kind:     hidden_remainder_z
      - .offset:         104
        .size:           8
        .value_kind:     hidden_global_offset_x
      - .offset:         112
        .size:           8
        .value_kind:     hidden_global_offset_y
      - .offset:         120
        .size:           8
        .value_kind:     hidden_global_offset_z
      - .offset:         128
        .size:           2
        .value_kind:     hidden_grid_dims
      - .offset:         184
        .size:           4
        .value_kind:     hidden_dynamic_lds_size
    .group_segment_fixed_size: 0
    .kernarg_segment_align: 8
    .kernarg_segment_size: 320
    .language:       OpenCL C
    .language_version:
      - 2
      - 0
    .max_flat_workgroup_size: 1024
    .name:           _ZN2at6native12_GLOBAL__N_135GammaBetaBackwardCUDAKernelTemplateIN3c108BFloat16EfLj32ELj32ELj256ELb0ELb1ELb0EEEvllPKT_S7_PKT0_SA_PS5_SB_
    .private_segment_fixed_size: 0
    .sgpr_count:     30
    .sgpr_spill_count: 0
    .symbol:         _ZN2at6native12_GLOBAL__N_135GammaBetaBackwardCUDAKernelTemplateIN3c108BFloat16EfLj32ELj32ELj256ELb0ELb1ELb0EEEvllPKT_S7_PKT0_SA_PS5_SB_.kd
    .uniform_work_group_size: 1
    .uses_dynamic_stack: false
    .vgpr_count:     50
    .vgpr_spill_count: 0
    .wavefront_size: 32
    .workgroup_processor_mode: 1
  - .args:
      - .offset:         0
        .size:           8
        .value_kind:     by_value
      - .offset:         8
        .size:           8
        .value_kind:     by_value
      - .actual_access:  read_only
        .address_space:  global
        .offset:         16
        .size:           8
        .value_kind:     global_buffer
      - .actual_access:  read_only
        .address_space:  global
        .offset:         24
        .size:           8
        .value_kind:     global_buffer
      - .actual_access:  read_only
        .address_space:  global
        .offset:         32
        .size:           8
        .value_kind:     global_buffer
      - .actual_access:  read_only
        .address_space:  global
        .offset:         40
        .size:           8
        .value_kind:     global_buffer
      - .actual_access:  write_only
        .address_space:  global
        .offset:         48
        .size:           8
        .value_kind:     global_buffer
      - .actual_access:  write_only
        .address_space:  global
        .offset:         56
        .size:           8
        .value_kind:     global_buffer
      - .offset:         64
        .size:           4
        .value_kind:     hidden_block_count_x
      - .offset:         68
        .size:           4
        .value_kind:     hidden_block_count_y
      - .offset:         72
        .size:           4
        .value_kind:     hidden_block_count_z
      - .offset:         76
        .size:           2
        .value_kind:     hidden_group_size_x
      - .offset:         78
        .size:           2
        .value_kind:     hidden_group_size_y
      - .offset:         80
        .size:           2
        .value_kind:     hidden_group_size_z
      - .offset:         82
        .size:           2
        .value_kind:     hidden_remainder_x
      - .offset:         84
        .size:           2
        .value_kind:     hidden_remainder_y
      - .offset:         86
        .size:           2
        .value_kind:     hidden_remainder_z
      - .offset:         104
        .size:           8
        .value_kind:     hidden_global_offset_x
      - .offset:         112
        .size:           8
        .value_kind:     hidden_global_offset_y
      - .offset:         120
        .size:           8
        .value_kind:     hidden_global_offset_z
      - .offset:         128
        .size:           2
        .value_kind:     hidden_grid_dims
      - .offset:         184
        .size:           4
        .value_kind:     hidden_dynamic_lds_size
    .group_segment_fixed_size: 0
    .kernarg_segment_align: 8
    .kernarg_segment_size: 320
    .language:       OpenCL C
    .language_version:
      - 2
      - 0
    .max_flat_workgroup_size: 1024
    .name:           _ZN2at6native12_GLOBAL__N_135GammaBetaBackwardCUDAKernelTemplateIN3c108BFloat16EfLj32ELj32ELj256ELb0ELb0ELb0EEEvllPKT_S7_PKT0_SA_PS5_SB_
    .private_segment_fixed_size: 0
    .sgpr_count:     42
    .sgpr_spill_count: 0
    .symbol:         _ZN2at6native12_GLOBAL__N_135GammaBetaBackwardCUDAKernelTemplateIN3c108BFloat16EfLj32ELj32ELj256ELb0ELb0ELb0EEEvllPKT_S7_PKT0_SA_PS5_SB_.kd
    .uniform_work_group_size: 1
    .uses_dynamic_stack: false
    .vgpr_count:     96
    .vgpr_spill_count: 0
    .wavefront_size: 32
    .workgroup_processor_mode: 1
  - .args:
      - .actual_access:  read_only
        .address_space:  global
        .offset:         0
        .size:           8
        .value_kind:     global_buffer
      - .actual_access:  read_only
        .address_space:  global
        .offset:         8
        .size:           8
        .value_kind:     global_buffer
      - .offset:         16
        .size:           8
        .value_kind:     by_value
      - .offset:         24
        .size:           8
        .value_kind:     by_value
      - .actual_access:  read_only
        .address_space:  global
        .offset:         32
        .size:           8
        .value_kind:     global_buffer
      - .actual_access:  read_only
        .address_space:  global
        .offset:         40
        .size:           8
        .value_kind:     global_buffer
      - .address_space:  global
        .offset:         48
        .size:           8
        .value_kind:     global_buffer
      - .address_space:  global
        .offset:         56
        .size:           8
        .value_kind:     global_buffer
      - .offset:         64
        .size:           4
        .value_kind:     hidden_block_count_x
      - .offset:         68
        .size:           4
        .value_kind:     hidden_block_count_y
      - .offset:         72
        .size:           4
        .value_kind:     hidden_block_count_z
      - .offset:         76
        .size:           2
        .value_kind:     hidden_group_size_x
      - .offset:         78
        .size:           2
        .value_kind:     hidden_group_size_y
      - .offset:         80
        .size:           2
        .value_kind:     hidden_group_size_z
      - .offset:         82
        .size:           2
        .value_kind:     hidden_remainder_x
      - .offset:         84
        .size:           2
        .value_kind:     hidden_remainder_y
      - .offset:         86
        .size:           2
        .value_kind:     hidden_remainder_z
      - .offset:         104
        .size:           8
        .value_kind:     hidden_global_offset_x
      - .offset:         112
        .size:           8
        .value_kind:     hidden_global_offset_y
      - .offset:         120
        .size:           8
        .value_kind:     hidden_global_offset_z
      - .offset:         128
        .size:           2
        .value_kind:     hidden_grid_dims
      - .offset:         184
        .size:           4
        .value_kind:     hidden_dynamic_lds_size
    .group_segment_fixed_size: 0
    .kernarg_segment_align: 8
    .kernarg_segment_size: 320
    .language:       OpenCL C
    .language_version:
      - 2
      - 0
    .max_flat_workgroup_size: 1024
    .name:           _ZN2at6native12_GLOBAL__N_118cuComputeGradInputIddLb1EEEvPKT_S5_llPKT0_S8_S5_PS3_
    .private_segment_fixed_size: 0
    .sgpr_count:     42
    .sgpr_spill_count: 0
    .symbol:         _ZN2at6native12_GLOBAL__N_118cuComputeGradInputIddLb1EEEvPKT_S5_llPKT0_S8_S5_PS3_.kd
    .uniform_work_group_size: 1
    .uses_dynamic_stack: false
    .vgpr_count:     28
    .vgpr_spill_count: 0
    .wavefront_size: 32
    .workgroup_processor_mode: 1
  - .args:
      - .actual_access:  read_only
        .address_space:  global
        .offset:         0
        .size:           8
        .value_kind:     global_buffer
      - .actual_access:  read_only
        .address_space:  global
        .offset:         8
        .size:           8
        .value_kind:     global_buffer
      - .actual_access:  read_only
        .address_space:  global
        .offset:         16
        .size:           8
        .value_kind:     global_buffer
      - .actual_access:  read_only
        .address_space:  global
        .offset:         24
        .size:           8
        .value_kind:     global_buffer
      - .actual_access:  read_only
        .address_space:  global
        .offset:         32
        .size:           8
        .value_kind:     global_buffer
      - .address_space:  global
        .offset:         40
        .size:           8
        .value_kind:     global_buffer
      - .offset:         48
        .size:           4
        .value_kind:     by_value
      - .offset:         56
        .size:           4
        .value_kind:     hidden_block_count_x
      - .offset:         60
        .size:           4
        .value_kind:     hidden_block_count_y
      - .offset:         64
        .size:           4
        .value_kind:     hidden_block_count_z
      - .offset:         68
        .size:           2
        .value_kind:     hidden_group_size_x
      - .offset:         70
        .size:           2
        .value_kind:     hidden_group_size_y
      - .offset:         72
        .size:           2
        .value_kind:     hidden_group_size_z
      - .offset:         74
        .size:           2
        .value_kind:     hidden_remainder_x
      - .offset:         76
        .size:           2
        .value_kind:     hidden_remainder_y
      - .offset:         78
        .size:           2
        .value_kind:     hidden_remainder_z
      - .offset:         96
        .size:           8
        .value_kind:     hidden_global_offset_x
      - .offset:         104
        .size:           8
        .value_kind:     hidden_global_offset_y
      - .offset:         112
        .size:           8
        .value_kind:     hidden_global_offset_z
      - .offset:         120
        .size:           2
        .value_kind:     hidden_grid_dims
      - .offset:         176
        .size:           4
        .value_kind:     hidden_dynamic_lds_size
    .group_segment_fixed_size: 0
    .kernarg_segment_align: 8
    .kernarg_segment_size: 312
    .language:       OpenCL C
    .language_version:
      - 2
      - 0
    .max_flat_workgroup_size: 1024
    .name:           _ZN2at6native12_GLOBAL__N_128layer_norm_grad_input_kernelIddLb1EEEvPKT_S5_PKT0_S8_S5_PS3_i
    .private_segment_fixed_size: 0
    .sgpr_count:     29
    .sgpr_spill_count: 0
    .symbol:         _ZN2at6native12_GLOBAL__N_128layer_norm_grad_input_kernelIddLb1EEEvPKT_S5_PKT0_S8_S5_PS3_i.kd
    .uniform_work_group_size: 1
    .uses_dynamic_stack: false
    .vgpr_count:     31
    .vgpr_spill_count: 0
    .wavefront_size: 32
    .workgroup_processor_mode: 1
  - .args:
      - .offset:         0
        .size:           8
        .value_kind:     by_value
      - .offset:         8
        .size:           8
        .value_kind:     by_value
      - .address_space:  global
        .offset:         16
        .size:           8
        .value_kind:     global_buffer
      - .address_space:  global
        .offset:         24
        .size:           8
        .value_kind:     global_buffer
      - .address_space:  global
        .offset:         32
        .size:           8
        .value_kind:     global_buffer
      - .address_space:  global
        .offset:         40
        .size:           8
        .value_kind:     global_buffer
      - .address_space:  global
        .offset:         48
        .size:           8
        .value_kind:     global_buffer
      - .address_space:  global
        .offset:         56
        .size:           8
        .value_kind:     global_buffer
      - .offset:         64
        .size:           4
        .value_kind:     hidden_block_count_x
      - .offset:         68
        .size:           4
        .value_kind:     hidden_block_count_y
      - .offset:         72
        .size:           4
        .value_kind:     hidden_block_count_z
      - .offset:         76
        .size:           2
        .value_kind:     hidden_group_size_x
      - .offset:         78
        .size:           2
        .value_kind:     hidden_group_size_y
      - .offset:         80
        .size:           2
        .value_kind:     hidden_group_size_z
      - .offset:         82
        .size:           2
        .value_kind:     hidden_remainder_x
      - .offset:         84
        .size:           2
        .value_kind:     hidden_remainder_y
      - .offset:         86
        .size:           2
        .value_kind:     hidden_remainder_z
      - .offset:         104
        .size:           8
        .value_kind:     hidden_global_offset_x
      - .offset:         112
        .size:           8
        .value_kind:     hidden_global_offset_y
      - .offset:         120
        .size:           8
        .value_kind:     hidden_global_offset_z
      - .offset:         128
        .size:           2
        .value_kind:     hidden_grid_dims
    .group_segment_fixed_size: 0
    .kernarg_segment_align: 8
    .kernarg_segment_size: 320
    .language:       OpenCL C
    .language_version:
      - 2
      - 0
    .max_flat_workgroup_size: 1024
    .name:           _ZN2at6native12_GLOBAL__N_133GammaBetaBackwardSimpleCUDAKernelIddLb1EEEvllPKT_S5_PKT0_S8_PS3_S9_
    .private_segment_fixed_size: 0
    .sgpr_count:     18
    .sgpr_spill_count: 0
    .symbol:         _ZN2at6native12_GLOBAL__N_133GammaBetaBackwardSimpleCUDAKernelIddLb1EEEvllPKT_S5_PKT0_S8_PS3_S9_.kd
    .uniform_work_group_size: 1
    .uses_dynamic_stack: false
    .vgpr_count:     12
    .vgpr_spill_count: 0
    .wavefront_size: 32
    .workgroup_processor_mode: 1
  - .args:
      - .offset:         0
        .size:           8
        .value_kind:     by_value
      - .offset:         8
        .size:           8
        .value_kind:     by_value
      - .actual_access:  read_only
        .address_space:  global
        .offset:         16
        .size:           8
        .value_kind:     global_buffer
      - .actual_access:  read_only
        .address_space:  global
        .offset:         24
        .size:           8
        .value_kind:     global_buffer
      - .actual_access:  read_only
        .address_space:  global
        .offset:         32
        .size:           8
        .value_kind:     global_buffer
      - .actual_access:  read_only
        .address_space:  global
        .offset:         40
        .size:           8
        .value_kind:     global_buffer
      - .actual_access:  write_only
        .address_space:  global
        .offset:         48
        .size:           8
        .value_kind:     global_buffer
      - .actual_access:  read_only
        .address_space:  global
        .offset:         56
        .size:           8
        .value_kind:     global_buffer
      - .offset:         64
        .size:           4
        .value_kind:     hidden_block_count_x
      - .offset:         68
        .size:           4
        .value_kind:     hidden_block_count_y
      - .offset:         72
        .size:           4
        .value_kind:     hidden_block_count_z
      - .offset:         76
        .size:           2
        .value_kind:     hidden_group_size_x
      - .offset:         78
        .size:           2
        .value_kind:     hidden_group_size_y
      - .offset:         80
        .size:           2
        .value_kind:     hidden_group_size_z
      - .offset:         82
        .size:           2
        .value_kind:     hidden_remainder_x
      - .offset:         84
        .size:           2
        .value_kind:     hidden_remainder_y
      - .offset:         86
        .size:           2
        .value_kind:     hidden_remainder_z
      - .offset:         104
        .size:           8
        .value_kind:     hidden_global_offset_x
      - .offset:         112
        .size:           8
        .value_kind:     hidden_global_offset_y
      - .offset:         120
        .size:           8
        .value_kind:     hidden_global_offset_z
      - .offset:         128
        .size:           2
        .value_kind:     hidden_grid_dims
    .group_segment_fixed_size: 0
    .kernarg_segment_align: 8
    .kernarg_segment_size: 320
    .language:       OpenCL C
    .language_version:
      - 2
      - 0
    .max_flat_workgroup_size: 64
    .name:           _ZN2at6native12_GLOBAL__N_135GammaBetaBackwardCUDAKernelTemplateIddLj64ELj1ELj32ELb1ELb1ELb1EEEvllPKT_S5_PKT0_S8_PS3_S9_
    .private_segment_fixed_size: 0
    .sgpr_count:     26
    .sgpr_spill_count: 0
    .symbol:         _ZN2at6native12_GLOBAL__N_135GammaBetaBackwardCUDAKernelTemplateIddLj64ELj1ELj32ELb1ELb1ELb1EEEvllPKT_S5_PKT0_S8_PS3_S9_.kd
    .uniform_work_group_size: 1
    .uses_dynamic_stack: false
    .vgpr_count:     90
    .vgpr_spill_count: 0
    .wavefront_size: 32
    .workgroup_processor_mode: 1
  - .args:
      - .offset:         0
        .size:           8
        .value_kind:     by_value
      - .offset:         8
        .size:           8
        .value_kind:     by_value
      - .actual_access:  read_only
        .address_space:  global
        .offset:         16
        .size:           8
        .value_kind:     global_buffer
      - .actual_access:  read_only
        .address_space:  global
        .offset:         24
        .size:           8
        .value_kind:     global_buffer
      - .actual_access:  read_only
        .address_space:  global
        .offset:         32
        .size:           8
        .value_kind:     global_buffer
      - .actual_access:  read_only
        .address_space:  global
        .offset:         40
        .size:           8
        .value_kind:     global_buffer
      - .actual_access:  write_only
        .address_space:  global
        .offset:         48
        .size:           8
        .value_kind:     global_buffer
      - .actual_access:  read_only
        .address_space:  global
        .offset:         56
        .size:           8
        .value_kind:     global_buffer
      - .offset:         64
        .size:           4
        .value_kind:     hidden_block_count_x
      - .offset:         68
        .size:           4
        .value_kind:     hidden_block_count_y
      - .offset:         72
        .size:           4
        .value_kind:     hidden_block_count_z
      - .offset:         76
        .size:           2
        .value_kind:     hidden_group_size_x
      - .offset:         78
        .size:           2
        .value_kind:     hidden_group_size_y
      - .offset:         80
        .size:           2
        .value_kind:     hidden_group_size_z
      - .offset:         82
        .size:           2
        .value_kind:     hidden_remainder_x
      - .offset:         84
        .size:           2
        .value_kind:     hidden_remainder_y
      - .offset:         86
        .size:           2
        .value_kind:     hidden_remainder_z
      - .offset:         104
        .size:           8
        .value_kind:     hidden_global_offset_x
      - .offset:         112
        .size:           8
        .value_kind:     hidden_global_offset_y
      - .offset:         120
        .size:           8
        .value_kind:     hidden_global_offset_z
      - .offset:         128
        .size:           2
        .value_kind:     hidden_grid_dims
    .group_segment_fixed_size: 0
    .kernarg_segment_align: 8
    .kernarg_segment_size: 320
    .language:       OpenCL C
    .language_version:
      - 2
      - 0
    .max_flat_workgroup_size: 64
    .name:           _ZN2at6native12_GLOBAL__N_135GammaBetaBackwardCUDAKernelTemplateIddLj64ELj1ELj32ELb1ELb0ELb1EEEvllPKT_S5_PKT0_S8_PS3_S9_
    .private_segment_fixed_size: 580
    .sgpr_count:     32
    .sgpr_spill_count: 0
    .symbol:         _ZN2at6native12_GLOBAL__N_135GammaBetaBackwardCUDAKernelTemplateIddLj64ELj1ELj32ELb1ELb0ELb1EEEvllPKT_S5_PKT0_S8_PS3_S9_.kd
    .uniform_work_group_size: 1
    .uses_dynamic_stack: false
    .vgpr_count:     256
    .vgpr_spill_count: 320
    .wavefront_size: 32
    .workgroup_processor_mode: 1
  - .args:
      - .offset:         0
        .size:           8
        .value_kind:     by_value
      - .offset:         8
        .size:           8
        .value_kind:     by_value
      - .actual_access:  read_only
        .address_space:  global
        .offset:         16
        .size:           8
        .value_kind:     global_buffer
      - .actual_access:  read_only
        .address_space:  global
        .offset:         24
        .size:           8
        .value_kind:     global_buffer
      - .actual_access:  read_only
        .address_space:  global
        .offset:         32
        .size:           8
        .value_kind:     global_buffer
      - .actual_access:  read_only
        .address_space:  global
        .offset:         40
        .size:           8
        .value_kind:     global_buffer
      - .actual_access:  write_only
        .address_space:  global
        .offset:         48
        .size:           8
        .value_kind:     global_buffer
      - .actual_access:  read_only
        .address_space:  global
        .offset:         56
        .size:           8
        .value_kind:     global_buffer
      - .offset:         64
        .size:           4
        .value_kind:     hidden_block_count_x
      - .offset:         68
        .size:           4
        .value_kind:     hidden_block_count_y
      - .offset:         72
        .size:           4
        .value_kind:     hidden_block_count_z
      - .offset:         76
        .size:           2
        .value_kind:     hidden_group_size_x
      - .offset:         78
        .size:           2
        .value_kind:     hidden_group_size_y
      - .offset:         80
        .size:           2
        .value_kind:     hidden_group_size_z
      - .offset:         82
        .size:           2
        .value_kind:     hidden_remainder_x
      - .offset:         84
        .size:           2
        .value_kind:     hidden_remainder_y
      - .offset:         86
        .size:           2
        .value_kind:     hidden_remainder_z
      - .offset:         104
        .size:           8
        .value_kind:     hidden_global_offset_x
      - .offset:         112
        .size:           8
        .value_kind:     hidden_global_offset_y
      - .offset:         120
        .size:           8
        .value_kind:     hidden_global_offset_z
      - .offset:         128
        .size:           2
        .value_kind:     hidden_grid_dims
    .group_segment_fixed_size: 0
    .kernarg_segment_align: 8
    .kernarg_segment_size: 320
    .language:       OpenCL C
    .language_version:
      - 2
      - 0
    .max_flat_workgroup_size: 64
    .name:           _ZN2at6native12_GLOBAL__N_135GammaBetaBackwardCUDAKernelTemplateIddLj64ELj1ELj8ELb1ELb1ELb1EEEvllPKT_S5_PKT0_S8_PS3_S9_
    .private_segment_fixed_size: 0
    .sgpr_count:     28
    .sgpr_spill_count: 0
    .symbol:         _ZN2at6native12_GLOBAL__N_135GammaBetaBackwardCUDAKernelTemplateIddLj64ELj1ELj8ELb1ELb1ELb1EEEvllPKT_S5_PKT0_S8_PS3_S9_.kd
    .uniform_work_group_size: 1
    .uses_dynamic_stack: false
    .vgpr_count:     54
    .vgpr_spill_count: 0
    .wavefront_size: 32
    .workgroup_processor_mode: 1
  - .args:
      - .offset:         0
        .size:           8
        .value_kind:     by_value
      - .offset:         8
        .size:           8
        .value_kind:     by_value
      - .actual_access:  read_only
        .address_space:  global
        .offset:         16
        .size:           8
        .value_kind:     global_buffer
      - .actual_access:  read_only
        .address_space:  global
        .offset:         24
        .size:           8
        .value_kind:     global_buffer
      - .actual_access:  read_only
        .address_space:  global
        .offset:         32
        .size:           8
        .value_kind:     global_buffer
      - .actual_access:  read_only
        .address_space:  global
        .offset:         40
        .size:           8
        .value_kind:     global_buffer
      - .actual_access:  write_only
        .address_space:  global
        .offset:         48
        .size:           8
        .value_kind:     global_buffer
      - .actual_access:  read_only
        .address_space:  global
        .offset:         56
        .size:           8
        .value_kind:     global_buffer
      - .offset:         64
        .size:           4
        .value_kind:     hidden_block_count_x
      - .offset:         68
        .size:           4
        .value_kind:     hidden_block_count_y
      - .offset:         72
        .size:           4
        .value_kind:     hidden_block_count_z
      - .offset:         76
        .size:           2
        .value_kind:     hidden_group_size_x
      - .offset:         78
        .size:           2
        .value_kind:     hidden_group_size_y
      - .offset:         80
        .size:           2
        .value_kind:     hidden_group_size_z
      - .offset:         82
        .size:           2
        .value_kind:     hidden_remainder_x
      - .offset:         84
        .size:           2
        .value_kind:     hidden_remainder_y
      - .offset:         86
        .size:           2
        .value_kind:     hidden_remainder_z
      - .offset:         104
        .size:           8
        .value_kind:     hidden_global_offset_x
      - .offset:         112
        .size:           8
        .value_kind:     hidden_global_offset_y
      - .offset:         120
        .size:           8
        .value_kind:     hidden_global_offset_z
      - .offset:         128
        .size:           2
        .value_kind:     hidden_grid_dims
    .group_segment_fixed_size: 0
    .kernarg_segment_align: 8
    .kernarg_segment_size: 320
    .language:       OpenCL C
    .language_version:
      - 2
      - 0
    .max_flat_workgroup_size: 64
    .name:           _ZN2at6native12_GLOBAL__N_135GammaBetaBackwardCUDAKernelTemplateIddLj64ELj1ELj8ELb1ELb0ELb1EEEvllPKT_S5_PKT0_S8_PS3_S9_
    .private_segment_fixed_size: 0
    .sgpr_count:     47
    .sgpr_spill_count: 0
    .symbol:         _ZN2at6native12_GLOBAL__N_135GammaBetaBackwardCUDAKernelTemplateIddLj64ELj1ELj8ELb1ELb0ELb1EEEvllPKT_S5_PKT0_S8_PS3_S9_.kd
    .uniform_work_group_size: 1
    .uses_dynamic_stack: false
    .vgpr_count:     121
    .vgpr_spill_count: 0
    .wavefront_size: 32
    .workgroup_processor_mode: 1
  - .args:
      - .offset:         0
        .size:           8
        .value_kind:     by_value
      - .offset:         8
        .size:           8
        .value_kind:     by_value
      - .actual_access:  read_only
        .address_space:  global
        .offset:         16
        .size:           8
        .value_kind:     global_buffer
      - .actual_access:  read_only
        .address_space:  global
        .offset:         24
        .size:           8
        .value_kind:     global_buffer
      - .actual_access:  read_only
        .address_space:  global
        .offset:         32
        .size:           8
        .value_kind:     global_buffer
      - .actual_access:  read_only
        .address_space:  global
        .offset:         40
        .size:           8
        .value_kind:     global_buffer
      - .actual_access:  write_only
        .address_space:  global
        .offset:         48
        .size:           8
        .value_kind:     global_buffer
      - .actual_access:  read_only
        .address_space:  global
        .offset:         56
        .size:           8
        .value_kind:     global_buffer
      - .offset:         64
        .size:           4
        .value_kind:     hidden_block_count_x
      - .offset:         68
        .size:           4
        .value_kind:     hidden_block_count_y
      - .offset:         72
        .size:           4
        .value_kind:     hidden_block_count_z
      - .offset:         76
        .size:           2
        .value_kind:     hidden_group_size_x
      - .offset:         78
        .size:           2
        .value_kind:     hidden_group_size_y
      - .offset:         80
        .size:           2
        .value_kind:     hidden_group_size_z
      - .offset:         82
        .size:           2
        .value_kind:     hidden_remainder_x
      - .offset:         84
        .size:           2
        .value_kind:     hidden_remainder_y
      - .offset:         86
        .size:           2
        .value_kind:     hidden_remainder_z
      - .offset:         104
        .size:           8
        .value_kind:     hidden_global_offset_x
      - .offset:         112
        .size:           8
        .value_kind:     hidden_global_offset_y
      - .offset:         120
        .size:           8
        .value_kind:     hidden_global_offset_z
      - .offset:         128
        .size:           2
        .value_kind:     hidden_grid_dims
      - .offset:         184
        .size:           4
        .value_kind:     hidden_dynamic_lds_size
    .group_segment_fixed_size: 0
    .kernarg_segment_align: 8
    .kernarg_segment_size: 320
    .language:       OpenCL C
    .language_version:
      - 2
      - 0
    .max_flat_workgroup_size: 512
    .name:           _ZN2at6native12_GLOBAL__N_135GammaBetaBackwardCUDAKernelTemplateIddLj64ELj8ELj64ELb0ELb1ELb1EEEvllPKT_S5_PKT0_S8_PS3_S9_
    .private_segment_fixed_size: 0
    .sgpr_count:     24
    .sgpr_spill_count: 0
    .symbol:         _ZN2at6native12_GLOBAL__N_135GammaBetaBackwardCUDAKernelTemplateIddLj64ELj8ELj64ELb0ELb1ELb1EEEvllPKT_S5_PKT0_S8_PS3_S9_.kd
    .uniform_work_group_size: 1
    .uses_dynamic_stack: false
    .vgpr_count:     54
    .vgpr_spill_count: 0
    .wavefront_size: 32
    .workgroup_processor_mode: 1
  - .args:
      - .offset:         0
        .size:           8
        .value_kind:     by_value
      - .offset:         8
        .size:           8
        .value_kind:     by_value
      - .actual_access:  read_only
        .address_space:  global
        .offset:         16
        .size:           8
        .value_kind:     global_buffer
      - .actual_access:  read_only
        .address_space:  global
        .offset:         24
        .size:           8
        .value_kind:     global_buffer
      - .actual_access:  read_only
        .address_space:  global
        .offset:         32
        .size:           8
        .value_kind:     global_buffer
      - .actual_access:  read_only
        .address_space:  global
        .offset:         40
        .size:           8
        .value_kind:     global_buffer
      - .actual_access:  write_only
        .address_space:  global
        .offset:         48
        .size:           8
        .value_kind:     global_buffer
      - .actual_access:  read_only
        .address_space:  global
        .offset:         56
        .size:           8
        .value_kind:     global_buffer
      - .offset:         64
        .size:           4
        .value_kind:     hidden_block_count_x
      - .offset:         68
        .size:           4
        .value_kind:     hidden_block_count_y
      - .offset:         72
        .size:           4
        .value_kind:     hidden_block_count_z
      - .offset:         76
        .size:           2
        .value_kind:     hidden_group_size_x
      - .offset:         78
        .size:           2
        .value_kind:     hidden_group_size_y
      - .offset:         80
        .size:           2
        .value_kind:     hidden_group_size_z
      - .offset:         82
        .size:           2
        .value_kind:     hidden_remainder_x
      - .offset:         84
        .size:           2
        .value_kind:     hidden_remainder_y
      - .offset:         86
        .size:           2
        .value_kind:     hidden_remainder_z
      - .offset:         104
        .size:           8
        .value_kind:     hidden_global_offset_x
      - .offset:         112
        .size:           8
        .value_kind:     hidden_global_offset_y
      - .offset:         120
        .size:           8
        .value_kind:     hidden_global_offset_z
      - .offset:         128
        .size:           2
        .value_kind:     hidden_grid_dims
      - .offset:         184
        .size:           4
        .value_kind:     hidden_dynamic_lds_size
    .group_segment_fixed_size: 0
    .kernarg_segment_align: 8
    .kernarg_segment_size: 320
    .language:       OpenCL C
    .language_version:
      - 2
      - 0
    .max_flat_workgroup_size: 512
    .name:           _ZN2at6native12_GLOBAL__N_135GammaBetaBackwardCUDAKernelTemplateIddLj64ELj8ELj64ELb0ELb0ELb1EEEvllPKT_S5_PKT0_S8_PS3_S9_
    .private_segment_fixed_size: 0
    .sgpr_count:     47
    .sgpr_spill_count: 0
    .symbol:         _ZN2at6native12_GLOBAL__N_135GammaBetaBackwardCUDAKernelTemplateIddLj64ELj8ELj64ELb0ELb0ELb1EEEvllPKT_S5_PKT0_S8_PS3_S9_.kd
    .uniform_work_group_size: 1
    .uses_dynamic_stack: false
    .vgpr_count:     120
    .vgpr_spill_count: 0
    .wavefront_size: 32
    .workgroup_processor_mode: 1
  - .args:
      - .offset:         0
        .size:           8
        .value_kind:     by_value
      - .offset:         8
        .size:           8
        .value_kind:     by_value
      - .actual_access:  read_only
        .address_space:  global
        .offset:         16
        .size:           8
        .value_kind:     global_buffer
      - .actual_access:  read_only
        .address_space:  global
        .offset:         24
        .size:           8
        .value_kind:     global_buffer
      - .actual_access:  read_only
        .address_space:  global
        .offset:         32
        .size:           8
        .value_kind:     global_buffer
      - .actual_access:  read_only
        .address_space:  global
        .offset:         40
        .size:           8
        .value_kind:     global_buffer
      - .actual_access:  write_only
        .address_space:  global
        .offset:         48
        .size:           8
        .value_kind:     global_buffer
      - .actual_access:  read_only
        .address_space:  global
        .offset:         56
        .size:           8
        .value_kind:     global_buffer
      - .offset:         64
        .size:           4
        .value_kind:     hidden_block_count_x
      - .offset:         68
        .size:           4
        .value_kind:     hidden_block_count_y
      - .offset:         72
        .size:           4
        .value_kind:     hidden_block_count_z
      - .offset:         76
        .size:           2
        .value_kind:     hidden_group_size_x
      - .offset:         78
        .size:           2
        .value_kind:     hidden_group_size_y
      - .offset:         80
        .size:           2
        .value_kind:     hidden_group_size_z
      - .offset:         82
        .size:           2
        .value_kind:     hidden_remainder_x
      - .offset:         84
        .size:           2
        .value_kind:     hidden_remainder_y
      - .offset:         86
        .size:           2
        .value_kind:     hidden_remainder_z
      - .offset:         104
        .size:           8
        .value_kind:     hidden_global_offset_x
      - .offset:         112
        .size:           8
        .value_kind:     hidden_global_offset_y
      - .offset:         120
        .size:           8
        .value_kind:     hidden_global_offset_z
      - .offset:         128
        .size:           2
        .value_kind:     hidden_grid_dims
      - .offset:         184
        .size:           4
        .value_kind:     hidden_dynamic_lds_size
    .group_segment_fixed_size: 0
    .kernarg_segment_align: 8
    .kernarg_segment_size: 320
    .language:       OpenCL C
    .language_version:
      - 2
      - 0
    .max_flat_workgroup_size: 1024
    .name:           _ZN2at6native12_GLOBAL__N_135GammaBetaBackwardCUDAKernelTemplateIddLj64ELj16ELj128ELb0ELb1ELb1EEEvllPKT_S5_PKT0_S8_PS3_S9_
    .private_segment_fixed_size: 0
    .sgpr_count:     24
    .sgpr_spill_count: 0
    .symbol:         _ZN2at6native12_GLOBAL__N_135GammaBetaBackwardCUDAKernelTemplateIddLj64ELj16ELj128ELb0ELb1ELb1EEEvllPKT_S5_PKT0_S8_PS3_S9_.kd
    .uniform_work_group_size: 1
    .uses_dynamic_stack: false
    .vgpr_count:     54
    .vgpr_spill_count: 0
    .wavefront_size: 32
    .workgroup_processor_mode: 1
  - .args:
      - .offset:         0
        .size:           8
        .value_kind:     by_value
      - .offset:         8
        .size:           8
        .value_kind:     by_value
      - .actual_access:  read_only
        .address_space:  global
        .offset:         16
        .size:           8
        .value_kind:     global_buffer
      - .actual_access:  read_only
        .address_space:  global
        .offset:         24
        .size:           8
        .value_kind:     global_buffer
      - .actual_access:  read_only
        .address_space:  global
        .offset:         32
        .size:           8
        .value_kind:     global_buffer
      - .actual_access:  read_only
        .address_space:  global
        .offset:         40
        .size:           8
        .value_kind:     global_buffer
      - .actual_access:  write_only
        .address_space:  global
        .offset:         48
        .size:           8
        .value_kind:     global_buffer
      - .actual_access:  read_only
        .address_space:  global
        .offset:         56
        .size:           8
        .value_kind:     global_buffer
      - .offset:         64
        .size:           4
        .value_kind:     hidden_block_count_x
      - .offset:         68
        .size:           4
        .value_kind:     hidden_block_count_y
      - .offset:         72
        .size:           4
        .value_kind:     hidden_block_count_z
      - .offset:         76
        .size:           2
        .value_kind:     hidden_group_size_x
      - .offset:         78
        .size:           2
        .value_kind:     hidden_group_size_y
      - .offset:         80
        .size:           2
        .value_kind:     hidden_group_size_z
      - .offset:         82
        .size:           2
        .value_kind:     hidden_remainder_x
      - .offset:         84
        .size:           2
        .value_kind:     hidden_remainder_y
      - .offset:         86
        .size:           2
        .value_kind:     hidden_remainder_z
      - .offset:         104
        .size:           8
        .value_kind:     hidden_global_offset_x
      - .offset:         112
        .size:           8
        .value_kind:     hidden_global_offset_y
      - .offset:         120
        .size:           8
        .value_kind:     hidden_global_offset_z
      - .offset:         128
        .size:           2
        .value_kind:     hidden_grid_dims
      - .offset:         184
        .size:           4
        .value_kind:     hidden_dynamic_lds_size
    .group_segment_fixed_size: 0
    .kernarg_segment_align: 8
    .kernarg_segment_size: 320
    .language:       OpenCL C
    .language_version:
      - 2
      - 0
    .max_flat_workgroup_size: 1024
    .name:           _ZN2at6native12_GLOBAL__N_135GammaBetaBackwardCUDAKernelTemplateIddLj64ELj16ELj128ELb0ELb0ELb1EEEvllPKT_S5_PKT0_S8_PS3_S9_
    .private_segment_fixed_size: 0
    .sgpr_count:     47
    .sgpr_spill_count: 0
    .symbol:         _ZN2at6native12_GLOBAL__N_135GammaBetaBackwardCUDAKernelTemplateIddLj64ELj16ELj128ELb0ELb0ELb1EEEvllPKT_S5_PKT0_S8_PS3_S9_.kd
    .uniform_work_group_size: 1
    .uses_dynamic_stack: false
    .vgpr_count:     120
    .vgpr_spill_count: 0
    .wavefront_size: 32
    .workgroup_processor_mode: 1
  - .args:
      - .offset:         0
        .size:           8
        .value_kind:     by_value
      - .offset:         8
        .size:           8
        .value_kind:     by_value
      - .actual_access:  read_only
        .address_space:  global
        .offset:         16
        .size:           8
        .value_kind:     global_buffer
      - .actual_access:  read_only
        .address_space:  global
        .offset:         24
        .size:           8
        .value_kind:     global_buffer
      - .actual_access:  read_only
        .address_space:  global
        .offset:         32
        .size:           8
        .value_kind:     global_buffer
      - .actual_access:  read_only
        .address_space:  global
        .offset:         40
        .size:           8
        .value_kind:     global_buffer
      - .actual_access:  write_only
        .address_space:  global
        .offset:         48
        .size:           8
        .value_kind:     global_buffer
      - .actual_access:  read_only
        .address_space:  global
        .offset:         56
        .size:           8
        .value_kind:     global_buffer
      - .offset:         64
        .size:           4
        .value_kind:     hidden_block_count_x
      - .offset:         68
        .size:           4
        .value_kind:     hidden_block_count_y
      - .offset:         72
        .size:           4
        .value_kind:     hidden_block_count_z
      - .offset:         76
        .size:           2
        .value_kind:     hidden_group_size_x
      - .offset:         78
        .size:           2
        .value_kind:     hidden_group_size_y
      - .offset:         80
        .size:           2
        .value_kind:     hidden_group_size_z
      - .offset:         82
        .size:           2
        .value_kind:     hidden_remainder_x
      - .offset:         84
        .size:           2
        .value_kind:     hidden_remainder_y
      - .offset:         86
        .size:           2
        .value_kind:     hidden_remainder_z
      - .offset:         104
        .size:           8
        .value_kind:     hidden_global_offset_x
      - .offset:         112
        .size:           8
        .value_kind:     hidden_global_offset_y
      - .offset:         120
        .size:           8
        .value_kind:     hidden_global_offset_z
      - .offset:         128
        .size:           2
        .value_kind:     hidden_grid_dims
      - .offset:         184
        .size:           4
        .value_kind:     hidden_dynamic_lds_size
    .group_segment_fixed_size: 0
    .kernarg_segment_align: 8
    .kernarg_segment_size: 320
    .language:       OpenCL C
    .language_version:
      - 2
      - 0
    .max_flat_workgroup_size: 1024
    .name:           _ZN2at6native12_GLOBAL__N_135GammaBetaBackwardCUDAKernelTemplateIddLj64ELj16ELj256ELb0ELb1ELb1EEEvllPKT_S5_PKT0_S8_PS3_S9_
    .private_segment_fixed_size: 0
    .sgpr_count:     24
    .sgpr_spill_count: 0
    .symbol:         _ZN2at6native12_GLOBAL__N_135GammaBetaBackwardCUDAKernelTemplateIddLj64ELj16ELj256ELb0ELb1ELb1EEEvllPKT_S5_PKT0_S8_PS3_S9_.kd
    .uniform_work_group_size: 1
    .uses_dynamic_stack: false
    .vgpr_count:     74
    .vgpr_spill_count: 0
    .wavefront_size: 32
    .workgroup_processor_mode: 1
  - .args:
      - .offset:         0
        .size:           8
        .value_kind:     by_value
      - .offset:         8
        .size:           8
        .value_kind:     by_value
      - .actual_access:  read_only
        .address_space:  global
        .offset:         16
        .size:           8
        .value_kind:     global_buffer
      - .actual_access:  read_only
        .address_space:  global
        .offset:         24
        .size:           8
        .value_kind:     global_buffer
      - .actual_access:  read_only
        .address_space:  global
        .offset:         32
        .size:           8
        .value_kind:     global_buffer
      - .actual_access:  read_only
        .address_space:  global
        .offset:         40
        .size:           8
        .value_kind:     global_buffer
      - .actual_access:  write_only
        .address_space:  global
        .offset:         48
        .size:           8
        .value_kind:     global_buffer
      - .actual_access:  read_only
        .address_space:  global
        .offset:         56
        .size:           8
        .value_kind:     global_buffer
      - .offset:         64
        .size:           4
        .value_kind:     hidden_block_count_x
      - .offset:         68
        .size:           4
        .value_kind:     hidden_block_count_y
      - .offset:         72
        .size:           4
        .value_kind:     hidden_block_count_z
      - .offset:         76
        .size:           2
        .value_kind:     hidden_group_size_x
      - .offset:         78
        .size:           2
        .value_kind:     hidden_group_size_y
      - .offset:         80
        .size:           2
        .value_kind:     hidden_group_size_z
      - .offset:         82
        .size:           2
        .value_kind:     hidden_remainder_x
      - .offset:         84
        .size:           2
        .value_kind:     hidden_remainder_y
      - .offset:         86
        .size:           2
        .value_kind:     hidden_remainder_z
      - .offset:         104
        .size:           8
        .value_kind:     hidden_global_offset_x
      - .offset:         112
        .size:           8
        .value_kind:     hidden_global_offset_y
      - .offset:         120
        .size:           8
        .value_kind:     hidden_global_offset_z
      - .offset:         128
        .size:           2
        .value_kind:     hidden_grid_dims
      - .offset:         184
        .size:           4
        .value_kind:     hidden_dynamic_lds_size
    .group_segment_fixed_size: 0
    .kernarg_segment_align: 8
    .kernarg_segment_size: 320
    .language:       OpenCL C
    .language_version:
      - 2
      - 0
    .max_flat_workgroup_size: 1024
    .name:           _ZN2at6native12_GLOBAL__N_135GammaBetaBackwardCUDAKernelTemplateIddLj64ELj16ELj256ELb0ELb0ELb1EEEvllPKT_S5_PKT0_S8_PS3_S9_
    .private_segment_fixed_size: 44
    .sgpr_count:     70
    .sgpr_spill_count: 0
    .symbol:         _ZN2at6native12_GLOBAL__N_135GammaBetaBackwardCUDAKernelTemplateIddLj64ELj16ELj256ELb0ELb0ELb1EEEvllPKT_S5_PKT0_S8_PS3_S9_.kd
    .uniform_work_group_size: 1
    .uses_dynamic_stack: false
    .vgpr_count:     192
    .vgpr_spill_count: 16
    .wavefront_size: 32
    .workgroup_processor_mode: 1
  - .args:
      - .offset:         0
        .size:           8
        .value_kind:     by_value
      - .offset:         8
        .size:           8
        .value_kind:     by_value
      - .actual_access:  read_only
        .address_space:  global
        .offset:         16
        .size:           8
        .value_kind:     global_buffer
      - .actual_access:  read_only
        .address_space:  global
        .offset:         24
        .size:           8
        .value_kind:     global_buffer
      - .actual_access:  read_only
        .address_space:  global
        .offset:         32
        .size:           8
        .value_kind:     global_buffer
      - .actual_access:  read_only
        .address_space:  global
        .offset:         40
        .size:           8
        .value_kind:     global_buffer
      - .actual_access:  write_only
        .address_space:  global
        .offset:         48
        .size:           8
        .value_kind:     global_buffer
      - .actual_access:  read_only
        .address_space:  global
        .offset:         56
        .size:           8
        .value_kind:     global_buffer
      - .offset:         64
        .size:           4
        .value_kind:     hidden_block_count_x
      - .offset:         68
        .size:           4
        .value_kind:     hidden_block_count_y
      - .offset:         72
        .size:           4
        .value_kind:     hidden_block_count_z
      - .offset:         76
        .size:           2
        .value_kind:     hidden_group_size_x
      - .offset:         78
        .size:           2
        .value_kind:     hidden_group_size_y
      - .offset:         80
        .size:           2
        .value_kind:     hidden_group_size_z
      - .offset:         82
        .size:           2
        .value_kind:     hidden_remainder_x
      - .offset:         84
        .size:           2
        .value_kind:     hidden_remainder_y
      - .offset:         86
        .size:           2
        .value_kind:     hidden_remainder_z
      - .offset:         104
        .size:           8
        .value_kind:     hidden_global_offset_x
      - .offset:         112
        .size:           8
        .value_kind:     hidden_global_offset_y
      - .offset:         120
        .size:           8
        .value_kind:     hidden_global_offset_z
      - .offset:         128
        .size:           2
        .value_kind:     hidden_grid_dims
    .group_segment_fixed_size: 0
    .kernarg_segment_align: 8
    .kernarg_segment_size: 320
    .language:       OpenCL C
    .language_version:
      - 2
      - 0
    .max_flat_workgroup_size: 32
    .name:           _ZN2at6native12_GLOBAL__N_135GammaBetaBackwardCUDAKernelTemplateIddLj32ELj1ELj32ELb1ELb1ELb1EEEvllPKT_S5_PKT0_S8_PS3_S9_
    .private_segment_fixed_size: 0
    .sgpr_count:     26
    .sgpr_spill_count: 0
    .symbol:         _ZN2at6native12_GLOBAL__N_135GammaBetaBackwardCUDAKernelTemplateIddLj32ELj1ELj32ELb1ELb1ELb1EEEvllPKT_S5_PKT0_S8_PS3_S9_.kd
    .uniform_work_group_size: 1
    .uses_dynamic_stack: false
    .vgpr_count:     90
    .vgpr_spill_count: 0
    .wavefront_size: 32
    .workgroup_processor_mode: 1
  - .args:
      - .offset:         0
        .size:           8
        .value_kind:     by_value
      - .offset:         8
        .size:           8
        .value_kind:     by_value
      - .actual_access:  read_only
        .address_space:  global
        .offset:         16
        .size:           8
        .value_kind:     global_buffer
      - .actual_access:  read_only
        .address_space:  global
        .offset:         24
        .size:           8
        .value_kind:     global_buffer
      - .actual_access:  read_only
        .address_space:  global
        .offset:         32
        .size:           8
        .value_kind:     global_buffer
      - .actual_access:  read_only
        .address_space:  global
        .offset:         40
        .size:           8
        .value_kind:     global_buffer
      - .actual_access:  write_only
        .address_space:  global
        .offset:         48
        .size:           8
        .value_kind:     global_buffer
      - .actual_access:  read_only
        .address_space:  global
        .offset:         56
        .size:           8
        .value_kind:     global_buffer
      - .offset:         64
        .size:           4
        .value_kind:     hidden_block_count_x
      - .offset:         68
        .size:           4
        .value_kind:     hidden_block_count_y
      - .offset:         72
        .size:           4
        .value_kind:     hidden_block_count_z
      - .offset:         76
        .size:           2
        .value_kind:     hidden_group_size_x
      - .offset:         78
        .size:           2
        .value_kind:     hidden_group_size_y
      - .offset:         80
        .size:           2
        .value_kind:     hidden_group_size_z
      - .offset:         82
        .size:           2
        .value_kind:     hidden_remainder_x
      - .offset:         84
        .size:           2
        .value_kind:     hidden_remainder_y
      - .offset:         86
        .size:           2
        .value_kind:     hidden_remainder_z
      - .offset:         104
        .size:           8
        .value_kind:     hidden_global_offset_x
      - .offset:         112
        .size:           8
        .value_kind:     hidden_global_offset_y
      - .offset:         120
        .size:           8
        .value_kind:     hidden_global_offset_z
      - .offset:         128
        .size:           2
        .value_kind:     hidden_grid_dims
    .group_segment_fixed_size: 0
    .kernarg_segment_align: 8
    .kernarg_segment_size: 320
    .language:       OpenCL C
    .language_version:
      - 2
      - 0
    .max_flat_workgroup_size: 32
    .name:           _ZN2at6native12_GLOBAL__N_135GammaBetaBackwardCUDAKernelTemplateIddLj32ELj1ELj32ELb1ELb0ELb1EEEvllPKT_S5_PKT0_S8_PS3_S9_
    .private_segment_fixed_size: 580
    .sgpr_count:     32
    .sgpr_spill_count: 0
    .symbol:         _ZN2at6native12_GLOBAL__N_135GammaBetaBackwardCUDAKernelTemplateIddLj32ELj1ELj32ELb1ELb0ELb1EEEvllPKT_S5_PKT0_S8_PS3_S9_.kd
    .uniform_work_group_size: 1
    .uses_dynamic_stack: false
    .vgpr_count:     256
    .vgpr_spill_count: 320
    .wavefront_size: 32
    .workgroup_processor_mode: 1
  - .args:
      - .offset:         0
        .size:           8
        .value_kind:     by_value
      - .offset:         8
        .size:           8
        .value_kind:     by_value
      - .actual_access:  read_only
        .address_space:  global
        .offset:         16
        .size:           8
        .value_kind:     global_buffer
      - .actual_access:  read_only
        .address_space:  global
        .offset:         24
        .size:           8
        .value_kind:     global_buffer
      - .actual_access:  read_only
        .address_space:  global
        .offset:         32
        .size:           8
        .value_kind:     global_buffer
      - .actual_access:  read_only
        .address_space:  global
        .offset:         40
        .size:           8
        .value_kind:     global_buffer
      - .actual_access:  write_only
        .address_space:  global
        .offset:         48
        .size:           8
        .value_kind:     global_buffer
      - .actual_access:  read_only
        .address_space:  global
        .offset:         56
        .size:           8
        .value_kind:     global_buffer
      - .offset:         64
        .size:           4
        .value_kind:     hidden_block_count_x
      - .offset:         68
        .size:           4
        .value_kind:     hidden_block_count_y
      - .offset:         72
        .size:           4
        .value_kind:     hidden_block_count_z
      - .offset:         76
        .size:           2
        .value_kind:     hidden_group_size_x
      - .offset:         78
        .size:           2
        .value_kind:     hidden_group_size_y
      - .offset:         80
        .size:           2
        .value_kind:     hidden_group_size_z
      - .offset:         82
        .size:           2
        .value_kind:     hidden_remainder_x
      - .offset:         84
        .size:           2
        .value_kind:     hidden_remainder_y
      - .offset:         86
        .size:           2
        .value_kind:     hidden_remainder_z
      - .offset:         104
        .size:           8
        .value_kind:     hidden_global_offset_x
      - .offset:         112
        .size:           8
        .value_kind:     hidden_global_offset_y
      - .offset:         120
        .size:           8
        .value_kind:     hidden_global_offset_z
      - .offset:         128
        .size:           2
        .value_kind:     hidden_grid_dims
    .group_segment_fixed_size: 0
    .kernarg_segment_align: 8
    .kernarg_segment_size: 320
    .language:       OpenCL C
    .language_version:
      - 2
      - 0
    .max_flat_workgroup_size: 32
    .name:           _ZN2at6native12_GLOBAL__N_135GammaBetaBackwardCUDAKernelTemplateIddLj32ELj1ELj8ELb1ELb1ELb1EEEvllPKT_S5_PKT0_S8_PS3_S9_
    .private_segment_fixed_size: 0
    .sgpr_count:     28
    .sgpr_spill_count: 0
    .symbol:         _ZN2at6native12_GLOBAL__N_135GammaBetaBackwardCUDAKernelTemplateIddLj32ELj1ELj8ELb1ELb1ELb1EEEvllPKT_S5_PKT0_S8_PS3_S9_.kd
    .uniform_work_group_size: 1
    .uses_dynamic_stack: false
    .vgpr_count:     54
    .vgpr_spill_count: 0
    .wavefront_size: 32
    .workgroup_processor_mode: 1
  - .args:
      - .offset:         0
        .size:           8
        .value_kind:     by_value
      - .offset:         8
        .size:           8
        .value_kind:     by_value
      - .actual_access:  read_only
        .address_space:  global
        .offset:         16
        .size:           8
        .value_kind:     global_buffer
      - .actual_access:  read_only
        .address_space:  global
        .offset:         24
        .size:           8
        .value_kind:     global_buffer
      - .actual_access:  read_only
        .address_space:  global
        .offset:         32
        .size:           8
        .value_kind:     global_buffer
      - .actual_access:  read_only
        .address_space:  global
        .offset:         40
        .size:           8
        .value_kind:     global_buffer
      - .actual_access:  write_only
        .address_space:  global
        .offset:         48
        .size:           8
        .value_kind:     global_buffer
      - .actual_access:  read_only
        .address_space:  global
        .offset:         56
        .size:           8
        .value_kind:     global_buffer
      - .offset:         64
        .size:           4
        .value_kind:     hidden_block_count_x
      - .offset:         68
        .size:           4
        .value_kind:     hidden_block_count_y
      - .offset:         72
        .size:           4
        .value_kind:     hidden_block_count_z
      - .offset:         76
        .size:           2
        .value_kind:     hidden_group_size_x
      - .offset:         78
        .size:           2
        .value_kind:     hidden_group_size_y
      - .offset:         80
        .size:           2
        .value_kind:     hidden_group_size_z
      - .offset:         82
        .size:           2
        .value_kind:     hidden_remainder_x
      - .offset:         84
        .size:           2
        .value_kind:     hidden_remainder_y
      - .offset:         86
        .size:           2
        .value_kind:     hidden_remainder_z
      - .offset:         104
        .size:           8
        .value_kind:     hidden_global_offset_x
      - .offset:         112
        .size:           8
        .value_kind:     hidden_global_offset_y
      - .offset:         120
        .size:           8
        .value_kind:     hidden_global_offset_z
      - .offset:         128
        .size:           2
        .value_kind:     hidden_grid_dims
    .group_segment_fixed_size: 0
    .kernarg_segment_align: 8
    .kernarg_segment_size: 320
    .language:       OpenCL C
    .language_version:
      - 2
      - 0
    .max_flat_workgroup_size: 32
    .name:           _ZN2at6native12_GLOBAL__N_135GammaBetaBackwardCUDAKernelTemplateIddLj32ELj1ELj8ELb1ELb0ELb1EEEvllPKT_S5_PKT0_S8_PS3_S9_
    .private_segment_fixed_size: 0
    .sgpr_count:     47
    .sgpr_spill_count: 0
    .symbol:         _ZN2at6native12_GLOBAL__N_135GammaBetaBackwardCUDAKernelTemplateIddLj32ELj1ELj8ELb1ELb0ELb1EEEvllPKT_S5_PKT0_S8_PS3_S9_.kd
    .uniform_work_group_size: 1
    .uses_dynamic_stack: false
    .vgpr_count:     121
    .vgpr_spill_count: 0
    .wavefront_size: 32
    .workgroup_processor_mode: 1
  - .args:
      - .offset:         0
        .size:           8
        .value_kind:     by_value
      - .offset:         8
        .size:           8
        .value_kind:     by_value
      - .actual_access:  read_only
        .address_space:  global
        .offset:         16
        .size:           8
        .value_kind:     global_buffer
      - .actual_access:  read_only
        .address_space:  global
        .offset:         24
        .size:           8
        .value_kind:     global_buffer
      - .actual_access:  read_only
        .address_space:  global
        .offset:         32
        .size:           8
        .value_kind:     global_buffer
      - .actual_access:  read_only
        .address_space:  global
        .offset:         40
        .size:           8
        .value_kind:     global_buffer
      - .actual_access:  write_only
        .address_space:  global
        .offset:         48
        .size:           8
        .value_kind:     global_buffer
      - .actual_access:  read_only
        .address_space:  global
        .offset:         56
        .size:           8
        .value_kind:     global_buffer
      - .offset:         64
        .size:           4
        .value_kind:     hidden_block_count_x
      - .offset:         68
        .size:           4
        .value_kind:     hidden_block_count_y
      - .offset:         72
        .size:           4
        .value_kind:     hidden_block_count_z
      - .offset:         76
        .size:           2
        .value_kind:     hidden_group_size_x
      - .offset:         78
        .size:           2
        .value_kind:     hidden_group_size_y
      - .offset:         80
        .size:           2
        .value_kind:     hidden_group_size_z
      - .offset:         82
        .size:           2
        .value_kind:     hidden_remainder_x
      - .offset:         84
        .size:           2
        .value_kind:     hidden_remainder_y
      - .offset:         86
        .size:           2
        .value_kind:     hidden_remainder_z
      - .offset:         104
        .size:           8
        .value_kind:     hidden_global_offset_x
      - .offset:         112
        .size:           8
        .value_kind:     hidden_global_offset_y
      - .offset:         120
        .size:           8
        .value_kind:     hidden_global_offset_z
      - .offset:         128
        .size:           2
        .value_kind:     hidden_grid_dims
      - .offset:         184
        .size:           4
        .value_kind:     hidden_dynamic_lds_size
    .group_segment_fixed_size: 0
    .kernarg_segment_align: 8
    .kernarg_segment_size: 320
    .language:       OpenCL C
    .language_version:
      - 2
      - 0
    .max_flat_workgroup_size: 256
    .name:           _ZN2at6native12_GLOBAL__N_135GammaBetaBackwardCUDAKernelTemplateIddLj32ELj8ELj64ELb0ELb1ELb1EEEvllPKT_S5_PKT0_S8_PS3_S9_
    .private_segment_fixed_size: 0
    .sgpr_count:     24
    .sgpr_spill_count: 0
    .symbol:         _ZN2at6native12_GLOBAL__N_135GammaBetaBackwardCUDAKernelTemplateIddLj32ELj8ELj64ELb0ELb1ELb1EEEvllPKT_S5_PKT0_S8_PS3_S9_.kd
    .uniform_work_group_size: 1
    .uses_dynamic_stack: false
    .vgpr_count:     54
    .vgpr_spill_count: 0
    .wavefront_size: 32
    .workgroup_processor_mode: 1
  - .args:
      - .offset:         0
        .size:           8
        .value_kind:     by_value
      - .offset:         8
        .size:           8
        .value_kind:     by_value
      - .actual_access:  read_only
        .address_space:  global
        .offset:         16
        .size:           8
        .value_kind:     global_buffer
      - .actual_access:  read_only
        .address_space:  global
        .offset:         24
        .size:           8
        .value_kind:     global_buffer
      - .actual_access:  read_only
        .address_space:  global
        .offset:         32
        .size:           8
        .value_kind:     global_buffer
      - .actual_access:  read_only
        .address_space:  global
        .offset:         40
        .size:           8
        .value_kind:     global_buffer
      - .actual_access:  write_only
        .address_space:  global
        .offset:         48
        .size:           8
        .value_kind:     global_buffer
      - .actual_access:  read_only
        .address_space:  global
        .offset:         56
        .size:           8
        .value_kind:     global_buffer
      - .offset:         64
        .size:           4
        .value_kind:     hidden_block_count_x
      - .offset:         68
        .size:           4
        .value_kind:     hidden_block_count_y
      - .offset:         72
        .size:           4
        .value_kind:     hidden_block_count_z
      - .offset:         76
        .size:           2
        .value_kind:     hidden_group_size_x
      - .offset:         78
        .size:           2
        .value_kind:     hidden_group_size_y
      - .offset:         80
        .size:           2
        .value_kind:     hidden_group_size_z
      - .offset:         82
        .size:           2
        .value_kind:     hidden_remainder_x
      - .offset:         84
        .size:           2
        .value_kind:     hidden_remainder_y
      - .offset:         86
        .size:           2
        .value_kind:     hidden_remainder_z
      - .offset:         104
        .size:           8
        .value_kind:     hidden_global_offset_x
      - .offset:         112
        .size:           8
        .value_kind:     hidden_global_offset_y
      - .offset:         120
        .size:           8
        .value_kind:     hidden_global_offset_z
      - .offset:         128
        .size:           2
        .value_kind:     hidden_grid_dims
      - .offset:         184
        .size:           4
        .value_kind:     hidden_dynamic_lds_size
    .group_segment_fixed_size: 0
    .kernarg_segment_align: 8
    .kernarg_segment_size: 320
    .language:       OpenCL C
    .language_version:
      - 2
      - 0
    .max_flat_workgroup_size: 256
    .name:           _ZN2at6native12_GLOBAL__N_135GammaBetaBackwardCUDAKernelTemplateIddLj32ELj8ELj64ELb0ELb0ELb1EEEvllPKT_S5_PKT0_S8_PS3_S9_
    .private_segment_fixed_size: 0
    .sgpr_count:     47
    .sgpr_spill_count: 0
    .symbol:         _ZN2at6native12_GLOBAL__N_135GammaBetaBackwardCUDAKernelTemplateIddLj32ELj8ELj64ELb0ELb0ELb1EEEvllPKT_S5_PKT0_S8_PS3_S9_.kd
    .uniform_work_group_size: 1
    .uses_dynamic_stack: false
    .vgpr_count:     120
    .vgpr_spill_count: 0
    .wavefront_size: 32
    .workgroup_processor_mode: 1
  - .args:
      - .offset:         0
        .size:           8
        .value_kind:     by_value
      - .offset:         8
        .size:           8
        .value_kind:     by_value
      - .actual_access:  read_only
        .address_space:  global
        .offset:         16
        .size:           8
        .value_kind:     global_buffer
      - .actual_access:  read_only
        .address_space:  global
        .offset:         24
        .size:           8
        .value_kind:     global_buffer
      - .actual_access:  read_only
        .address_space:  global
        .offset:         32
        .size:           8
        .value_kind:     global_buffer
      - .actual_access:  read_only
        .address_space:  global
        .offset:         40
        .size:           8
        .value_kind:     global_buffer
      - .actual_access:  write_only
        .address_space:  global
        .offset:         48
        .size:           8
        .value_kind:     global_buffer
      - .actual_access:  read_only
        .address_space:  global
        .offset:         56
        .size:           8
        .value_kind:     global_buffer
      - .offset:         64
        .size:           4
        .value_kind:     hidden_block_count_x
      - .offset:         68
        .size:           4
        .value_kind:     hidden_block_count_y
      - .offset:         72
        .size:           4
        .value_kind:     hidden_block_count_z
      - .offset:         76
        .size:           2
        .value_kind:     hidden_group_size_x
      - .offset:         78
        .size:           2
        .value_kind:     hidden_group_size_y
      - .offset:         80
        .size:           2
        .value_kind:     hidden_group_size_z
      - .offset:         82
        .size:           2
        .value_kind:     hidden_remainder_x
      - .offset:         84
        .size:           2
        .value_kind:     hidden_remainder_y
      - .offset:         86
        .size:           2
        .value_kind:     hidden_remainder_z
      - .offset:         104
        .size:           8
        .value_kind:     hidden_global_offset_x
      - .offset:         112
        .size:           8
        .value_kind:     hidden_global_offset_y
      - .offset:         120
        .size:           8
        .value_kind:     hidden_global_offset_z
      - .offset:         128
        .size:           2
        .value_kind:     hidden_grid_dims
      - .offset:         184
        .size:           4
        .value_kind:     hidden_dynamic_lds_size
    .group_segment_fixed_size: 0
    .kernarg_segment_align: 8
    .kernarg_segment_size: 320
    .language:       OpenCL C
    .language_version:
      - 2
      - 0
    .max_flat_workgroup_size: 512
    .name:           _ZN2at6native12_GLOBAL__N_135GammaBetaBackwardCUDAKernelTemplateIddLj32ELj16ELj128ELb0ELb1ELb1EEEvllPKT_S5_PKT0_S8_PS3_S9_
    .private_segment_fixed_size: 0
    .sgpr_count:     24
    .sgpr_spill_count: 0
    .symbol:         _ZN2at6native12_GLOBAL__N_135GammaBetaBackwardCUDAKernelTemplateIddLj32ELj16ELj128ELb0ELb1ELb1EEEvllPKT_S5_PKT0_S8_PS3_S9_.kd
    .uniform_work_group_size: 1
    .uses_dynamic_stack: false
    .vgpr_count:     54
    .vgpr_spill_count: 0
    .wavefront_size: 32
    .workgroup_processor_mode: 1
  - .args:
      - .offset:         0
        .size:           8
        .value_kind:     by_value
      - .offset:         8
        .size:           8
        .value_kind:     by_value
      - .actual_access:  read_only
        .address_space:  global
        .offset:         16
        .size:           8
        .value_kind:     global_buffer
      - .actual_access:  read_only
        .address_space:  global
        .offset:         24
        .size:           8
        .value_kind:     global_buffer
      - .actual_access:  read_only
        .address_space:  global
        .offset:         32
        .size:           8
        .value_kind:     global_buffer
      - .actual_access:  read_only
        .address_space:  global
        .offset:         40
        .size:           8
        .value_kind:     global_buffer
      - .actual_access:  write_only
        .address_space:  global
        .offset:         48
        .size:           8
        .value_kind:     global_buffer
      - .actual_access:  read_only
        .address_space:  global
        .offset:         56
        .size:           8
        .value_kind:     global_buffer
      - .offset:         64
        .size:           4
        .value_kind:     hidden_block_count_x
      - .offset:         68
        .size:           4
        .value_kind:     hidden_block_count_y
      - .offset:         72
        .size:           4
        .value_kind:     hidden_block_count_z
      - .offset:         76
        .size:           2
        .value_kind:     hidden_group_size_x
      - .offset:         78
        .size:           2
        .value_kind:     hidden_group_size_y
      - .offset:         80
        .size:           2
        .value_kind:     hidden_group_size_z
      - .offset:         82
        .size:           2
        .value_kind:     hidden_remainder_x
      - .offset:         84
        .size:           2
        .value_kind:     hidden_remainder_y
      - .offset:         86
        .size:           2
        .value_kind:     hidden_remainder_z
      - .offset:         104
        .size:           8
        .value_kind:     hidden_global_offset_x
      - .offset:         112
        .size:           8
        .value_kind:     hidden_global_offset_y
      - .offset:         120
        .size:           8
        .value_kind:     hidden_global_offset_z
      - .offset:         128
        .size:           2
        .value_kind:     hidden_grid_dims
      - .offset:         184
        .size:           4
        .value_kind:     hidden_dynamic_lds_size
    .group_segment_fixed_size: 0
    .kernarg_segment_align: 8
    .kernarg_segment_size: 320
    .language:       OpenCL C
    .language_version:
      - 2
      - 0
    .max_flat_workgroup_size: 512
    .name:           _ZN2at6native12_GLOBAL__N_135GammaBetaBackwardCUDAKernelTemplateIddLj32ELj16ELj128ELb0ELb0ELb1EEEvllPKT_S5_PKT0_S8_PS3_S9_
    .private_segment_fixed_size: 0
    .sgpr_count:     47
    .sgpr_spill_count: 0
    .symbol:         _ZN2at6native12_GLOBAL__N_135GammaBetaBackwardCUDAKernelTemplateIddLj32ELj16ELj128ELb0ELb0ELb1EEEvllPKT_S5_PKT0_S8_PS3_S9_.kd
    .uniform_work_group_size: 1
    .uses_dynamic_stack: false
    .vgpr_count:     120
    .vgpr_spill_count: 0
    .wavefront_size: 32
    .workgroup_processor_mode: 1
  - .args:
      - .offset:         0
        .size:           8
        .value_kind:     by_value
      - .offset:         8
        .size:           8
        .value_kind:     by_value
      - .actual_access:  read_only
        .address_space:  global
        .offset:         16
        .size:           8
        .value_kind:     global_buffer
      - .actual_access:  read_only
        .address_space:  global
        .offset:         24
        .size:           8
        .value_kind:     global_buffer
      - .actual_access:  read_only
        .address_space:  global
        .offset:         32
        .size:           8
        .value_kind:     global_buffer
      - .actual_access:  read_only
        .address_space:  global
        .offset:         40
        .size:           8
        .value_kind:     global_buffer
      - .actual_access:  write_only
        .address_space:  global
        .offset:         48
        .size:           8
        .value_kind:     global_buffer
      - .actual_access:  read_only
        .address_space:  global
        .offset:         56
        .size:           8
        .value_kind:     global_buffer
      - .offset:         64
        .size:           4
        .value_kind:     hidden_block_count_x
      - .offset:         68
        .size:           4
        .value_kind:     hidden_block_count_y
      - .offset:         72
        .size:           4
        .value_kind:     hidden_block_count_z
      - .offset:         76
        .size:           2
        .value_kind:     hidden_group_size_x
      - .offset:         78
        .size:           2
        .value_kind:     hidden_group_size_y
      - .offset:         80
        .size:           2
        .value_kind:     hidden_group_size_z
      - .offset:         82
        .size:           2
        .value_kind:     hidden_remainder_x
      - .offset:         84
        .size:           2
        .value_kind:     hidden_remainder_y
      - .offset:         86
        .size:           2
        .value_kind:     hidden_remainder_z
      - .offset:         104
        .size:           8
        .value_kind:     hidden_global_offset_x
      - .offset:         112
        .size:           8
        .value_kind:     hidden_global_offset_y
      - .offset:         120
        .size:           8
        .value_kind:     hidden_global_offset_z
      - .offset:         128
        .size:           2
        .value_kind:     hidden_grid_dims
      - .offset:         184
        .size:           4
        .value_kind:     hidden_dynamic_lds_size
    .group_segment_fixed_size: 0
    .kernarg_segment_align: 8
    .kernarg_segment_size: 320
    .language:       OpenCL C
    .language_version:
      - 2
      - 0
    .max_flat_workgroup_size: 1024
    .name:           _ZN2at6native12_GLOBAL__N_135GammaBetaBackwardCUDAKernelTemplateIddLj32ELj32ELj256ELb0ELb1ELb1EEEvllPKT_S5_PKT0_S8_PS3_S9_
    .private_segment_fixed_size: 0
    .sgpr_count:     24
    .sgpr_spill_count: 0
    .symbol:         _ZN2at6native12_GLOBAL__N_135GammaBetaBackwardCUDAKernelTemplateIddLj32ELj32ELj256ELb0ELb1ELb1EEEvllPKT_S5_PKT0_S8_PS3_S9_.kd
    .uniform_work_group_size: 1
    .uses_dynamic_stack: false
    .vgpr_count:     54
    .vgpr_spill_count: 0
    .wavefront_size: 32
    .workgroup_processor_mode: 1
  - .args:
      - .offset:         0
        .size:           8
        .value_kind:     by_value
      - .offset:         8
        .size:           8
        .value_kind:     by_value
      - .actual_access:  read_only
        .address_space:  global
        .offset:         16
        .size:           8
        .value_kind:     global_buffer
      - .actual_access:  read_only
        .address_space:  global
        .offset:         24
        .size:           8
        .value_kind:     global_buffer
      - .actual_access:  read_only
        .address_space:  global
        .offset:         32
        .size:           8
        .value_kind:     global_buffer
      - .actual_access:  read_only
        .address_space:  global
        .offset:         40
        .size:           8
        .value_kind:     global_buffer
      - .actual_access:  write_only
        .address_space:  global
        .offset:         48
        .size:           8
        .value_kind:     global_buffer
      - .actual_access:  read_only
        .address_space:  global
        .offset:         56
        .size:           8
        .value_kind:     global_buffer
      - .offset:         64
        .size:           4
        .value_kind:     hidden_block_count_x
      - .offset:         68
        .size:           4
        .value_kind:     hidden_block_count_y
      - .offset:         72
        .size:           4
        .value_kind:     hidden_block_count_z
      - .offset:         76
        .size:           2
        .value_kind:     hidden_group_size_x
      - .offset:         78
        .size:           2
        .value_kind:     hidden_group_size_y
      - .offset:         80
        .size:           2
        .value_kind:     hidden_group_size_z
      - .offset:         82
        .size:           2
        .value_kind:     hidden_remainder_x
      - .offset:         84
        .size:           2
        .value_kind:     hidden_remainder_y
      - .offset:         86
        .size:           2
        .value_kind:     hidden_remainder_z
      - .offset:         104
        .size:           8
        .value_kind:     hidden_global_offset_x
      - .offset:         112
        .size:           8
        .value_kind:     hidden_global_offset_y
      - .offset:         120
        .size:           8
        .value_kind:     hidden_global_offset_z
      - .offset:         128
        .size:           2
        .value_kind:     hidden_grid_dims
      - .offset:         184
        .size:           4
        .value_kind:     hidden_dynamic_lds_size
    .group_segment_fixed_size: 0
    .kernarg_segment_align: 8
    .kernarg_segment_size: 320
    .language:       OpenCL C
    .language_version:
      - 2
      - 0
    .max_flat_workgroup_size: 1024
    .name:           _ZN2at6native12_GLOBAL__N_135GammaBetaBackwardCUDAKernelTemplateIddLj32ELj32ELj256ELb0ELb0ELb1EEEvllPKT_S5_PKT0_S8_PS3_S9_
    .private_segment_fixed_size: 0
    .sgpr_count:     47
    .sgpr_spill_count: 0
    .symbol:         _ZN2at6native12_GLOBAL__N_135GammaBetaBackwardCUDAKernelTemplateIddLj32ELj32ELj256ELb0ELb0ELb1EEEvllPKT_S5_PKT0_S8_PS3_S9_.kd
    .uniform_work_group_size: 1
    .uses_dynamic_stack: false
    .vgpr_count:     120
    .vgpr_spill_count: 0
    .wavefront_size: 32
    .workgroup_processor_mode: 1
  - .args:
      - .actual_access:  read_only
        .address_space:  global
        .offset:         0
        .size:           8
        .value_kind:     global_buffer
      - .actual_access:  read_only
        .address_space:  global
        .offset:         8
        .size:           8
        .value_kind:     global_buffer
      - .offset:         16
        .size:           8
        .value_kind:     by_value
      - .offset:         24
        .size:           8
        .value_kind:     by_value
      - .actual_access:  read_only
        .address_space:  global
        .offset:         32
        .size:           8
        .value_kind:     global_buffer
      - .actual_access:  read_only
        .address_space:  global
        .offset:         40
        .size:           8
        .value_kind:     global_buffer
      - .address_space:  global
        .offset:         48
        .size:           8
        .value_kind:     global_buffer
      - .address_space:  global
        .offset:         56
        .size:           8
        .value_kind:     global_buffer
      - .offset:         64
        .size:           4
        .value_kind:     hidden_block_count_x
      - .offset:         68
        .size:           4
        .value_kind:     hidden_block_count_y
      - .offset:         72
        .size:           4
        .value_kind:     hidden_block_count_z
      - .offset:         76
        .size:           2
        .value_kind:     hidden_group_size_x
      - .offset:         78
        .size:           2
        .value_kind:     hidden_group_size_y
      - .offset:         80
        .size:           2
        .value_kind:     hidden_group_size_z
      - .offset:         82
        .size:           2
        .value_kind:     hidden_remainder_x
      - .offset:         84
        .size:           2
        .value_kind:     hidden_remainder_y
      - .offset:         86
        .size:           2
        .value_kind:     hidden_remainder_z
      - .offset:         104
        .size:           8
        .value_kind:     hidden_global_offset_x
      - .offset:         112
        .size:           8
        .value_kind:     hidden_global_offset_y
      - .offset:         120
        .size:           8
        .value_kind:     hidden_global_offset_z
      - .offset:         128
        .size:           2
        .value_kind:     hidden_grid_dims
      - .offset:         184
        .size:           4
        .value_kind:     hidden_dynamic_lds_size
    .group_segment_fixed_size: 0
    .kernarg_segment_align: 8
    .kernarg_segment_size: 320
    .language:       OpenCL C
    .language_version:
      - 2
      - 0
    .max_flat_workgroup_size: 1024
    .name:           _ZN2at6native12_GLOBAL__N_118cuComputeGradInputIffLb1EEEvPKT_S5_llPKT0_S8_S5_PS3_
    .private_segment_fixed_size: 0
    .sgpr_count:     41
    .sgpr_spill_count: 0
    .symbol:         _ZN2at6native12_GLOBAL__N_118cuComputeGradInputIffLb1EEEvPKT_S5_llPKT0_S8_S5_PS3_.kd
    .uniform_work_group_size: 1
    .uses_dynamic_stack: false
    .vgpr_count:     24
    .vgpr_spill_count: 0
    .wavefront_size: 32
    .workgroup_processor_mode: 1
  - .args:
      - .actual_access:  read_only
        .address_space:  global
        .offset:         0
        .size:           8
        .value_kind:     global_buffer
      - .actual_access:  read_only
        .address_space:  global
        .offset:         8
        .size:           8
        .value_kind:     global_buffer
      - .actual_access:  read_only
        .address_space:  global
        .offset:         16
        .size:           8
        .value_kind:     global_buffer
      - .actual_access:  read_only
        .address_space:  global
        .offset:         24
        .size:           8
        .value_kind:     global_buffer
      - .actual_access:  read_only
        .address_space:  global
        .offset:         32
        .size:           8
        .value_kind:     global_buffer
      - .address_space:  global
        .offset:         40
        .size:           8
        .value_kind:     global_buffer
      - .offset:         48
        .size:           4
        .value_kind:     by_value
      - .offset:         56
        .size:           4
        .value_kind:     hidden_block_count_x
      - .offset:         60
        .size:           4
        .value_kind:     hidden_block_count_y
      - .offset:         64
        .size:           4
        .value_kind:     hidden_block_count_z
      - .offset:         68
        .size:           2
        .value_kind:     hidden_group_size_x
      - .offset:         70
        .size:           2
        .value_kind:     hidden_group_size_y
      - .offset:         72
        .size:           2
        .value_kind:     hidden_group_size_z
      - .offset:         74
        .size:           2
        .value_kind:     hidden_remainder_x
      - .offset:         76
        .size:           2
        .value_kind:     hidden_remainder_y
      - .offset:         78
        .size:           2
        .value_kind:     hidden_remainder_z
      - .offset:         96
        .size:           8
        .value_kind:     hidden_global_offset_x
      - .offset:         104
        .size:           8
        .value_kind:     hidden_global_offset_y
      - .offset:         112
        .size:           8
        .value_kind:     hidden_global_offset_z
      - .offset:         120
        .size:           2
        .value_kind:     hidden_grid_dims
      - .offset:         176
        .size:           4
        .value_kind:     hidden_dynamic_lds_size
    .group_segment_fixed_size: 0
    .kernarg_segment_align: 8
    .kernarg_segment_size: 312
    .language:       OpenCL C
    .language_version:
      - 2
      - 0
    .max_flat_workgroup_size: 1024
    .name:           _ZN2at6native12_GLOBAL__N_128layer_norm_grad_input_kernelIffLb1EEEvPKT_S5_PKT0_S8_S5_PS3_i
    .private_segment_fixed_size: 0
    .sgpr_count:     28
    .sgpr_spill_count: 0
    .symbol:         _ZN2at6native12_GLOBAL__N_128layer_norm_grad_input_kernelIffLb1EEEvPKT_S5_PKT0_S8_S5_PS3_i.kd
    .uniform_work_group_size: 1
    .uses_dynamic_stack: false
    .vgpr_count:     20
    .vgpr_spill_count: 0
    .wavefront_size: 32
    .workgroup_processor_mode: 1
  - .args:
      - .offset:         0
        .size:           8
        .value_kind:     by_value
      - .offset:         8
        .size:           8
        .value_kind:     by_value
      - .address_space:  global
        .offset:         16
        .size:           8
        .value_kind:     global_buffer
      - .address_space:  global
        .offset:         24
        .size:           8
        .value_kind:     global_buffer
      - .address_space:  global
        .offset:         32
        .size:           8
        .value_kind:     global_buffer
      - .address_space:  global
        .offset:         40
        .size:           8
        .value_kind:     global_buffer
      - .address_space:  global
        .offset:         48
        .size:           8
        .value_kind:     global_buffer
      - .address_space:  global
        .offset:         56
        .size:           8
        .value_kind:     global_buffer
      - .offset:         64
        .size:           4
        .value_kind:     hidden_block_count_x
      - .offset:         68
        .size:           4
        .value_kind:     hidden_block_count_y
      - .offset:         72
        .size:           4
        .value_kind:     hidden_block_count_z
      - .offset:         76
        .size:           2
        .value_kind:     hidden_group_size_x
      - .offset:         78
        .size:           2
        .value_kind:     hidden_group_size_y
      - .offset:         80
        .size:           2
        .value_kind:     hidden_group_size_z
      - .offset:         82
        .size:           2
        .value_kind:     hidden_remainder_x
      - .offset:         84
        .size:           2
        .value_kind:     hidden_remainder_y
      - .offset:         86
        .size:           2
        .value_kind:     hidden_remainder_z
      - .offset:         104
        .size:           8
        .value_kind:     hidden_global_offset_x
      - .offset:         112
        .size:           8
        .value_kind:     hidden_global_offset_y
      - .offset:         120
        .size:           8
        .value_kind:     hidden_global_offset_z
      - .offset:         128
        .size:           2
        .value_kind:     hidden_grid_dims
    .group_segment_fixed_size: 0
    .kernarg_segment_align: 8
    .kernarg_segment_size: 320
    .language:       OpenCL C
    .language_version:
      - 2
      - 0
    .max_flat_workgroup_size: 1024
    .name:           _ZN2at6native12_GLOBAL__N_133GammaBetaBackwardSimpleCUDAKernelIffLb1EEEvllPKT_S5_PKT0_S8_PS3_S9_
    .private_segment_fixed_size: 0
    .sgpr_count:     18
    .sgpr_spill_count: 0
    .symbol:         _ZN2at6native12_GLOBAL__N_133GammaBetaBackwardSimpleCUDAKernelIffLb1EEEvllPKT_S5_PKT0_S8_PS3_S9_.kd
    .uniform_work_group_size: 1
    .uses_dynamic_stack: false
    .vgpr_count:     10
    .vgpr_spill_count: 0
    .wavefront_size: 32
    .workgroup_processor_mode: 1
  - .args:
      - .offset:         0
        .size:           8
        .value_kind:     by_value
      - .offset:         8
        .size:           8
        .value_kind:     by_value
      - .actual_access:  read_only
        .address_space:  global
        .offset:         16
        .size:           8
        .value_kind:     global_buffer
      - .actual_access:  read_only
        .address_space:  global
        .offset:         24
        .size:           8
        .value_kind:     global_buffer
      - .actual_access:  read_only
        .address_space:  global
        .offset:         32
        .size:           8
        .value_kind:     global_buffer
      - .actual_access:  read_only
        .address_space:  global
        .offset:         40
        .size:           8
        .value_kind:     global_buffer
      - .actual_access:  write_only
        .address_space:  global
        .offset:         48
        .size:           8
        .value_kind:     global_buffer
      - .actual_access:  read_only
        .address_space:  global
        .offset:         56
        .size:           8
        .value_kind:     global_buffer
      - .offset:         64
        .size:           4
        .value_kind:     hidden_block_count_x
      - .offset:         68
        .size:           4
        .value_kind:     hidden_block_count_y
      - .offset:         72
        .size:           4
        .value_kind:     hidden_block_count_z
      - .offset:         76
        .size:           2
        .value_kind:     hidden_group_size_x
      - .offset:         78
        .size:           2
        .value_kind:     hidden_group_size_y
      - .offset:         80
        .size:           2
        .value_kind:     hidden_group_size_z
      - .offset:         82
        .size:           2
        .value_kind:     hidden_remainder_x
      - .offset:         84
        .size:           2
        .value_kind:     hidden_remainder_y
      - .offset:         86
        .size:           2
        .value_kind:     hidden_remainder_z
      - .offset:         104
        .size:           8
        .value_kind:     hidden_global_offset_x
      - .offset:         112
        .size:           8
        .value_kind:     hidden_global_offset_y
      - .offset:         120
        .size:           8
        .value_kind:     hidden_global_offset_z
      - .offset:         128
        .size:           2
        .value_kind:     hidden_grid_dims
    .group_segment_fixed_size: 0
    .kernarg_segment_align: 8
    .kernarg_segment_size: 320
    .language:       OpenCL C
    .language_version:
      - 2
      - 0
    .max_flat_workgroup_size: 64
    .name:           _ZN2at6native12_GLOBAL__N_135GammaBetaBackwardCUDAKernelTemplateIffLj64ELj1ELj32ELb1ELb1ELb1EEEvllPKT_S5_PKT0_S8_PS3_S9_
    .private_segment_fixed_size: 0
    .sgpr_count:     26
    .sgpr_spill_count: 0
    .symbol:         _ZN2at6native12_GLOBAL__N_135GammaBetaBackwardCUDAKernelTemplateIffLj64ELj1ELj32ELb1ELb1ELb1EEEvllPKT_S5_PKT0_S8_PS3_S9_.kd
    .uniform_work_group_size: 1
    .uses_dynamic_stack: false
    .vgpr_count:     96
    .vgpr_spill_count: 0
    .wavefront_size: 32
    .workgroup_processor_mode: 1
  - .args:
      - .offset:         0
        .size:           8
        .value_kind:     by_value
      - .offset:         8
        .size:           8
        .value_kind:     by_value
      - .actual_access:  read_only
        .address_space:  global
        .offset:         16
        .size:           8
        .value_kind:     global_buffer
      - .actual_access:  read_only
        .address_space:  global
        .offset:         24
        .size:           8
        .value_kind:     global_buffer
      - .actual_access:  read_only
        .address_space:  global
        .offset:         32
        .size:           8
        .value_kind:     global_buffer
      - .actual_access:  read_only
        .address_space:  global
        .offset:         40
        .size:           8
        .value_kind:     global_buffer
      - .actual_access:  write_only
        .address_space:  global
        .offset:         48
        .size:           8
        .value_kind:     global_buffer
      - .actual_access:  read_only
        .address_space:  global
        .offset:         56
        .size:           8
        .value_kind:     global_buffer
      - .offset:         64
        .size:           4
        .value_kind:     hidden_block_count_x
      - .offset:         68
        .size:           4
        .value_kind:     hidden_block_count_y
      - .offset:         72
        .size:           4
        .value_kind:     hidden_block_count_z
      - .offset:         76
        .size:           2
        .value_kind:     hidden_group_size_x
      - .offset:         78
        .size:           2
        .value_kind:     hidden_group_size_y
      - .offset:         80
        .size:           2
        .value_kind:     hidden_group_size_z
      - .offset:         82
        .size:           2
        .value_kind:     hidden_remainder_x
      - .offset:         84
        .size:           2
        .value_kind:     hidden_remainder_y
      - .offset:         86
        .size:           2
        .value_kind:     hidden_remainder_z
      - .offset:         104
        .size:           8
        .value_kind:     hidden_global_offset_x
      - .offset:         112
        .size:           8
        .value_kind:     hidden_global_offset_y
      - .offset:         120
        .size:           8
        .value_kind:     hidden_global_offset_z
      - .offset:         128
        .size:           2
        .value_kind:     hidden_grid_dims
    .group_segment_fixed_size: 0
    .kernarg_segment_align: 8
    .kernarg_segment_size: 320
    .language:       OpenCL C
    .language_version:
      - 2
      - 0
    .max_flat_workgroup_size: 64
    .name:           _ZN2at6native12_GLOBAL__N_135GammaBetaBackwardCUDAKernelTemplateIffLj64ELj1ELj32ELb1ELb0ELb1EEEvllPKT_S5_PKT0_S8_PS3_S9_
    .private_segment_fixed_size: 300
    .sgpr_count:     32
    .sgpr_spill_count: 0
    .symbol:         _ZN2at6native12_GLOBAL__N_135GammaBetaBackwardCUDAKernelTemplateIffLj64ELj1ELj32ELb1ELb0ELb1EEEvllPKT_S5_PKT0_S8_PS3_S9_.kd
    .uniform_work_group_size: 1
    .uses_dynamic_stack: false
    .vgpr_count:     256
    .vgpr_spill_count: 145
    .wavefront_size: 32
    .workgroup_processor_mode: 1
  - .args:
      - .offset:         0
        .size:           8
        .value_kind:     by_value
      - .offset:         8
        .size:           8
        .value_kind:     by_value
      - .actual_access:  read_only
        .address_space:  global
        .offset:         16
        .size:           8
        .value_kind:     global_buffer
      - .actual_access:  read_only
        .address_space:  global
        .offset:         24
        .size:           8
        .value_kind:     global_buffer
      - .actual_access:  read_only
        .address_space:  global
        .offset:         32
        .size:           8
        .value_kind:     global_buffer
      - .actual_access:  read_only
        .address_space:  global
        .offset:         40
        .size:           8
        .value_kind:     global_buffer
      - .actual_access:  write_only
        .address_space:  global
        .offset:         48
        .size:           8
        .value_kind:     global_buffer
      - .actual_access:  read_only
        .address_space:  global
        .offset:         56
        .size:           8
        .value_kind:     global_buffer
      - .offset:         64
        .size:           4
        .value_kind:     hidden_block_count_x
      - .offset:         68
        .size:           4
        .value_kind:     hidden_block_count_y
      - .offset:         72
        .size:           4
        .value_kind:     hidden_block_count_z
      - .offset:         76
        .size:           2
        .value_kind:     hidden_group_size_x
      - .offset:         78
        .size:           2
        .value_kind:     hidden_group_size_y
      - .offset:         80
        .size:           2
        .value_kind:     hidden_group_size_z
      - .offset:         82
        .size:           2
        .value_kind:     hidden_remainder_x
      - .offset:         84
        .size:           2
        .value_kind:     hidden_remainder_y
      - .offset:         86
        .size:           2
        .value_kind:     hidden_remainder_z
      - .offset:         104
        .size:           8
        .value_kind:     hidden_global_offset_x
      - .offset:         112
        .size:           8
        .value_kind:     hidden_global_offset_y
      - .offset:         120
        .size:           8
        .value_kind:     hidden_global_offset_z
      - .offset:         128
        .size:           2
        .value_kind:     hidden_grid_dims
    .group_segment_fixed_size: 0
    .kernarg_segment_align: 8
    .kernarg_segment_size: 320
    .language:       OpenCL C
    .language_version:
      - 2
      - 0
    .max_flat_workgroup_size: 64
    .name:           _ZN2at6native12_GLOBAL__N_135GammaBetaBackwardCUDAKernelTemplateIffLj64ELj1ELj8ELb1ELb1ELb1EEEvllPKT_S5_PKT0_S8_PS3_S9_
    .private_segment_fixed_size: 0
    .sgpr_count:     28
    .sgpr_spill_count: 0
    .symbol:         _ZN2at6native12_GLOBAL__N_135GammaBetaBackwardCUDAKernelTemplateIffLj64ELj1ELj8ELb1ELb1ELb1EEEvllPKT_S5_PKT0_S8_PS3_S9_.kd
    .uniform_work_group_size: 1
    .uses_dynamic_stack: false
    .vgpr_count:     40
    .vgpr_spill_count: 0
    .wavefront_size: 32
    .workgroup_processor_mode: 1
  - .args:
      - .offset:         0
        .size:           8
        .value_kind:     by_value
      - .offset:         8
        .size:           8
        .value_kind:     by_value
      - .actual_access:  read_only
        .address_space:  global
        .offset:         16
        .size:           8
        .value_kind:     global_buffer
      - .actual_access:  read_only
        .address_space:  global
        .offset:         24
        .size:           8
        .value_kind:     global_buffer
      - .actual_access:  read_only
        .address_space:  global
        .offset:         32
        .size:           8
        .value_kind:     global_buffer
      - .actual_access:  read_only
        .address_space:  global
        .offset:         40
        .size:           8
        .value_kind:     global_buffer
      - .actual_access:  write_only
        .address_space:  global
        .offset:         48
        .size:           8
        .value_kind:     global_buffer
      - .actual_access:  read_only
        .address_space:  global
        .offset:         56
        .size:           8
        .value_kind:     global_buffer
      - .offset:         64
        .size:           4
        .value_kind:     hidden_block_count_x
      - .offset:         68
        .size:           4
        .value_kind:     hidden_block_count_y
      - .offset:         72
        .size:           4
        .value_kind:     hidden_block_count_z
      - .offset:         76
        .size:           2
        .value_kind:     hidden_group_size_x
      - .offset:         78
        .size:           2
        .value_kind:     hidden_group_size_y
      - .offset:         80
        .size:           2
        .value_kind:     hidden_group_size_z
      - .offset:         82
        .size:           2
        .value_kind:     hidden_remainder_x
      - .offset:         84
        .size:           2
        .value_kind:     hidden_remainder_y
      - .offset:         86
        .size:           2
        .value_kind:     hidden_remainder_z
      - .offset:         104
        .size:           8
        .value_kind:     hidden_global_offset_x
      - .offset:         112
        .size:           8
        .value_kind:     hidden_global_offset_y
      - .offset:         120
        .size:           8
        .value_kind:     hidden_global_offset_z
      - .offset:         128
        .size:           2
        .value_kind:     hidden_grid_dims
    .group_segment_fixed_size: 0
    .kernarg_segment_align: 8
    .kernarg_segment_size: 320
    .language:       OpenCL C
    .language_version:
      - 2
      - 0
    .max_flat_workgroup_size: 64
    .name:           _ZN2at6native12_GLOBAL__N_135GammaBetaBackwardCUDAKernelTemplateIffLj64ELj1ELj8ELb1ELb0ELb1EEEvllPKT_S5_PKT0_S8_PS3_S9_
    .private_segment_fixed_size: 0
    .sgpr_count:     39
    .sgpr_spill_count: 0
    .symbol:         _ZN2at6native12_GLOBAL__N_135GammaBetaBackwardCUDAKernelTemplateIffLj64ELj1ELj8ELb1ELb0ELb1EEEvllPKT_S5_PKT0_S8_PS3_S9_.kd
    .uniform_work_group_size: 1
    .uses_dynamic_stack: false
    .vgpr_count:     95
    .vgpr_spill_count: 0
    .wavefront_size: 32
    .workgroup_processor_mode: 1
  - .args:
      - .offset:         0
        .size:           8
        .value_kind:     by_value
      - .offset:         8
        .size:           8
        .value_kind:     by_value
      - .actual_access:  read_only
        .address_space:  global
        .offset:         16
        .size:           8
        .value_kind:     global_buffer
      - .actual_access:  read_only
        .address_space:  global
        .offset:         24
        .size:           8
        .value_kind:     global_buffer
      - .actual_access:  read_only
        .address_space:  global
        .offset:         32
        .size:           8
        .value_kind:     global_buffer
      - .actual_access:  read_only
        .address_space:  global
        .offset:         40
        .size:           8
        .value_kind:     global_buffer
      - .actual_access:  write_only
        .address_space:  global
        .offset:         48
        .size:           8
        .value_kind:     global_buffer
      - .actual_access:  read_only
        .address_space:  global
        .offset:         56
        .size:           8
        .value_kind:     global_buffer
      - .offset:         64
        .size:           4
        .value_kind:     hidden_block_count_x
      - .offset:         68
        .size:           4
        .value_kind:     hidden_block_count_y
      - .offset:         72
        .size:           4
        .value_kind:     hidden_block_count_z
      - .offset:         76
        .size:           2
        .value_kind:     hidden_group_size_x
      - .offset:         78
        .size:           2
        .value_kind:     hidden_group_size_y
      - .offset:         80
        .size:           2
        .value_kind:     hidden_group_size_z
      - .offset:         82
        .size:           2
        .value_kind:     hidden_remainder_x
      - .offset:         84
        .size:           2
        .value_kind:     hidden_remainder_y
      - .offset:         86
        .size:           2
        .value_kind:     hidden_remainder_z
      - .offset:         104
        .size:           8
        .value_kind:     hidden_global_offset_x
      - .offset:         112
        .size:           8
        .value_kind:     hidden_global_offset_y
      - .offset:         120
        .size:           8
        .value_kind:     hidden_global_offset_z
      - .offset:         128
        .size:           2
        .value_kind:     hidden_grid_dims
      - .offset:         184
        .size:           4
        .value_kind:     hidden_dynamic_lds_size
    .group_segment_fixed_size: 0
    .kernarg_segment_align: 8
    .kernarg_segment_size: 320
    .language:       OpenCL C
    .language_version:
      - 2
      - 0
    .max_flat_workgroup_size: 512
    .name:           _ZN2at6native12_GLOBAL__N_135GammaBetaBackwardCUDAKernelTemplateIffLj64ELj8ELj64ELb0ELb1ELb1EEEvllPKT_S5_PKT0_S8_PS3_S9_
    .private_segment_fixed_size: 0
    .sgpr_count:     24
    .sgpr_spill_count: 0
    .symbol:         _ZN2at6native12_GLOBAL__N_135GammaBetaBackwardCUDAKernelTemplateIffLj64ELj8ELj64ELb0ELb1ELb1EEEvllPKT_S5_PKT0_S8_PS3_S9_.kd
    .uniform_work_group_size: 1
    .uses_dynamic_stack: false
    .vgpr_count:     40
    .vgpr_spill_count: 0
    .wavefront_size: 32
    .workgroup_processor_mode: 1
  - .args:
      - .offset:         0
        .size:           8
        .value_kind:     by_value
      - .offset:         8
        .size:           8
        .value_kind:     by_value
      - .actual_access:  read_only
        .address_space:  global
        .offset:         16
        .size:           8
        .value_kind:     global_buffer
      - .actual_access:  read_only
        .address_space:  global
        .offset:         24
        .size:           8
        .value_kind:     global_buffer
      - .actual_access:  read_only
        .address_space:  global
        .offset:         32
        .size:           8
        .value_kind:     global_buffer
      - .actual_access:  read_only
        .address_space:  global
        .offset:         40
        .size:           8
        .value_kind:     global_buffer
      - .actual_access:  write_only
        .address_space:  global
        .offset:         48
        .size:           8
        .value_kind:     global_buffer
      - .actual_access:  read_only
        .address_space:  global
        .offset:         56
        .size:           8
        .value_kind:     global_buffer
      - .offset:         64
        .size:           4
        .value_kind:     hidden_block_count_x
      - .offset:         68
        .size:           4
        .value_kind:     hidden_block_count_y
      - .offset:         72
        .size:           4
        .value_kind:     hidden_block_count_z
      - .offset:         76
        .size:           2
        .value_kind:     hidden_group_size_x
      - .offset:         78
        .size:           2
        .value_kind:     hidden_group_size_y
      - .offset:         80
        .size:           2
        .value_kind:     hidden_group_size_z
      - .offset:         82
        .size:           2
        .value_kind:     hidden_remainder_x
      - .offset:         84
        .size:           2
        .value_kind:     hidden_remainder_y
      - .offset:         86
        .size:           2
        .value_kind:     hidden_remainder_z
      - .offset:         104
        .size:           8
        .value_kind:     hidden_global_offset_x
      - .offset:         112
        .size:           8
        .value_kind:     hidden_global_offset_y
      - .offset:         120
        .size:           8
        .value_kind:     hidden_global_offset_z
      - .offset:         128
        .size:           2
        .value_kind:     hidden_grid_dims
      - .offset:         184
        .size:           4
        .value_kind:     hidden_dynamic_lds_size
    .group_segment_fixed_size: 0
    .kernarg_segment_align: 8
    .kernarg_segment_size: 320
    .language:       OpenCL C
    .language_version:
      - 2
      - 0
    .max_flat_workgroup_size: 512
    .name:           _ZN2at6native12_GLOBAL__N_135GammaBetaBackwardCUDAKernelTemplateIffLj64ELj8ELj64ELb0ELb0ELb1EEEvllPKT_S5_PKT0_S8_PS3_S9_
    .private_segment_fixed_size: 0
    .sgpr_count:     39
    .sgpr_spill_count: 0
    .symbol:         _ZN2at6native12_GLOBAL__N_135GammaBetaBackwardCUDAKernelTemplateIffLj64ELj8ELj64ELb0ELb0ELb1EEEvllPKT_S5_PKT0_S8_PS3_S9_.kd
    .uniform_work_group_size: 1
    .uses_dynamic_stack: false
    .vgpr_count:     94
    .vgpr_spill_count: 0
    .wavefront_size: 32
    .workgroup_processor_mode: 1
  - .args:
      - .offset:         0
        .size:           8
        .value_kind:     by_value
      - .offset:         8
        .size:           8
        .value_kind:     by_value
      - .actual_access:  read_only
        .address_space:  global
        .offset:         16
        .size:           8
        .value_kind:     global_buffer
      - .actual_access:  read_only
        .address_space:  global
        .offset:         24
        .size:           8
        .value_kind:     global_buffer
      - .actual_access:  read_only
        .address_space:  global
        .offset:         32
        .size:           8
        .value_kind:     global_buffer
      - .actual_access:  read_only
        .address_space:  global
        .offset:         40
        .size:           8
        .value_kind:     global_buffer
      - .actual_access:  write_only
        .address_space:  global
        .offset:         48
        .size:           8
        .value_kind:     global_buffer
      - .actual_access:  read_only
        .address_space:  global
        .offset:         56
        .size:           8
        .value_kind:     global_buffer
      - .offset:         64
        .size:           4
        .value_kind:     hidden_block_count_x
      - .offset:         68
        .size:           4
        .value_kind:     hidden_block_count_y
      - .offset:         72
        .size:           4
        .value_kind:     hidden_block_count_z
      - .offset:         76
        .size:           2
        .value_kind:     hidden_group_size_x
      - .offset:         78
        .size:           2
        .value_kind:     hidden_group_size_y
      - .offset:         80
        .size:           2
        .value_kind:     hidden_group_size_z
      - .offset:         82
        .size:           2
        .value_kind:     hidden_remainder_x
      - .offset:         84
        .size:           2
        .value_kind:     hidden_remainder_y
      - .offset:         86
        .size:           2
        .value_kind:     hidden_remainder_z
      - .offset:         104
        .size:           8
        .value_kind:     hidden_global_offset_x
      - .offset:         112
        .size:           8
        .value_kind:     hidden_global_offset_y
      - .offset:         120
        .size:           8
        .value_kind:     hidden_global_offset_z
      - .offset:         128
        .size:           2
        .value_kind:     hidden_grid_dims
      - .offset:         184
        .size:           4
        .value_kind:     hidden_dynamic_lds_size
    .group_segment_fixed_size: 0
    .kernarg_segment_align: 8
    .kernarg_segment_size: 320
    .language:       OpenCL C
    .language_version:
      - 2
      - 0
    .max_flat_workgroup_size: 1024
    .name:           _ZN2at6native12_GLOBAL__N_135GammaBetaBackwardCUDAKernelTemplateIffLj64ELj16ELj128ELb0ELb1ELb1EEEvllPKT_S5_PKT0_S8_PS3_S9_
    .private_segment_fixed_size: 0
    .sgpr_count:     24
    .sgpr_spill_count: 0
    .symbol:         _ZN2at6native12_GLOBAL__N_135GammaBetaBackwardCUDAKernelTemplateIffLj64ELj16ELj128ELb0ELb1ELb1EEEvllPKT_S5_PKT0_S8_PS3_S9_.kd
    .uniform_work_group_size: 1
    .uses_dynamic_stack: false
    .vgpr_count:     40
    .vgpr_spill_count: 0
    .wavefront_size: 32
    .workgroup_processor_mode: 1
  - .args:
      - .offset:         0
        .size:           8
        .value_kind:     by_value
      - .offset:         8
        .size:           8
        .value_kind:     by_value
      - .actual_access:  read_only
        .address_space:  global
        .offset:         16
        .size:           8
        .value_kind:     global_buffer
      - .actual_access:  read_only
        .address_space:  global
        .offset:         24
        .size:           8
        .value_kind:     global_buffer
      - .actual_access:  read_only
        .address_space:  global
        .offset:         32
        .size:           8
        .value_kind:     global_buffer
      - .actual_access:  read_only
        .address_space:  global
        .offset:         40
        .size:           8
        .value_kind:     global_buffer
      - .actual_access:  write_only
        .address_space:  global
        .offset:         48
        .size:           8
        .value_kind:     global_buffer
      - .actual_access:  read_only
        .address_space:  global
        .offset:         56
        .size:           8
        .value_kind:     global_buffer
      - .offset:         64
        .size:           4
        .value_kind:     hidden_block_count_x
      - .offset:         68
        .size:           4
        .value_kind:     hidden_block_count_y
      - .offset:         72
        .size:           4
        .value_kind:     hidden_block_count_z
      - .offset:         76
        .size:           2
        .value_kind:     hidden_group_size_x
      - .offset:         78
        .size:           2
        .value_kind:     hidden_group_size_y
      - .offset:         80
        .size:           2
        .value_kind:     hidden_group_size_z
      - .offset:         82
        .size:           2
        .value_kind:     hidden_remainder_x
      - .offset:         84
        .size:           2
        .value_kind:     hidden_remainder_y
      - .offset:         86
        .size:           2
        .value_kind:     hidden_remainder_z
      - .offset:         104
        .size:           8
        .value_kind:     hidden_global_offset_x
      - .offset:         112
        .size:           8
        .value_kind:     hidden_global_offset_y
      - .offset:         120
        .size:           8
        .value_kind:     hidden_global_offset_z
      - .offset:         128
        .size:           2
        .value_kind:     hidden_grid_dims
      - .offset:         184
        .size:           4
        .value_kind:     hidden_dynamic_lds_size
    .group_segment_fixed_size: 0
    .kernarg_segment_align: 8
    .kernarg_segment_size: 320
    .language:       OpenCL C
    .language_version:
      - 2
      - 0
    .max_flat_workgroup_size: 1024
    .name:           _ZN2at6native12_GLOBAL__N_135GammaBetaBackwardCUDAKernelTemplateIffLj64ELj16ELj128ELb0ELb0ELb1EEEvllPKT_S5_PKT0_S8_PS3_S9_
    .private_segment_fixed_size: 0
    .sgpr_count:     39
    .sgpr_spill_count: 0
    .symbol:         _ZN2at6native12_GLOBAL__N_135GammaBetaBackwardCUDAKernelTemplateIffLj64ELj16ELj128ELb0ELb0ELb1EEEvllPKT_S5_PKT0_S8_PS3_S9_.kd
    .uniform_work_group_size: 1
    .uses_dynamic_stack: false
    .vgpr_count:     94
    .vgpr_spill_count: 0
    .wavefront_size: 32
    .workgroup_processor_mode: 1
  - .args:
      - .offset:         0
        .size:           8
        .value_kind:     by_value
      - .offset:         8
        .size:           8
        .value_kind:     by_value
      - .actual_access:  read_only
        .address_space:  global
        .offset:         16
        .size:           8
        .value_kind:     global_buffer
      - .actual_access:  read_only
        .address_space:  global
        .offset:         24
        .size:           8
        .value_kind:     global_buffer
      - .actual_access:  read_only
        .address_space:  global
        .offset:         32
        .size:           8
        .value_kind:     global_buffer
      - .actual_access:  read_only
        .address_space:  global
        .offset:         40
        .size:           8
        .value_kind:     global_buffer
      - .actual_access:  write_only
        .address_space:  global
        .offset:         48
        .size:           8
        .value_kind:     global_buffer
      - .actual_access:  read_only
        .address_space:  global
        .offset:         56
        .size:           8
        .value_kind:     global_buffer
      - .offset:         64
        .size:           4
        .value_kind:     hidden_block_count_x
      - .offset:         68
        .size:           4
        .value_kind:     hidden_block_count_y
      - .offset:         72
        .size:           4
        .value_kind:     hidden_block_count_z
      - .offset:         76
        .size:           2
        .value_kind:     hidden_group_size_x
      - .offset:         78
        .size:           2
        .value_kind:     hidden_group_size_y
      - .offset:         80
        .size:           2
        .value_kind:     hidden_group_size_z
      - .offset:         82
        .size:           2
        .value_kind:     hidden_remainder_x
      - .offset:         84
        .size:           2
        .value_kind:     hidden_remainder_y
      - .offset:         86
        .size:           2
        .value_kind:     hidden_remainder_z
      - .offset:         104
        .size:           8
        .value_kind:     hidden_global_offset_x
      - .offset:         112
        .size:           8
        .value_kind:     hidden_global_offset_y
      - .offset:         120
        .size:           8
        .value_kind:     hidden_global_offset_z
      - .offset:         128
        .size:           2
        .value_kind:     hidden_grid_dims
      - .offset:         184
        .size:           4
        .value_kind:     hidden_dynamic_lds_size
    .group_segment_fixed_size: 0
    .kernarg_segment_align: 8
    .kernarg_segment_size: 320
    .language:       OpenCL C
    .language_version:
      - 2
      - 0
    .max_flat_workgroup_size: 1024
    .name:           _ZN2at6native12_GLOBAL__N_135GammaBetaBackwardCUDAKernelTemplateIffLj64ELj16ELj256ELb0ELb1ELb1EEEvllPKT_S5_PKT0_S8_PS3_S9_
    .private_segment_fixed_size: 0
    .sgpr_count:     24
    .sgpr_spill_count: 0
    .symbol:         _ZN2at6native12_GLOBAL__N_135GammaBetaBackwardCUDAKernelTemplateIffLj64ELj16ELj256ELb0ELb1ELb1EEEvllPKT_S5_PKT0_S8_PS3_S9_.kd
    .uniform_work_group_size: 1
    .uses_dynamic_stack: false
    .vgpr_count:     64
    .vgpr_spill_count: 0
    .wavefront_size: 32
    .workgroup_processor_mode: 1
  - .args:
      - .offset:         0
        .size:           8
        .value_kind:     by_value
      - .offset:         8
        .size:           8
        .value_kind:     by_value
      - .actual_access:  read_only
        .address_space:  global
        .offset:         16
        .size:           8
        .value_kind:     global_buffer
      - .actual_access:  read_only
        .address_space:  global
        .offset:         24
        .size:           8
        .value_kind:     global_buffer
      - .actual_access:  read_only
        .address_space:  global
        .offset:         32
        .size:           8
        .value_kind:     global_buffer
      - .actual_access:  read_only
        .address_space:  global
        .offset:         40
        .size:           8
        .value_kind:     global_buffer
      - .actual_access:  write_only
        .address_space:  global
        .offset:         48
        .size:           8
        .value_kind:     global_buffer
      - .actual_access:  read_only
        .address_space:  global
        .offset:         56
        .size:           8
        .value_kind:     global_buffer
      - .offset:         64
        .size:           4
        .value_kind:     hidden_block_count_x
      - .offset:         68
        .size:           4
        .value_kind:     hidden_block_count_y
      - .offset:         72
        .size:           4
        .value_kind:     hidden_block_count_z
      - .offset:         76
        .size:           2
        .value_kind:     hidden_group_size_x
      - .offset:         78
        .size:           2
        .value_kind:     hidden_group_size_y
      - .offset:         80
        .size:           2
        .value_kind:     hidden_group_size_z
      - .offset:         82
        .size:           2
        .value_kind:     hidden_remainder_x
      - .offset:         84
        .size:           2
        .value_kind:     hidden_remainder_y
      - .offset:         86
        .size:           2
        .value_kind:     hidden_remainder_z
      - .offset:         104
        .size:           8
        .value_kind:     hidden_global_offset_x
      - .offset:         112
        .size:           8
        .value_kind:     hidden_global_offset_y
      - .offset:         120
        .size:           8
        .value_kind:     hidden_global_offset_z
      - .offset:         128
        .size:           2
        .value_kind:     hidden_grid_dims
      - .offset:         184
        .size:           4
        .value_kind:     hidden_dynamic_lds_size
    .group_segment_fixed_size: 0
    .kernarg_segment_align: 8
    .kernarg_segment_size: 320
    .language:       OpenCL C
    .language_version:
      - 2
      - 0
    .max_flat_workgroup_size: 1024
    .name:           _ZN2at6native12_GLOBAL__N_135GammaBetaBackwardCUDAKernelTemplateIffLj64ELj16ELj256ELb0ELb0ELb1EEEvllPKT_S5_PKT0_S8_PS3_S9_
    .private_segment_fixed_size: 0
    .sgpr_count:     47
    .sgpr_spill_count: 0
    .symbol:         _ZN2at6native12_GLOBAL__N_135GammaBetaBackwardCUDAKernelTemplateIffLj64ELj16ELj256ELb0ELb0ELb1EEEvllPKT_S5_PKT0_S8_PS3_S9_.kd
    .uniform_work_group_size: 1
    .uses_dynamic_stack: false
    .vgpr_count:     182
    .vgpr_spill_count: 0
    .wavefront_size: 32
    .workgroup_processor_mode: 1
  - .args:
      - .offset:         0
        .size:           8
        .value_kind:     by_value
      - .offset:         8
        .size:           8
        .value_kind:     by_value
      - .actual_access:  read_only
        .address_space:  global
        .offset:         16
        .size:           8
        .value_kind:     global_buffer
      - .actual_access:  read_only
        .address_space:  global
        .offset:         24
        .size:           8
        .value_kind:     global_buffer
      - .actual_access:  read_only
        .address_space:  global
        .offset:         32
        .size:           8
        .value_kind:     global_buffer
      - .actual_access:  read_only
        .address_space:  global
        .offset:         40
        .size:           8
        .value_kind:     global_buffer
      - .actual_access:  write_only
        .address_space:  global
        .offset:         48
        .size:           8
        .value_kind:     global_buffer
      - .actual_access:  read_only
        .address_space:  global
        .offset:         56
        .size:           8
        .value_kind:     global_buffer
      - .offset:         64
        .size:           4
        .value_kind:     hidden_block_count_x
      - .offset:         68
        .size:           4
        .value_kind:     hidden_block_count_y
      - .offset:         72
        .size:           4
        .value_kind:     hidden_block_count_z
      - .offset:         76
        .size:           2
        .value_kind:     hidden_group_size_x
      - .offset:         78
        .size:           2
        .value_kind:     hidden_group_size_y
      - .offset:         80
        .size:           2
        .value_kind:     hidden_group_size_z
      - .offset:         82
        .size:           2
        .value_kind:     hidden_remainder_x
      - .offset:         84
        .size:           2
        .value_kind:     hidden_remainder_y
      - .offset:         86
        .size:           2
        .value_kind:     hidden_remainder_z
      - .offset:         104
        .size:           8
        .value_kind:     hidden_global_offset_x
      - .offset:         112
        .size:           8
        .value_kind:     hidden_global_offset_y
      - .offset:         120
        .size:           8
        .value_kind:     hidden_global_offset_z
      - .offset:         128
        .size:           2
        .value_kind:     hidden_grid_dims
    .group_segment_fixed_size: 0
    .kernarg_segment_align: 8
    .kernarg_segment_size: 320
    .language:       OpenCL C
    .language_version:
      - 2
      - 0
    .max_flat_workgroup_size: 32
    .name:           _ZN2at6native12_GLOBAL__N_135GammaBetaBackwardCUDAKernelTemplateIffLj32ELj1ELj32ELb1ELb1ELb1EEEvllPKT_S5_PKT0_S8_PS3_S9_
    .private_segment_fixed_size: 0
    .sgpr_count:     26
    .sgpr_spill_count: 0
    .symbol:         _ZN2at6native12_GLOBAL__N_135GammaBetaBackwardCUDAKernelTemplateIffLj32ELj1ELj32ELb1ELb1ELb1EEEvllPKT_S5_PKT0_S8_PS3_S9_.kd
    .uniform_work_group_size: 1
    .uses_dynamic_stack: false
    .vgpr_count:     96
    .vgpr_spill_count: 0
    .wavefront_size: 32
    .workgroup_processor_mode: 1
  - .args:
      - .offset:         0
        .size:           8
        .value_kind:     by_value
      - .offset:         8
        .size:           8
        .value_kind:     by_value
      - .actual_access:  read_only
        .address_space:  global
        .offset:         16
        .size:           8
        .value_kind:     global_buffer
      - .actual_access:  read_only
        .address_space:  global
        .offset:         24
        .size:           8
        .value_kind:     global_buffer
      - .actual_access:  read_only
        .address_space:  global
        .offset:         32
        .size:           8
        .value_kind:     global_buffer
      - .actual_access:  read_only
        .address_space:  global
        .offset:         40
        .size:           8
        .value_kind:     global_buffer
      - .actual_access:  write_only
        .address_space:  global
        .offset:         48
        .size:           8
        .value_kind:     global_buffer
      - .actual_access:  read_only
        .address_space:  global
        .offset:         56
        .size:           8
        .value_kind:     global_buffer
      - .offset:         64
        .size:           4
        .value_kind:     hidden_block_count_x
      - .offset:         68
        .size:           4
        .value_kind:     hidden_block_count_y
      - .offset:         72
        .size:           4
        .value_kind:     hidden_block_count_z
      - .offset:         76
        .size:           2
        .value_kind:     hidden_group_size_x
      - .offset:         78
        .size:           2
        .value_kind:     hidden_group_size_y
      - .offset:         80
        .size:           2
        .value_kind:     hidden_group_size_z
      - .offset:         82
        .size:           2
        .value_kind:     hidden_remainder_x
      - .offset:         84
        .size:           2
        .value_kind:     hidden_remainder_y
      - .offset:         86
        .size:           2
        .value_kind:     hidden_remainder_z
      - .offset:         104
        .size:           8
        .value_kind:     hidden_global_offset_x
      - .offset:         112
        .size:           8
        .value_kind:     hidden_global_offset_y
      - .offset:         120
        .size:           8
        .value_kind:     hidden_global_offset_z
      - .offset:         128
        .size:           2
        .value_kind:     hidden_grid_dims
    .group_segment_fixed_size: 0
    .kernarg_segment_align: 8
    .kernarg_segment_size: 320
    .language:       OpenCL C
    .language_version:
      - 2
      - 0
    .max_flat_workgroup_size: 32
    .name:           _ZN2at6native12_GLOBAL__N_135GammaBetaBackwardCUDAKernelTemplateIffLj32ELj1ELj32ELb1ELb0ELb1EEEvllPKT_S5_PKT0_S8_PS3_S9_
    .private_segment_fixed_size: 300
    .sgpr_count:     32
    .sgpr_spill_count: 0
    .symbol:         _ZN2at6native12_GLOBAL__N_135GammaBetaBackwardCUDAKernelTemplateIffLj32ELj1ELj32ELb1ELb0ELb1EEEvllPKT_S5_PKT0_S8_PS3_S9_.kd
    .uniform_work_group_size: 1
    .uses_dynamic_stack: false
    .vgpr_count:     256
    .vgpr_spill_count: 145
    .wavefront_size: 32
    .workgroup_processor_mode: 1
  - .args:
      - .offset:         0
        .size:           8
        .value_kind:     by_value
      - .offset:         8
        .size:           8
        .value_kind:     by_value
      - .actual_access:  read_only
        .address_space:  global
        .offset:         16
        .size:           8
        .value_kind:     global_buffer
      - .actual_access:  read_only
        .address_space:  global
        .offset:         24
        .size:           8
        .value_kind:     global_buffer
      - .actual_access:  read_only
        .address_space:  global
        .offset:         32
        .size:           8
        .value_kind:     global_buffer
      - .actual_access:  read_only
        .address_space:  global
        .offset:         40
        .size:           8
        .value_kind:     global_buffer
      - .actual_access:  write_only
        .address_space:  global
        .offset:         48
        .size:           8
        .value_kind:     global_buffer
      - .actual_access:  read_only
        .address_space:  global
        .offset:         56
        .size:           8
        .value_kind:     global_buffer
      - .offset:         64
        .size:           4
        .value_kind:     hidden_block_count_x
      - .offset:         68
        .size:           4
        .value_kind:     hidden_block_count_y
      - .offset:         72
        .size:           4
        .value_kind:     hidden_block_count_z
      - .offset:         76
        .size:           2
        .value_kind:     hidden_group_size_x
      - .offset:         78
        .size:           2
        .value_kind:     hidden_group_size_y
      - .offset:         80
        .size:           2
        .value_kind:     hidden_group_size_z
      - .offset:         82
        .size:           2
        .value_kind:     hidden_remainder_x
      - .offset:         84
        .size:           2
        .value_kind:     hidden_remainder_y
      - .offset:         86
        .size:           2
        .value_kind:     hidden_remainder_z
      - .offset:         104
        .size:           8
        .value_kind:     hidden_global_offset_x
      - .offset:         112
        .size:           8
        .value_kind:     hidden_global_offset_y
      - .offset:         120
        .size:           8
        .value_kind:     hidden_global_offset_z
      - .offset:         128
        .size:           2
        .value_kind:     hidden_grid_dims
    .group_segment_fixed_size: 0
    .kernarg_segment_align: 8
    .kernarg_segment_size: 320
    .language:       OpenCL C
    .language_version:
      - 2
      - 0
    .max_flat_workgroup_size: 32
    .name:           _ZN2at6native12_GLOBAL__N_135GammaBetaBackwardCUDAKernelTemplateIffLj32ELj1ELj8ELb1ELb1ELb1EEEvllPKT_S5_PKT0_S8_PS3_S9_
    .private_segment_fixed_size: 0
    .sgpr_count:     28
    .sgpr_spill_count: 0
    .symbol:         _ZN2at6native12_GLOBAL__N_135GammaBetaBackwardCUDAKernelTemplateIffLj32ELj1ELj8ELb1ELb1ELb1EEEvllPKT_S5_PKT0_S8_PS3_S9_.kd
    .uniform_work_group_size: 1
    .uses_dynamic_stack: false
    .vgpr_count:     40
    .vgpr_spill_count: 0
    .wavefront_size: 32
    .workgroup_processor_mode: 1
  - .args:
      - .offset:         0
        .size:           8
        .value_kind:     by_value
      - .offset:         8
        .size:           8
        .value_kind:     by_value
      - .actual_access:  read_only
        .address_space:  global
        .offset:         16
        .size:           8
        .value_kind:     global_buffer
      - .actual_access:  read_only
        .address_space:  global
        .offset:         24
        .size:           8
        .value_kind:     global_buffer
      - .actual_access:  read_only
        .address_space:  global
        .offset:         32
        .size:           8
        .value_kind:     global_buffer
      - .actual_access:  read_only
        .address_space:  global
        .offset:         40
        .size:           8
        .value_kind:     global_buffer
      - .actual_access:  write_only
        .address_space:  global
        .offset:         48
        .size:           8
        .value_kind:     global_buffer
      - .actual_access:  read_only
        .address_space:  global
        .offset:         56
        .size:           8
        .value_kind:     global_buffer
      - .offset:         64
        .size:           4
        .value_kind:     hidden_block_count_x
      - .offset:         68
        .size:           4
        .value_kind:     hidden_block_count_y
      - .offset:         72
        .size:           4
        .value_kind:     hidden_block_count_z
      - .offset:         76
        .size:           2
        .value_kind:     hidden_group_size_x
      - .offset:         78
        .size:           2
        .value_kind:     hidden_group_size_y
      - .offset:         80
        .size:           2
        .value_kind:     hidden_group_size_z
      - .offset:         82
        .size:           2
        .value_kind:     hidden_remainder_x
      - .offset:         84
        .size:           2
        .value_kind:     hidden_remainder_y
      - .offset:         86
        .size:           2
        .value_kind:     hidden_remainder_z
      - .offset:         104
        .size:           8
        .value_kind:     hidden_global_offset_x
      - .offset:         112
        .size:           8
        .value_kind:     hidden_global_offset_y
      - .offset:         120
        .size:           8
        .value_kind:     hidden_global_offset_z
      - .offset:         128
        .size:           2
        .value_kind:     hidden_grid_dims
    .group_segment_fixed_size: 0
    .kernarg_segment_align: 8
    .kernarg_segment_size: 320
    .language:       OpenCL C
    .language_version:
      - 2
      - 0
    .max_flat_workgroup_size: 32
    .name:           _ZN2at6native12_GLOBAL__N_135GammaBetaBackwardCUDAKernelTemplateIffLj32ELj1ELj8ELb1ELb0ELb1EEEvllPKT_S5_PKT0_S8_PS3_S9_
    .private_segment_fixed_size: 0
    .sgpr_count:     39
    .sgpr_spill_count: 0
    .symbol:         _ZN2at6native12_GLOBAL__N_135GammaBetaBackwardCUDAKernelTemplateIffLj32ELj1ELj8ELb1ELb0ELb1EEEvllPKT_S5_PKT0_S8_PS3_S9_.kd
    .uniform_work_group_size: 1
    .uses_dynamic_stack: false
    .vgpr_count:     95
    .vgpr_spill_count: 0
    .wavefront_size: 32
    .workgroup_processor_mode: 1
  - .args:
      - .offset:         0
        .size:           8
        .value_kind:     by_value
      - .offset:         8
        .size:           8
        .value_kind:     by_value
      - .actual_access:  read_only
        .address_space:  global
        .offset:         16
        .size:           8
        .value_kind:     global_buffer
      - .actual_access:  read_only
        .address_space:  global
        .offset:         24
        .size:           8
        .value_kind:     global_buffer
      - .actual_access:  read_only
        .address_space:  global
        .offset:         32
        .size:           8
        .value_kind:     global_buffer
      - .actual_access:  read_only
        .address_space:  global
        .offset:         40
        .size:           8
        .value_kind:     global_buffer
      - .actual_access:  write_only
        .address_space:  global
        .offset:         48
        .size:           8
        .value_kind:     global_buffer
      - .actual_access:  read_only
        .address_space:  global
        .offset:         56
        .size:           8
        .value_kind:     global_buffer
      - .offset:         64
        .size:           4
        .value_kind:     hidden_block_count_x
      - .offset:         68
        .size:           4
        .value_kind:     hidden_block_count_y
      - .offset:         72
        .size:           4
        .value_kind:     hidden_block_count_z
      - .offset:         76
        .size:           2
        .value_kind:     hidden_group_size_x
      - .offset:         78
        .size:           2
        .value_kind:     hidden_group_size_y
      - .offset:         80
        .size:           2
        .value_kind:     hidden_group_size_z
      - .offset:         82
        .size:           2
        .value_kind:     hidden_remainder_x
      - .offset:         84
        .size:           2
        .value_kind:     hidden_remainder_y
      - .offset:         86
        .size:           2
        .value_kind:     hidden_remainder_z
      - .offset:         104
        .size:           8
        .value_kind:     hidden_global_offset_x
      - .offset:         112
        .size:           8
        .value_kind:     hidden_global_offset_y
      - .offset:         120
        .size:           8
        .value_kind:     hidden_global_offset_z
      - .offset:         128
        .size:           2
        .value_kind:     hidden_grid_dims
      - .offset:         184
        .size:           4
        .value_kind:     hidden_dynamic_lds_size
    .group_segment_fixed_size: 0
    .kernarg_segment_align: 8
    .kernarg_segment_size: 320
    .language:       OpenCL C
    .language_version:
      - 2
      - 0
    .max_flat_workgroup_size: 256
    .name:           _ZN2at6native12_GLOBAL__N_135GammaBetaBackwardCUDAKernelTemplateIffLj32ELj8ELj64ELb0ELb1ELb1EEEvllPKT_S5_PKT0_S8_PS3_S9_
    .private_segment_fixed_size: 0
    .sgpr_count:     24
    .sgpr_spill_count: 0
    .symbol:         _ZN2at6native12_GLOBAL__N_135GammaBetaBackwardCUDAKernelTemplateIffLj32ELj8ELj64ELb0ELb1ELb1EEEvllPKT_S5_PKT0_S8_PS3_S9_.kd
    .uniform_work_group_size: 1
    .uses_dynamic_stack: false
    .vgpr_count:     40
    .vgpr_spill_count: 0
    .wavefront_size: 32
    .workgroup_processor_mode: 1
  - .args:
      - .offset:         0
        .size:           8
        .value_kind:     by_value
      - .offset:         8
        .size:           8
        .value_kind:     by_value
      - .actual_access:  read_only
        .address_space:  global
        .offset:         16
        .size:           8
        .value_kind:     global_buffer
      - .actual_access:  read_only
        .address_space:  global
        .offset:         24
        .size:           8
        .value_kind:     global_buffer
      - .actual_access:  read_only
        .address_space:  global
        .offset:         32
        .size:           8
        .value_kind:     global_buffer
      - .actual_access:  read_only
        .address_space:  global
        .offset:         40
        .size:           8
        .value_kind:     global_buffer
      - .actual_access:  write_only
        .address_space:  global
        .offset:         48
        .size:           8
        .value_kind:     global_buffer
      - .actual_access:  read_only
        .address_space:  global
        .offset:         56
        .size:           8
        .value_kind:     global_buffer
      - .offset:         64
        .size:           4
        .value_kind:     hidden_block_count_x
      - .offset:         68
        .size:           4
        .value_kind:     hidden_block_count_y
      - .offset:         72
        .size:           4
        .value_kind:     hidden_block_count_z
      - .offset:         76
        .size:           2
        .value_kind:     hidden_group_size_x
      - .offset:         78
        .size:           2
        .value_kind:     hidden_group_size_y
      - .offset:         80
        .size:           2
        .value_kind:     hidden_group_size_z
      - .offset:         82
        .size:           2
        .value_kind:     hidden_remainder_x
      - .offset:         84
        .size:           2
        .value_kind:     hidden_remainder_y
      - .offset:         86
        .size:           2
        .value_kind:     hidden_remainder_z
      - .offset:         104
        .size:           8
        .value_kind:     hidden_global_offset_x
      - .offset:         112
        .size:           8
        .value_kind:     hidden_global_offset_y
      - .offset:         120
        .size:           8
        .value_kind:     hidden_global_offset_z
      - .offset:         128
        .size:           2
        .value_kind:     hidden_grid_dims
      - .offset:         184
        .size:           4
        .value_kind:     hidden_dynamic_lds_size
    .group_segment_fixed_size: 0
    .kernarg_segment_align: 8
    .kernarg_segment_size: 320
    .language:       OpenCL C
    .language_version:
      - 2
      - 0
    .max_flat_workgroup_size: 256
    .name:           _ZN2at6native12_GLOBAL__N_135GammaBetaBackwardCUDAKernelTemplateIffLj32ELj8ELj64ELb0ELb0ELb1EEEvllPKT_S5_PKT0_S8_PS3_S9_
    .private_segment_fixed_size: 0
    .sgpr_count:     39
    .sgpr_spill_count: 0
    .symbol:         _ZN2at6native12_GLOBAL__N_135GammaBetaBackwardCUDAKernelTemplateIffLj32ELj8ELj64ELb0ELb0ELb1EEEvllPKT_S5_PKT0_S8_PS3_S9_.kd
    .uniform_work_group_size: 1
    .uses_dynamic_stack: false
    .vgpr_count:     94
    .vgpr_spill_count: 0
    .wavefront_size: 32
    .workgroup_processor_mode: 1
  - .args:
      - .offset:         0
        .size:           8
        .value_kind:     by_value
      - .offset:         8
        .size:           8
        .value_kind:     by_value
      - .actual_access:  read_only
        .address_space:  global
        .offset:         16
        .size:           8
        .value_kind:     global_buffer
      - .actual_access:  read_only
        .address_space:  global
        .offset:         24
        .size:           8
        .value_kind:     global_buffer
      - .actual_access:  read_only
        .address_space:  global
        .offset:         32
        .size:           8
        .value_kind:     global_buffer
      - .actual_access:  read_only
        .address_space:  global
        .offset:         40
        .size:           8
        .value_kind:     global_buffer
      - .actual_access:  write_only
        .address_space:  global
        .offset:         48
        .size:           8
        .value_kind:     global_buffer
      - .actual_access:  read_only
        .address_space:  global
        .offset:         56
        .size:           8
        .value_kind:     global_buffer
      - .offset:         64
        .size:           4
        .value_kind:     hidden_block_count_x
      - .offset:         68
        .size:           4
        .value_kind:     hidden_block_count_y
      - .offset:         72
        .size:           4
        .value_kind:     hidden_block_count_z
      - .offset:         76
        .size:           2
        .value_kind:     hidden_group_size_x
      - .offset:         78
        .size:           2
        .value_kind:     hidden_group_size_y
      - .offset:         80
        .size:           2
        .value_kind:     hidden_group_size_z
      - .offset:         82
        .size:           2
        .value_kind:     hidden_remainder_x
      - .offset:         84
        .size:           2
        .value_kind:     hidden_remainder_y
      - .offset:         86
        .size:           2
        .value_kind:     hidden_remainder_z
      - .offset:         104
        .size:           8
        .value_kind:     hidden_global_offset_x
      - .offset:         112
        .size:           8
        .value_kind:     hidden_global_offset_y
      - .offset:         120
        .size:           8
        .value_kind:     hidden_global_offset_z
      - .offset:         128
        .size:           2
        .value_kind:     hidden_grid_dims
      - .offset:         184
        .size:           4
        .value_kind:     hidden_dynamic_lds_size
    .group_segment_fixed_size: 0
    .kernarg_segment_align: 8
    .kernarg_segment_size: 320
    .language:       OpenCL C
    .language_version:
      - 2
      - 0
    .max_flat_workgroup_size: 512
    .name:           _ZN2at6native12_GLOBAL__N_135GammaBetaBackwardCUDAKernelTemplateIffLj32ELj16ELj128ELb0ELb1ELb1EEEvllPKT_S5_PKT0_S8_PS3_S9_
    .private_segment_fixed_size: 0
    .sgpr_count:     24
    .sgpr_spill_count: 0
    .symbol:         _ZN2at6native12_GLOBAL__N_135GammaBetaBackwardCUDAKernelTemplateIffLj32ELj16ELj128ELb0ELb1ELb1EEEvllPKT_S5_PKT0_S8_PS3_S9_.kd
    .uniform_work_group_size: 1
    .uses_dynamic_stack: false
    .vgpr_count:     40
    .vgpr_spill_count: 0
    .wavefront_size: 32
    .workgroup_processor_mode: 1
  - .args:
      - .offset:         0
        .size:           8
        .value_kind:     by_value
      - .offset:         8
        .size:           8
        .value_kind:     by_value
      - .actual_access:  read_only
        .address_space:  global
        .offset:         16
        .size:           8
        .value_kind:     global_buffer
      - .actual_access:  read_only
        .address_space:  global
        .offset:         24
        .size:           8
        .value_kind:     global_buffer
      - .actual_access:  read_only
        .address_space:  global
        .offset:         32
        .size:           8
        .value_kind:     global_buffer
      - .actual_access:  read_only
        .address_space:  global
        .offset:         40
        .size:           8
        .value_kind:     global_buffer
      - .actual_access:  write_only
        .address_space:  global
        .offset:         48
        .size:           8
        .value_kind:     global_buffer
      - .actual_access:  read_only
        .address_space:  global
        .offset:         56
        .size:           8
        .value_kind:     global_buffer
      - .offset:         64
        .size:           4
        .value_kind:     hidden_block_count_x
      - .offset:         68
        .size:           4
        .value_kind:     hidden_block_count_y
      - .offset:         72
        .size:           4
        .value_kind:     hidden_block_count_z
      - .offset:         76
        .size:           2
        .value_kind:     hidden_group_size_x
      - .offset:         78
        .size:           2
        .value_kind:     hidden_group_size_y
      - .offset:         80
        .size:           2
        .value_kind:     hidden_group_size_z
      - .offset:         82
        .size:           2
        .value_kind:     hidden_remainder_x
      - .offset:         84
        .size:           2
        .value_kind:     hidden_remainder_y
      - .offset:         86
        .size:           2
        .value_kind:     hidden_remainder_z
      - .offset:         104
        .size:           8
        .value_kind:     hidden_global_offset_x
      - .offset:         112
        .size:           8
        .value_kind:     hidden_global_offset_y
      - .offset:         120
        .size:           8
        .value_kind:     hidden_global_offset_z
      - .offset:         128
        .size:           2
        .value_kind:     hidden_grid_dims
      - .offset:         184
        .size:           4
        .value_kind:     hidden_dynamic_lds_size
    .group_segment_fixed_size: 0
    .kernarg_segment_align: 8
    .kernarg_segment_size: 320
    .language:       OpenCL C
    .language_version:
      - 2
      - 0
    .max_flat_workgroup_size: 512
    .name:           _ZN2at6native12_GLOBAL__N_135GammaBetaBackwardCUDAKernelTemplateIffLj32ELj16ELj128ELb0ELb0ELb1EEEvllPKT_S5_PKT0_S8_PS3_S9_
    .private_segment_fixed_size: 0
    .sgpr_count:     39
    .sgpr_spill_count: 0
    .symbol:         _ZN2at6native12_GLOBAL__N_135GammaBetaBackwardCUDAKernelTemplateIffLj32ELj16ELj128ELb0ELb0ELb1EEEvllPKT_S5_PKT0_S8_PS3_S9_.kd
    .uniform_work_group_size: 1
    .uses_dynamic_stack: false
    .vgpr_count:     94
    .vgpr_spill_count: 0
    .wavefront_size: 32
    .workgroup_processor_mode: 1
  - .args:
      - .offset:         0
        .size:           8
        .value_kind:     by_value
      - .offset:         8
        .size:           8
        .value_kind:     by_value
      - .actual_access:  read_only
        .address_space:  global
        .offset:         16
        .size:           8
        .value_kind:     global_buffer
      - .actual_access:  read_only
        .address_space:  global
        .offset:         24
        .size:           8
        .value_kind:     global_buffer
      - .actual_access:  read_only
        .address_space:  global
        .offset:         32
        .size:           8
        .value_kind:     global_buffer
      - .actual_access:  read_only
        .address_space:  global
        .offset:         40
        .size:           8
        .value_kind:     global_buffer
      - .actual_access:  write_only
        .address_space:  global
        .offset:         48
        .size:           8
        .value_kind:     global_buffer
      - .actual_access:  read_only
        .address_space:  global
        .offset:         56
        .size:           8
        .value_kind:     global_buffer
      - .offset:         64
        .size:           4
        .value_kind:     hidden_block_count_x
      - .offset:         68
        .size:           4
        .value_kind:     hidden_block_count_y
      - .offset:         72
        .size:           4
        .value_kind:     hidden_block_count_z
      - .offset:         76
        .size:           2
        .value_kind:     hidden_group_size_x
      - .offset:         78
        .size:           2
        .value_kind:     hidden_group_size_y
      - .offset:         80
        .size:           2
        .value_kind:     hidden_group_size_z
      - .offset:         82
        .size:           2
        .value_kind:     hidden_remainder_x
      - .offset:         84
        .size:           2
        .value_kind:     hidden_remainder_y
      - .offset:         86
        .size:           2
        .value_kind:     hidden_remainder_z
      - .offset:         104
        .size:           8
        .value_kind:     hidden_global_offset_x
      - .offset:         112
        .size:           8
        .value_kind:     hidden_global_offset_y
      - .offset:         120
        .size:           8
        .value_kind:     hidden_global_offset_z
      - .offset:         128
        .size:           2
        .value_kind:     hidden_grid_dims
      - .offset:         184
        .size:           4
        .value_kind:     hidden_dynamic_lds_size
    .group_segment_fixed_size: 0
    .kernarg_segment_align: 8
    .kernarg_segment_size: 320
    .language:       OpenCL C
    .language_version:
      - 2
      - 0
    .max_flat_workgroup_size: 1024
    .name:           _ZN2at6native12_GLOBAL__N_135GammaBetaBackwardCUDAKernelTemplateIffLj32ELj32ELj256ELb0ELb1ELb1EEEvllPKT_S5_PKT0_S8_PS3_S9_
    .private_segment_fixed_size: 0
    .sgpr_count:     24
    .sgpr_spill_count: 0
    .symbol:         _ZN2at6native12_GLOBAL__N_135GammaBetaBackwardCUDAKernelTemplateIffLj32ELj32ELj256ELb0ELb1ELb1EEEvllPKT_S5_PKT0_S8_PS3_S9_.kd
    .uniform_work_group_size: 1
    .uses_dynamic_stack: false
    .vgpr_count:     40
    .vgpr_spill_count: 0
    .wavefront_size: 32
    .workgroup_processor_mode: 1
  - .args:
      - .offset:         0
        .size:           8
        .value_kind:     by_value
      - .offset:         8
        .size:           8
        .value_kind:     by_value
      - .actual_access:  read_only
        .address_space:  global
        .offset:         16
        .size:           8
        .value_kind:     global_buffer
      - .actual_access:  read_only
        .address_space:  global
        .offset:         24
        .size:           8
        .value_kind:     global_buffer
      - .actual_access:  read_only
        .address_space:  global
        .offset:         32
        .size:           8
        .value_kind:     global_buffer
      - .actual_access:  read_only
        .address_space:  global
        .offset:         40
        .size:           8
        .value_kind:     global_buffer
      - .actual_access:  write_only
        .address_space:  global
        .offset:         48
        .size:           8
        .value_kind:     global_buffer
      - .actual_access:  read_only
        .address_space:  global
        .offset:         56
        .size:           8
        .value_kind:     global_buffer
      - .offset:         64
        .size:           4
        .value_kind:     hidden_block_count_x
      - .offset:         68
        .size:           4
        .value_kind:     hidden_block_count_y
      - .offset:         72
        .size:           4
        .value_kind:     hidden_block_count_z
      - .offset:         76
        .size:           2
        .value_kind:     hidden_group_size_x
      - .offset:         78
        .size:           2
        .value_kind:     hidden_group_size_y
      - .offset:         80
        .size:           2
        .value_kind:     hidden_group_size_z
      - .offset:         82
        .size:           2
        .value_kind:     hidden_remainder_x
      - .offset:         84
        .size:           2
        .value_kind:     hidden_remainder_y
      - .offset:         86
        .size:           2
        .value_kind:     hidden_remainder_z
      - .offset:         104
        .size:           8
        .value_kind:     hidden_global_offset_x
      - .offset:         112
        .size:           8
        .value_kind:     hidden_global_offset_y
      - .offset:         120
        .size:           8
        .value_kind:     hidden_global_offset_z
      - .offset:         128
        .size:           2
        .value_kind:     hidden_grid_dims
      - .offset:         184
        .size:           4
        .value_kind:     hidden_dynamic_lds_size
    .group_segment_fixed_size: 0
    .kernarg_segment_align: 8
    .kernarg_segment_size: 320
    .language:       OpenCL C
    .language_version:
      - 2
      - 0
    .max_flat_workgroup_size: 1024
    .name:           _ZN2at6native12_GLOBAL__N_135GammaBetaBackwardCUDAKernelTemplateIffLj32ELj32ELj256ELb0ELb0ELb1EEEvllPKT_S5_PKT0_S8_PS3_S9_
    .private_segment_fixed_size: 0
    .sgpr_count:     39
    .sgpr_spill_count: 0
    .symbol:         _ZN2at6native12_GLOBAL__N_135GammaBetaBackwardCUDAKernelTemplateIffLj32ELj32ELj256ELb0ELb0ELb1EEEvllPKT_S5_PKT0_S8_PS3_S9_.kd
    .uniform_work_group_size: 1
    .uses_dynamic_stack: false
    .vgpr_count:     94
    .vgpr_spill_count: 0
    .wavefront_size: 32
    .workgroup_processor_mode: 1
  - .args:
      - .actual_access:  read_only
        .address_space:  global
        .offset:         0
        .size:           8
        .value_kind:     global_buffer
      - .actual_access:  read_only
        .address_space:  global
        .offset:         8
        .size:           8
        .value_kind:     global_buffer
      - .offset:         16
        .size:           8
        .value_kind:     by_value
      - .offset:         24
        .size:           8
        .value_kind:     by_value
      - .actual_access:  read_only
        .address_space:  global
        .offset:         32
        .size:           8
        .value_kind:     global_buffer
      - .actual_access:  read_only
        .address_space:  global
        .offset:         40
        .size:           8
        .value_kind:     global_buffer
      - .address_space:  global
        .offset:         48
        .size:           8
        .value_kind:     global_buffer
      - .address_space:  global
        .offset:         56
        .size:           8
        .value_kind:     global_buffer
      - .offset:         64
        .size:           4
        .value_kind:     hidden_block_count_x
      - .offset:         68
        .size:           4
        .value_kind:     hidden_block_count_y
      - .offset:         72
        .size:           4
        .value_kind:     hidden_block_count_z
      - .offset:         76
        .size:           2
        .value_kind:     hidden_group_size_x
      - .offset:         78
        .size:           2
        .value_kind:     hidden_group_size_y
      - .offset:         80
        .size:           2
        .value_kind:     hidden_group_size_z
      - .offset:         82
        .size:           2
        .value_kind:     hidden_remainder_x
      - .offset:         84
        .size:           2
        .value_kind:     hidden_remainder_y
      - .offset:         86
        .size:           2
        .value_kind:     hidden_remainder_z
      - .offset:         104
        .size:           8
        .value_kind:     hidden_global_offset_x
      - .offset:         112
        .size:           8
        .value_kind:     hidden_global_offset_y
      - .offset:         120
        .size:           8
        .value_kind:     hidden_global_offset_z
      - .offset:         128
        .size:           2
        .value_kind:     hidden_grid_dims
      - .offset:         184
        .size:           4
        .value_kind:     hidden_dynamic_lds_size
    .group_segment_fixed_size: 0
    .kernarg_segment_align: 8
    .kernarg_segment_size: 320
    .language:       OpenCL C
    .language_version:
      - 2
      - 0
    .max_flat_workgroup_size: 1024
    .name:           _ZN2at6native12_GLOBAL__N_118cuComputeGradInputIN3c104HalfEfLb1EEEvPKT_S7_llPKT0_SA_S7_PS5_
    .private_segment_fixed_size: 0
    .sgpr_count:     41
    .sgpr_spill_count: 0
    .symbol:         _ZN2at6native12_GLOBAL__N_118cuComputeGradInputIN3c104HalfEfLb1EEEvPKT_S7_llPKT0_SA_S7_PS5_.kd
    .uniform_work_group_size: 1
    .uses_dynamic_stack: false
    .vgpr_count:     23
    .vgpr_spill_count: 0
    .wavefront_size: 32
    .workgroup_processor_mode: 1
  - .args:
      - .actual_access:  read_only
        .address_space:  global
        .offset:         0
        .size:           8
        .value_kind:     global_buffer
      - .actual_access:  read_only
        .address_space:  global
        .offset:         8
        .size:           8
        .value_kind:     global_buffer
      - .actual_access:  read_only
        .address_space:  global
        .offset:         16
        .size:           8
        .value_kind:     global_buffer
      - .actual_access:  read_only
        .address_space:  global
        .offset:         24
        .size:           8
        .value_kind:     global_buffer
      - .actual_access:  read_only
        .address_space:  global
        .offset:         32
        .size:           8
        .value_kind:     global_buffer
      - .address_space:  global
        .offset:         40
        .size:           8
        .value_kind:     global_buffer
      - .offset:         48
        .size:           4
        .value_kind:     by_value
      - .offset:         56
        .size:           4
        .value_kind:     hidden_block_count_x
      - .offset:         60
        .size:           4
        .value_kind:     hidden_block_count_y
      - .offset:         64
        .size:           4
        .value_kind:     hidden_block_count_z
      - .offset:         68
        .size:           2
        .value_kind:     hidden_group_size_x
      - .offset:         70
        .size:           2
        .value_kind:     hidden_group_size_y
      - .offset:         72
        .size:           2
        .value_kind:     hidden_group_size_z
      - .offset:         74
        .size:           2
        .value_kind:     hidden_remainder_x
      - .offset:         76
        .size:           2
        .value_kind:     hidden_remainder_y
      - .offset:         78
        .size:           2
        .value_kind:     hidden_remainder_z
      - .offset:         96
        .size:           8
        .value_kind:     hidden_global_offset_x
      - .offset:         104
        .size:           8
        .value_kind:     hidden_global_offset_y
      - .offset:         112
        .size:           8
        .value_kind:     hidden_global_offset_z
      - .offset:         120
        .size:           2
        .value_kind:     hidden_grid_dims
      - .offset:         176
        .size:           4
        .value_kind:     hidden_dynamic_lds_size
    .group_segment_fixed_size: 0
    .kernarg_segment_align: 8
    .kernarg_segment_size: 312
    .language:       OpenCL C
    .language_version:
      - 2
      - 0
    .max_flat_workgroup_size: 1024
    .name:           _ZN2at6native12_GLOBAL__N_128layer_norm_grad_input_kernelIN3c104HalfEfLb1EEEvPKT_S7_PKT0_SA_S7_PS5_i
    .private_segment_fixed_size: 0
    .sgpr_count:     28
    .sgpr_spill_count: 0
    .symbol:         _ZN2at6native12_GLOBAL__N_128layer_norm_grad_input_kernelIN3c104HalfEfLb1EEEvPKT_S7_PKT0_SA_S7_PS5_i.kd
    .uniform_work_group_size: 1
    .uses_dynamic_stack: false
    .vgpr_count:     20
    .vgpr_spill_count: 0
    .wavefront_size: 32
    .workgroup_processor_mode: 1
  - .args:
      - .offset:         0
        .size:           8
        .value_kind:     by_value
      - .offset:         8
        .size:           8
        .value_kind:     by_value
      - .address_space:  global
        .offset:         16
        .size:           8
        .value_kind:     global_buffer
      - .address_space:  global
        .offset:         24
        .size:           8
        .value_kind:     global_buffer
      - .address_space:  global
        .offset:         32
        .size:           8
        .value_kind:     global_buffer
      - .address_space:  global
        .offset:         40
        .size:           8
        .value_kind:     global_buffer
      - .address_space:  global
        .offset:         48
        .size:           8
        .value_kind:     global_buffer
      - .address_space:  global
        .offset:         56
        .size:           8
        .value_kind:     global_buffer
      - .offset:         64
        .size:           4
        .value_kind:     hidden_block_count_x
      - .offset:         68
        .size:           4
        .value_kind:     hidden_block_count_y
      - .offset:         72
        .size:           4
        .value_kind:     hidden_block_count_z
      - .offset:         76
        .size:           2
        .value_kind:     hidden_group_size_x
      - .offset:         78
        .size:           2
        .value_kind:     hidden_group_size_y
      - .offset:         80
        .size:           2
        .value_kind:     hidden_group_size_z
      - .offset:         82
        .size:           2
        .value_kind:     hidden_remainder_x
      - .offset:         84
        .size:           2
        .value_kind:     hidden_remainder_y
      - .offset:         86
        .size:           2
        .value_kind:     hidden_remainder_z
      - .offset:         104
        .size:           8
        .value_kind:     hidden_global_offset_x
      - .offset:         112
        .size:           8
        .value_kind:     hidden_global_offset_y
      - .offset:         120
        .size:           8
        .value_kind:     hidden_global_offset_z
      - .offset:         128
        .size:           2
        .value_kind:     hidden_grid_dims
    .group_segment_fixed_size: 0
    .kernarg_segment_align: 8
    .kernarg_segment_size: 320
    .language:       OpenCL C
    .language_version:
      - 2
      - 0
    .max_flat_workgroup_size: 1024
    .name:           _ZN2at6native12_GLOBAL__N_133GammaBetaBackwardSimpleCUDAKernelIN3c104HalfEfLb1EEEvllPKT_S7_PKT0_SA_PS5_SB_
    .private_segment_fixed_size: 0
    .sgpr_count:     18
    .sgpr_spill_count: 0
    .symbol:         _ZN2at6native12_GLOBAL__N_133GammaBetaBackwardSimpleCUDAKernelIN3c104HalfEfLb1EEEvllPKT_S7_PKT0_SA_PS5_SB_.kd
    .uniform_work_group_size: 1
    .uses_dynamic_stack: false
    .vgpr_count:     9
    .vgpr_spill_count: 0
    .wavefront_size: 32
    .workgroup_processor_mode: 1
  - .args:
      - .offset:         0
        .size:           8
        .value_kind:     by_value
      - .offset:         8
        .size:           8
        .value_kind:     by_value
      - .actual_access:  read_only
        .address_space:  global
        .offset:         16
        .size:           8
        .value_kind:     global_buffer
      - .actual_access:  read_only
        .address_space:  global
        .offset:         24
        .size:           8
        .value_kind:     global_buffer
      - .actual_access:  read_only
        .address_space:  global
        .offset:         32
        .size:           8
        .value_kind:     global_buffer
      - .actual_access:  read_only
        .address_space:  global
        .offset:         40
        .size:           8
        .value_kind:     global_buffer
      - .actual_access:  write_only
        .address_space:  global
        .offset:         48
        .size:           8
        .value_kind:     global_buffer
      - .actual_access:  read_only
        .address_space:  global
        .offset:         56
        .size:           8
        .value_kind:     global_buffer
      - .offset:         64
        .size:           4
        .value_kind:     hidden_block_count_x
      - .offset:         68
        .size:           4
        .value_kind:     hidden_block_count_y
      - .offset:         72
        .size:           4
        .value_kind:     hidden_block_count_z
      - .offset:         76
        .size:           2
        .value_kind:     hidden_group_size_x
      - .offset:         78
        .size:           2
        .value_kind:     hidden_group_size_y
      - .offset:         80
        .size:           2
        .value_kind:     hidden_group_size_z
      - .offset:         82
        .size:           2
        .value_kind:     hidden_remainder_x
      - .offset:         84
        .size:           2
        .value_kind:     hidden_remainder_y
      - .offset:         86
        .size:           2
        .value_kind:     hidden_remainder_z
      - .offset:         104
        .size:           8
        .value_kind:     hidden_global_offset_x
      - .offset:         112
        .size:           8
        .value_kind:     hidden_global_offset_y
      - .offset:         120
        .size:           8
        .value_kind:     hidden_global_offset_z
      - .offset:         128
        .size:           2
        .value_kind:     hidden_grid_dims
    .group_segment_fixed_size: 0
    .kernarg_segment_align: 8
    .kernarg_segment_size: 320
    .language:       OpenCL C
    .language_version:
      - 2
      - 0
    .max_flat_workgroup_size: 64
    .name:           _ZN2at6native12_GLOBAL__N_135GammaBetaBackwardCUDAKernelTemplateIN3c104HalfEfLj64ELj1ELj32ELb1ELb1ELb1EEEvllPKT_S7_PKT0_SA_PS5_SB_
    .private_segment_fixed_size: 0
    .sgpr_count:     26
    .sgpr_spill_count: 0
    .symbol:         _ZN2at6native12_GLOBAL__N_135GammaBetaBackwardCUDAKernelTemplateIN3c104HalfEfLj64ELj1ELj32ELb1ELb1ELb1EEEvllPKT_S7_PKT0_SA_PS5_SB_.kd
    .uniform_work_group_size: 1
    .uses_dynamic_stack: false
    .vgpr_count:     96
    .vgpr_spill_count: 0
    .wavefront_size: 32
    .workgroup_processor_mode: 1
  - .args:
      - .offset:         0
        .size:           8
        .value_kind:     by_value
      - .offset:         8
        .size:           8
        .value_kind:     by_value
      - .actual_access:  read_only
        .address_space:  global
        .offset:         16
        .size:           8
        .value_kind:     global_buffer
      - .actual_access:  read_only
        .address_space:  global
        .offset:         24
        .size:           8
        .value_kind:     global_buffer
      - .actual_access:  read_only
        .address_space:  global
        .offset:         32
        .size:           8
        .value_kind:     global_buffer
      - .actual_access:  read_only
        .address_space:  global
        .offset:         40
        .size:           8
        .value_kind:     global_buffer
      - .actual_access:  write_only
        .address_space:  global
        .offset:         48
        .size:           8
        .value_kind:     global_buffer
      - .actual_access:  read_only
        .address_space:  global
        .offset:         56
        .size:           8
        .value_kind:     global_buffer
      - .offset:         64
        .size:           4
        .value_kind:     hidden_block_count_x
      - .offset:         68
        .size:           4
        .value_kind:     hidden_block_count_y
      - .offset:         72
        .size:           4
        .value_kind:     hidden_block_count_z
      - .offset:         76
        .size:           2
        .value_kind:     hidden_group_size_x
      - .offset:         78
        .size:           2
        .value_kind:     hidden_group_size_y
      - .offset:         80
        .size:           2
        .value_kind:     hidden_group_size_z
      - .offset:         82
        .size:           2
        .value_kind:     hidden_remainder_x
      - .offset:         84
        .size:           2
        .value_kind:     hidden_remainder_y
      - .offset:         86
        .size:           2
        .value_kind:     hidden_remainder_z
      - .offset:         104
        .size:           8
        .value_kind:     hidden_global_offset_x
      - .offset:         112
        .size:           8
        .value_kind:     hidden_global_offset_y
      - .offset:         120
        .size:           8
        .value_kind:     hidden_global_offset_z
      - .offset:         128
        .size:           2
        .value_kind:     hidden_grid_dims
    .group_segment_fixed_size: 0
    .kernarg_segment_align: 8
    .kernarg_segment_size: 320
    .language:       OpenCL C
    .language_version:
      - 2
      - 0
    .max_flat_workgroup_size: 64
    .name:           _ZN2at6native12_GLOBAL__N_135GammaBetaBackwardCUDAKernelTemplateIN3c104HalfEfLj64ELj1ELj32ELb1ELb0ELb1EEEvllPKT_S7_PKT0_SA_PS5_SB_
    .private_segment_fixed_size: 300
    .sgpr_count:     32
    .sgpr_spill_count: 0
    .symbol:         _ZN2at6native12_GLOBAL__N_135GammaBetaBackwardCUDAKernelTemplateIN3c104HalfEfLj64ELj1ELj32ELb1ELb0ELb1EEEvllPKT_S7_PKT0_SA_PS5_SB_.kd
    .uniform_work_group_size: 1
    .uses_dynamic_stack: false
    .vgpr_count:     256
    .vgpr_spill_count: 145
    .wavefront_size: 32
    .workgroup_processor_mode: 1
  - .args:
      - .offset:         0
        .size:           8
        .value_kind:     by_value
      - .offset:         8
        .size:           8
        .value_kind:     by_value
      - .actual_access:  read_only
        .address_space:  global
        .offset:         16
        .size:           8
        .value_kind:     global_buffer
      - .actual_access:  read_only
        .address_space:  global
        .offset:         24
        .size:           8
        .value_kind:     global_buffer
      - .actual_access:  read_only
        .address_space:  global
        .offset:         32
        .size:           8
        .value_kind:     global_buffer
      - .actual_access:  read_only
        .address_space:  global
        .offset:         40
        .size:           8
        .value_kind:     global_buffer
      - .actual_access:  write_only
        .address_space:  global
        .offset:         48
        .size:           8
        .value_kind:     global_buffer
      - .actual_access:  read_only
        .address_space:  global
        .offset:         56
        .size:           8
        .value_kind:     global_buffer
      - .offset:         64
        .size:           4
        .value_kind:     hidden_block_count_x
      - .offset:         68
        .size:           4
        .value_kind:     hidden_block_count_y
      - .offset:         72
        .size:           4
        .value_kind:     hidden_block_count_z
      - .offset:         76
        .size:           2
        .value_kind:     hidden_group_size_x
      - .offset:         78
        .size:           2
        .value_kind:     hidden_group_size_y
      - .offset:         80
        .size:           2
        .value_kind:     hidden_group_size_z
      - .offset:         82
        .size:           2
        .value_kind:     hidden_remainder_x
      - .offset:         84
        .size:           2
        .value_kind:     hidden_remainder_y
      - .offset:         86
        .size:           2
        .value_kind:     hidden_remainder_z
      - .offset:         104
        .size:           8
        .value_kind:     hidden_global_offset_x
      - .offset:         112
        .size:           8
        .value_kind:     hidden_global_offset_y
      - .offset:         120
        .size:           8
        .value_kind:     hidden_global_offset_z
      - .offset:         128
        .size:           2
        .value_kind:     hidden_grid_dims
    .group_segment_fixed_size: 0
    .kernarg_segment_align: 8
    .kernarg_segment_size: 320
    .language:       OpenCL C
    .language_version:
      - 2
      - 0
    .max_flat_workgroup_size: 64
    .name:           _ZN2at6native12_GLOBAL__N_135GammaBetaBackwardCUDAKernelTemplateIN3c104HalfEfLj64ELj1ELj8ELb1ELb1ELb1EEEvllPKT_S7_PKT0_SA_PS5_SB_
    .private_segment_fixed_size: 0
    .sgpr_count:     28
    .sgpr_spill_count: 0
    .symbol:         _ZN2at6native12_GLOBAL__N_135GammaBetaBackwardCUDAKernelTemplateIN3c104HalfEfLj64ELj1ELj8ELb1ELb1ELb1EEEvllPKT_S7_PKT0_SA_PS5_SB_.kd
    .uniform_work_group_size: 1
    .uses_dynamic_stack: false
    .vgpr_count:     41
    .vgpr_spill_count: 0
    .wavefront_size: 32
    .workgroup_processor_mode: 1
  - .args:
      - .offset:         0
        .size:           8
        .value_kind:     by_value
      - .offset:         8
        .size:           8
        .value_kind:     by_value
      - .actual_access:  read_only
        .address_space:  global
        .offset:         16
        .size:           8
        .value_kind:     global_buffer
      - .actual_access:  read_only
        .address_space:  global
        .offset:         24
        .size:           8
        .value_kind:     global_buffer
      - .actual_access:  read_only
        .address_space:  global
        .offset:         32
        .size:           8
        .value_kind:     global_buffer
      - .actual_access:  read_only
        .address_space:  global
        .offset:         40
        .size:           8
        .value_kind:     global_buffer
      - .actual_access:  write_only
        .address_space:  global
        .offset:         48
        .size:           8
        .value_kind:     global_buffer
      - .actual_access:  read_only
        .address_space:  global
        .offset:         56
        .size:           8
        .value_kind:     global_buffer
      - .offset:         64
        .size:           4
        .value_kind:     hidden_block_count_x
      - .offset:         68
        .size:           4
        .value_kind:     hidden_block_count_y
      - .offset:         72
        .size:           4
        .value_kind:     hidden_block_count_z
      - .offset:         76
        .size:           2
        .value_kind:     hidden_group_size_x
      - .offset:         78
        .size:           2
        .value_kind:     hidden_group_size_y
      - .offset:         80
        .size:           2
        .value_kind:     hidden_group_size_z
      - .offset:         82
        .size:           2
        .value_kind:     hidden_remainder_x
      - .offset:         84
        .size:           2
        .value_kind:     hidden_remainder_y
      - .offset:         86
        .size:           2
        .value_kind:     hidden_remainder_z
      - .offset:         104
        .size:           8
        .value_kind:     hidden_global_offset_x
      - .offset:         112
        .size:           8
        .value_kind:     hidden_global_offset_y
      - .offset:         120
        .size:           8
        .value_kind:     hidden_global_offset_z
      - .offset:         128
        .size:           2
        .value_kind:     hidden_grid_dims
    .group_segment_fixed_size: 0
    .kernarg_segment_align: 8
    .kernarg_segment_size: 320
    .language:       OpenCL C
    .language_version:
      - 2
      - 0
    .max_flat_workgroup_size: 64
    .name:           _ZN2at6native12_GLOBAL__N_135GammaBetaBackwardCUDAKernelTemplateIN3c104HalfEfLj64ELj1ELj8ELb1ELb0ELb1EEEvllPKT_S7_PKT0_SA_PS5_SB_
    .private_segment_fixed_size: 0
    .sgpr_count:     39
    .sgpr_spill_count: 0
    .symbol:         _ZN2at6native12_GLOBAL__N_135GammaBetaBackwardCUDAKernelTemplateIN3c104HalfEfLj64ELj1ELj8ELb1ELb0ELb1EEEvllPKT_S7_PKT0_SA_PS5_SB_.kd
    .uniform_work_group_size: 1
    .uses_dynamic_stack: false
    .vgpr_count:     95
    .vgpr_spill_count: 0
    .wavefront_size: 32
    .workgroup_processor_mode: 1
  - .args:
      - .offset:         0
        .size:           8
        .value_kind:     by_value
      - .offset:         8
        .size:           8
        .value_kind:     by_value
      - .actual_access:  read_only
        .address_space:  global
        .offset:         16
        .size:           8
        .value_kind:     global_buffer
      - .actual_access:  read_only
        .address_space:  global
        .offset:         24
        .size:           8
        .value_kind:     global_buffer
      - .actual_access:  read_only
        .address_space:  global
        .offset:         32
        .size:           8
        .value_kind:     global_buffer
      - .actual_access:  read_only
        .address_space:  global
        .offset:         40
        .size:           8
        .value_kind:     global_buffer
      - .actual_access:  write_only
        .address_space:  global
        .offset:         48
        .size:           8
        .value_kind:     global_buffer
      - .actual_access:  read_only
        .address_space:  global
        .offset:         56
        .size:           8
        .value_kind:     global_buffer
      - .offset:         64
        .size:           4
        .value_kind:     hidden_block_count_x
      - .offset:         68
        .size:           4
        .value_kind:     hidden_block_count_y
      - .offset:         72
        .size:           4
        .value_kind:     hidden_block_count_z
      - .offset:         76
        .size:           2
        .value_kind:     hidden_group_size_x
      - .offset:         78
        .size:           2
        .value_kind:     hidden_group_size_y
      - .offset:         80
        .size:           2
        .value_kind:     hidden_group_size_z
      - .offset:         82
        .size:           2
        .value_kind:     hidden_remainder_x
      - .offset:         84
        .size:           2
        .value_kind:     hidden_remainder_y
      - .offset:         86
        .size:           2
        .value_kind:     hidden_remainder_z
      - .offset:         104
        .size:           8
        .value_kind:     hidden_global_offset_x
      - .offset:         112
        .size:           8
        .value_kind:     hidden_global_offset_y
      - .offset:         120
        .size:           8
        .value_kind:     hidden_global_offset_z
      - .offset:         128
        .size:           2
        .value_kind:     hidden_grid_dims
      - .offset:         184
        .size:           4
        .value_kind:     hidden_dynamic_lds_size
    .group_segment_fixed_size: 0
    .kernarg_segment_align: 8
    .kernarg_segment_size: 320
    .language:       OpenCL C
    .language_version:
      - 2
      - 0
    .max_flat_workgroup_size: 512
    .name:           _ZN2at6native12_GLOBAL__N_135GammaBetaBackwardCUDAKernelTemplateIN3c104HalfEfLj64ELj8ELj64ELb0ELb1ELb1EEEvllPKT_S7_PKT0_SA_PS5_SB_
    .private_segment_fixed_size: 0
    .sgpr_count:     24
    .sgpr_spill_count: 0
    .symbol:         _ZN2at6native12_GLOBAL__N_135GammaBetaBackwardCUDAKernelTemplateIN3c104HalfEfLj64ELj8ELj64ELb0ELb1ELb1EEEvllPKT_S7_PKT0_SA_PS5_SB_.kd
    .uniform_work_group_size: 1
    .uses_dynamic_stack: false
    .vgpr_count:     41
    .vgpr_spill_count: 0
    .wavefront_size: 32
    .workgroup_processor_mode: 1
  - .args:
      - .offset:         0
        .size:           8
        .value_kind:     by_value
      - .offset:         8
        .size:           8
        .value_kind:     by_value
      - .actual_access:  read_only
        .address_space:  global
        .offset:         16
        .size:           8
        .value_kind:     global_buffer
      - .actual_access:  read_only
        .address_space:  global
        .offset:         24
        .size:           8
        .value_kind:     global_buffer
      - .actual_access:  read_only
        .address_space:  global
        .offset:         32
        .size:           8
        .value_kind:     global_buffer
      - .actual_access:  read_only
        .address_space:  global
        .offset:         40
        .size:           8
        .value_kind:     global_buffer
      - .actual_access:  write_only
        .address_space:  global
        .offset:         48
        .size:           8
        .value_kind:     global_buffer
      - .actual_access:  read_only
        .address_space:  global
        .offset:         56
        .size:           8
        .value_kind:     global_buffer
      - .offset:         64
        .size:           4
        .value_kind:     hidden_block_count_x
      - .offset:         68
        .size:           4
        .value_kind:     hidden_block_count_y
      - .offset:         72
        .size:           4
        .value_kind:     hidden_block_count_z
      - .offset:         76
        .size:           2
        .value_kind:     hidden_group_size_x
      - .offset:         78
        .size:           2
        .value_kind:     hidden_group_size_y
      - .offset:         80
        .size:           2
        .value_kind:     hidden_group_size_z
      - .offset:         82
        .size:           2
        .value_kind:     hidden_remainder_x
      - .offset:         84
        .size:           2
        .value_kind:     hidden_remainder_y
      - .offset:         86
        .size:           2
        .value_kind:     hidden_remainder_z
      - .offset:         104
        .size:           8
        .value_kind:     hidden_global_offset_x
      - .offset:         112
        .size:           8
        .value_kind:     hidden_global_offset_y
      - .offset:         120
        .size:           8
        .value_kind:     hidden_global_offset_z
      - .offset:         128
        .size:           2
        .value_kind:     hidden_grid_dims
      - .offset:         184
        .size:           4
        .value_kind:     hidden_dynamic_lds_size
    .group_segment_fixed_size: 0
    .kernarg_segment_align: 8
    .kernarg_segment_size: 320
    .language:       OpenCL C
    .language_version:
      - 2
      - 0
    .max_flat_workgroup_size: 512
    .name:           _ZN2at6native12_GLOBAL__N_135GammaBetaBackwardCUDAKernelTemplateIN3c104HalfEfLj64ELj8ELj64ELb0ELb0ELb1EEEvllPKT_S7_PKT0_SA_PS5_SB_
    .private_segment_fixed_size: 0
    .sgpr_count:     39
    .sgpr_spill_count: 0
    .symbol:         _ZN2at6native12_GLOBAL__N_135GammaBetaBackwardCUDAKernelTemplateIN3c104HalfEfLj64ELj8ELj64ELb0ELb0ELb1EEEvllPKT_S7_PKT0_SA_PS5_SB_.kd
    .uniform_work_group_size: 1
    .uses_dynamic_stack: false
    .vgpr_count:     94
    .vgpr_spill_count: 0
    .wavefront_size: 32
    .workgroup_processor_mode: 1
  - .args:
      - .offset:         0
        .size:           8
        .value_kind:     by_value
      - .offset:         8
        .size:           8
        .value_kind:     by_value
      - .actual_access:  read_only
        .address_space:  global
        .offset:         16
        .size:           8
        .value_kind:     global_buffer
      - .actual_access:  read_only
        .address_space:  global
        .offset:         24
        .size:           8
        .value_kind:     global_buffer
      - .actual_access:  read_only
        .address_space:  global
        .offset:         32
        .size:           8
        .value_kind:     global_buffer
      - .actual_access:  read_only
        .address_space:  global
        .offset:         40
        .size:           8
        .value_kind:     global_buffer
      - .actual_access:  write_only
        .address_space:  global
        .offset:         48
        .size:           8
        .value_kind:     global_buffer
      - .actual_access:  read_only
        .address_space:  global
        .offset:         56
        .size:           8
        .value_kind:     global_buffer
      - .offset:         64
        .size:           4
        .value_kind:     hidden_block_count_x
      - .offset:         68
        .size:           4
        .value_kind:     hidden_block_count_y
      - .offset:         72
        .size:           4
        .value_kind:     hidden_block_count_z
      - .offset:         76
        .size:           2
        .value_kind:     hidden_group_size_x
      - .offset:         78
        .size:           2
        .value_kind:     hidden_group_size_y
      - .offset:         80
        .size:           2
        .value_kind:     hidden_group_size_z
      - .offset:         82
        .size:           2
        .value_kind:     hidden_remainder_x
      - .offset:         84
        .size:           2
        .value_kind:     hidden_remainder_y
      - .offset:         86
        .size:           2
        .value_kind:     hidden_remainder_z
      - .offset:         104
        .size:           8
        .value_kind:     hidden_global_offset_x
      - .offset:         112
        .size:           8
        .value_kind:     hidden_global_offset_y
      - .offset:         120
        .size:           8
        .value_kind:     hidden_global_offset_z
      - .offset:         128
        .size:           2
        .value_kind:     hidden_grid_dims
      - .offset:         184
        .size:           4
        .value_kind:     hidden_dynamic_lds_size
    .group_segment_fixed_size: 0
    .kernarg_segment_align: 8
    .kernarg_segment_size: 320
    .language:       OpenCL C
    .language_version:
      - 2
      - 0
    .max_flat_workgroup_size: 1024
    .name:           _ZN2at6native12_GLOBAL__N_135GammaBetaBackwardCUDAKernelTemplateIN3c104HalfEfLj64ELj16ELj128ELb0ELb1ELb1EEEvllPKT_S7_PKT0_SA_PS5_SB_
    .private_segment_fixed_size: 0
    .sgpr_count:     24
    .sgpr_spill_count: 0
    .symbol:         _ZN2at6native12_GLOBAL__N_135GammaBetaBackwardCUDAKernelTemplateIN3c104HalfEfLj64ELj16ELj128ELb0ELb1ELb1EEEvllPKT_S7_PKT0_SA_PS5_SB_.kd
    .uniform_work_group_size: 1
    .uses_dynamic_stack: false
    .vgpr_count:     41
    .vgpr_spill_count: 0
    .wavefront_size: 32
    .workgroup_processor_mode: 1
  - .args:
      - .offset:         0
        .size:           8
        .value_kind:     by_value
      - .offset:         8
        .size:           8
        .value_kind:     by_value
      - .actual_access:  read_only
        .address_space:  global
        .offset:         16
        .size:           8
        .value_kind:     global_buffer
      - .actual_access:  read_only
        .address_space:  global
        .offset:         24
        .size:           8
        .value_kind:     global_buffer
      - .actual_access:  read_only
        .address_space:  global
        .offset:         32
        .size:           8
        .value_kind:     global_buffer
      - .actual_access:  read_only
        .address_space:  global
        .offset:         40
        .size:           8
        .value_kind:     global_buffer
      - .actual_access:  write_only
        .address_space:  global
        .offset:         48
        .size:           8
        .value_kind:     global_buffer
      - .actual_access:  read_only
        .address_space:  global
        .offset:         56
        .size:           8
        .value_kind:     global_buffer
      - .offset:         64
        .size:           4
        .value_kind:     hidden_block_count_x
      - .offset:         68
        .size:           4
        .value_kind:     hidden_block_count_y
      - .offset:         72
        .size:           4
        .value_kind:     hidden_block_count_z
      - .offset:         76
        .size:           2
        .value_kind:     hidden_group_size_x
      - .offset:         78
        .size:           2
        .value_kind:     hidden_group_size_y
      - .offset:         80
        .size:           2
        .value_kind:     hidden_group_size_z
      - .offset:         82
        .size:           2
        .value_kind:     hidden_remainder_x
      - .offset:         84
        .size:           2
        .value_kind:     hidden_remainder_y
      - .offset:         86
        .size:           2
        .value_kind:     hidden_remainder_z
      - .offset:         104
        .size:           8
        .value_kind:     hidden_global_offset_x
      - .offset:         112
        .size:           8
        .value_kind:     hidden_global_offset_y
      - .offset:         120
        .size:           8
        .value_kind:     hidden_global_offset_z
      - .offset:         128
        .size:           2
        .value_kind:     hidden_grid_dims
      - .offset:         184
        .size:           4
        .value_kind:     hidden_dynamic_lds_size
    .group_segment_fixed_size: 0
    .kernarg_segment_align: 8
    .kernarg_segment_size: 320
    .language:       OpenCL C
    .language_version:
      - 2
      - 0
    .max_flat_workgroup_size: 1024
    .name:           _ZN2at6native12_GLOBAL__N_135GammaBetaBackwardCUDAKernelTemplateIN3c104HalfEfLj64ELj16ELj128ELb0ELb0ELb1EEEvllPKT_S7_PKT0_SA_PS5_SB_
    .private_segment_fixed_size: 0
    .sgpr_count:     39
    .sgpr_spill_count: 0
    .symbol:         _ZN2at6native12_GLOBAL__N_135GammaBetaBackwardCUDAKernelTemplateIN3c104HalfEfLj64ELj16ELj128ELb0ELb0ELb1EEEvllPKT_S7_PKT0_SA_PS5_SB_.kd
    .uniform_work_group_size: 1
    .uses_dynamic_stack: false
    .vgpr_count:     94
    .vgpr_spill_count: 0
    .wavefront_size: 32
    .workgroup_processor_mode: 1
  - .args:
      - .offset:         0
        .size:           8
        .value_kind:     by_value
      - .offset:         8
        .size:           8
        .value_kind:     by_value
      - .actual_access:  read_only
        .address_space:  global
        .offset:         16
        .size:           8
        .value_kind:     global_buffer
      - .actual_access:  read_only
        .address_space:  global
        .offset:         24
        .size:           8
        .value_kind:     global_buffer
      - .actual_access:  read_only
        .address_space:  global
        .offset:         32
        .size:           8
        .value_kind:     global_buffer
      - .actual_access:  read_only
        .address_space:  global
        .offset:         40
        .size:           8
        .value_kind:     global_buffer
      - .actual_access:  write_only
        .address_space:  global
        .offset:         48
        .size:           8
        .value_kind:     global_buffer
      - .actual_access:  read_only
        .address_space:  global
        .offset:         56
        .size:           8
        .value_kind:     global_buffer
      - .offset:         64
        .size:           4
        .value_kind:     hidden_block_count_x
      - .offset:         68
        .size:           4
        .value_kind:     hidden_block_count_y
      - .offset:         72
        .size:           4
        .value_kind:     hidden_block_count_z
      - .offset:         76
        .size:           2
        .value_kind:     hidden_group_size_x
      - .offset:         78
        .size:           2
        .value_kind:     hidden_group_size_y
      - .offset:         80
        .size:           2
        .value_kind:     hidden_group_size_z
      - .offset:         82
        .size:           2
        .value_kind:     hidden_remainder_x
      - .offset:         84
        .size:           2
        .value_kind:     hidden_remainder_y
      - .offset:         86
        .size:           2
        .value_kind:     hidden_remainder_z
      - .offset:         104
        .size:           8
        .value_kind:     hidden_global_offset_x
      - .offset:         112
        .size:           8
        .value_kind:     hidden_global_offset_y
      - .offset:         120
        .size:           8
        .value_kind:     hidden_global_offset_z
      - .offset:         128
        .size:           2
        .value_kind:     hidden_grid_dims
      - .offset:         184
        .size:           4
        .value_kind:     hidden_dynamic_lds_size
    .group_segment_fixed_size: 0
    .kernarg_segment_align: 8
    .kernarg_segment_size: 320
    .language:       OpenCL C
    .language_version:
      - 2
      - 0
    .max_flat_workgroup_size: 1024
    .name:           _ZN2at6native12_GLOBAL__N_135GammaBetaBackwardCUDAKernelTemplateIN3c104HalfEfLj64ELj16ELj256ELb0ELb1ELb1EEEvllPKT_S7_PKT0_SA_PS5_SB_
    .private_segment_fixed_size: 0
    .sgpr_count:     24
    .sgpr_spill_count: 0
    .symbol:         _ZN2at6native12_GLOBAL__N_135GammaBetaBackwardCUDAKernelTemplateIN3c104HalfEfLj64ELj16ELj256ELb0ELb1ELb1EEEvllPKT_S7_PKT0_SA_PS5_SB_.kd
    .uniform_work_group_size: 1
    .uses_dynamic_stack: false
    .vgpr_count:     65
    .vgpr_spill_count: 0
    .wavefront_size: 32
    .workgroup_processor_mode: 1
  - .args:
      - .offset:         0
        .size:           8
        .value_kind:     by_value
      - .offset:         8
        .size:           8
        .value_kind:     by_value
      - .actual_access:  read_only
        .address_space:  global
        .offset:         16
        .size:           8
        .value_kind:     global_buffer
      - .actual_access:  read_only
        .address_space:  global
        .offset:         24
        .size:           8
        .value_kind:     global_buffer
      - .actual_access:  read_only
        .address_space:  global
        .offset:         32
        .size:           8
        .value_kind:     global_buffer
      - .actual_access:  read_only
        .address_space:  global
        .offset:         40
        .size:           8
        .value_kind:     global_buffer
      - .actual_access:  write_only
        .address_space:  global
        .offset:         48
        .size:           8
        .value_kind:     global_buffer
      - .actual_access:  read_only
        .address_space:  global
        .offset:         56
        .size:           8
        .value_kind:     global_buffer
      - .offset:         64
        .size:           4
        .value_kind:     hidden_block_count_x
      - .offset:         68
        .size:           4
        .value_kind:     hidden_block_count_y
      - .offset:         72
        .size:           4
        .value_kind:     hidden_block_count_z
      - .offset:         76
        .size:           2
        .value_kind:     hidden_group_size_x
      - .offset:         78
        .size:           2
        .value_kind:     hidden_group_size_y
      - .offset:         80
        .size:           2
        .value_kind:     hidden_group_size_z
      - .offset:         82
        .size:           2
        .value_kind:     hidden_remainder_x
      - .offset:         84
        .size:           2
        .value_kind:     hidden_remainder_y
      - .offset:         86
        .size:           2
        .value_kind:     hidden_remainder_z
      - .offset:         104
        .size:           8
        .value_kind:     hidden_global_offset_x
      - .offset:         112
        .size:           8
        .value_kind:     hidden_global_offset_y
      - .offset:         120
        .size:           8
        .value_kind:     hidden_global_offset_z
      - .offset:         128
        .size:           2
        .value_kind:     hidden_grid_dims
      - .offset:         184
        .size:           4
        .value_kind:     hidden_dynamic_lds_size
    .group_segment_fixed_size: 0
    .kernarg_segment_align: 8
    .kernarg_segment_size: 320
    .language:       OpenCL C
    .language_version:
      - 2
      - 0
    .max_flat_workgroup_size: 1024
    .name:           _ZN2at6native12_GLOBAL__N_135GammaBetaBackwardCUDAKernelTemplateIN3c104HalfEfLj64ELj16ELj256ELb0ELb0ELb1EEEvllPKT_S7_PKT0_SA_PS5_SB_
    .private_segment_fixed_size: 0
    .sgpr_count:     47
    .sgpr_spill_count: 0
    .symbol:         _ZN2at6native12_GLOBAL__N_135GammaBetaBackwardCUDAKernelTemplateIN3c104HalfEfLj64ELj16ELj256ELb0ELb0ELb1EEEvllPKT_S7_PKT0_SA_PS5_SB_.kd
    .uniform_work_group_size: 1
    .uses_dynamic_stack: false
    .vgpr_count:     182
    .vgpr_spill_count: 0
    .wavefront_size: 32
    .workgroup_processor_mode: 1
  - .args:
      - .offset:         0
        .size:           8
        .value_kind:     by_value
      - .offset:         8
        .size:           8
        .value_kind:     by_value
      - .actual_access:  read_only
        .address_space:  global
        .offset:         16
        .size:           8
        .value_kind:     global_buffer
      - .actual_access:  read_only
        .address_space:  global
        .offset:         24
        .size:           8
        .value_kind:     global_buffer
      - .actual_access:  read_only
        .address_space:  global
        .offset:         32
        .size:           8
        .value_kind:     global_buffer
      - .actual_access:  read_only
        .address_space:  global
        .offset:         40
        .size:           8
        .value_kind:     global_buffer
      - .actual_access:  write_only
        .address_space:  global
        .offset:         48
        .size:           8
        .value_kind:     global_buffer
      - .actual_access:  read_only
        .address_space:  global
        .offset:         56
        .size:           8
        .value_kind:     global_buffer
      - .offset:         64
        .size:           4
        .value_kind:     hidden_block_count_x
      - .offset:         68
        .size:           4
        .value_kind:     hidden_block_count_y
      - .offset:         72
        .size:           4
        .value_kind:     hidden_block_count_z
      - .offset:         76
        .size:           2
        .value_kind:     hidden_group_size_x
      - .offset:         78
        .size:           2
        .value_kind:     hidden_group_size_y
      - .offset:         80
        .size:           2
        .value_kind:     hidden_group_size_z
      - .offset:         82
        .size:           2
        .value_kind:     hidden_remainder_x
      - .offset:         84
        .size:           2
        .value_kind:     hidden_remainder_y
      - .offset:         86
        .size:           2
        .value_kind:     hidden_remainder_z
      - .offset:         104
        .size:           8
        .value_kind:     hidden_global_offset_x
      - .offset:         112
        .size:           8
        .value_kind:     hidden_global_offset_y
      - .offset:         120
        .size:           8
        .value_kind:     hidden_global_offset_z
      - .offset:         128
        .size:           2
        .value_kind:     hidden_grid_dims
    .group_segment_fixed_size: 0
    .kernarg_segment_align: 8
    .kernarg_segment_size: 320
    .language:       OpenCL C
    .language_version:
      - 2
      - 0
    .max_flat_workgroup_size: 32
    .name:           _ZN2at6native12_GLOBAL__N_135GammaBetaBackwardCUDAKernelTemplateIN3c104HalfEfLj32ELj1ELj32ELb1ELb1ELb1EEEvllPKT_S7_PKT0_SA_PS5_SB_
    .private_segment_fixed_size: 0
    .sgpr_count:     26
    .sgpr_spill_count: 0
    .symbol:         _ZN2at6native12_GLOBAL__N_135GammaBetaBackwardCUDAKernelTemplateIN3c104HalfEfLj32ELj1ELj32ELb1ELb1ELb1EEEvllPKT_S7_PKT0_SA_PS5_SB_.kd
    .uniform_work_group_size: 1
    .uses_dynamic_stack: false
    .vgpr_count:     96
    .vgpr_spill_count: 0
    .wavefront_size: 32
    .workgroup_processor_mode: 1
  - .args:
      - .offset:         0
        .size:           8
        .value_kind:     by_value
      - .offset:         8
        .size:           8
        .value_kind:     by_value
      - .actual_access:  read_only
        .address_space:  global
        .offset:         16
        .size:           8
        .value_kind:     global_buffer
      - .actual_access:  read_only
        .address_space:  global
        .offset:         24
        .size:           8
        .value_kind:     global_buffer
      - .actual_access:  read_only
        .address_space:  global
        .offset:         32
        .size:           8
        .value_kind:     global_buffer
      - .actual_access:  read_only
        .address_space:  global
        .offset:         40
        .size:           8
        .value_kind:     global_buffer
      - .actual_access:  write_only
        .address_space:  global
        .offset:         48
        .size:           8
        .value_kind:     global_buffer
      - .actual_access:  read_only
        .address_space:  global
        .offset:         56
        .size:           8
        .value_kind:     global_buffer
      - .offset:         64
        .size:           4
        .value_kind:     hidden_block_count_x
      - .offset:         68
        .size:           4
        .value_kind:     hidden_block_count_y
      - .offset:         72
        .size:           4
        .value_kind:     hidden_block_count_z
      - .offset:         76
        .size:           2
        .value_kind:     hidden_group_size_x
      - .offset:         78
        .size:           2
        .value_kind:     hidden_group_size_y
      - .offset:         80
        .size:           2
        .value_kind:     hidden_group_size_z
      - .offset:         82
        .size:           2
        .value_kind:     hidden_remainder_x
      - .offset:         84
        .size:           2
        .value_kind:     hidden_remainder_y
      - .offset:         86
        .size:           2
        .value_kind:     hidden_remainder_z
      - .offset:         104
        .size:           8
        .value_kind:     hidden_global_offset_x
      - .offset:         112
        .size:           8
        .value_kind:     hidden_global_offset_y
      - .offset:         120
        .size:           8
        .value_kind:     hidden_global_offset_z
      - .offset:         128
        .size:           2
        .value_kind:     hidden_grid_dims
    .group_segment_fixed_size: 0
    .kernarg_segment_align: 8
    .kernarg_segment_size: 320
    .language:       OpenCL C
    .language_version:
      - 2
      - 0
    .max_flat_workgroup_size: 32
    .name:           _ZN2at6native12_GLOBAL__N_135GammaBetaBackwardCUDAKernelTemplateIN3c104HalfEfLj32ELj1ELj32ELb1ELb0ELb1EEEvllPKT_S7_PKT0_SA_PS5_SB_
    .private_segment_fixed_size: 300
    .sgpr_count:     32
    .sgpr_spill_count: 0
    .symbol:         _ZN2at6native12_GLOBAL__N_135GammaBetaBackwardCUDAKernelTemplateIN3c104HalfEfLj32ELj1ELj32ELb1ELb0ELb1EEEvllPKT_S7_PKT0_SA_PS5_SB_.kd
    .uniform_work_group_size: 1
    .uses_dynamic_stack: false
    .vgpr_count:     256
    .vgpr_spill_count: 145
    .wavefront_size: 32
    .workgroup_processor_mode: 1
  - .args:
      - .offset:         0
        .size:           8
        .value_kind:     by_value
      - .offset:         8
        .size:           8
        .value_kind:     by_value
      - .actual_access:  read_only
        .address_space:  global
        .offset:         16
        .size:           8
        .value_kind:     global_buffer
      - .actual_access:  read_only
        .address_space:  global
        .offset:         24
        .size:           8
        .value_kind:     global_buffer
      - .actual_access:  read_only
        .address_space:  global
        .offset:         32
        .size:           8
        .value_kind:     global_buffer
      - .actual_access:  read_only
        .address_space:  global
        .offset:         40
        .size:           8
        .value_kind:     global_buffer
      - .actual_access:  write_only
        .address_space:  global
        .offset:         48
        .size:           8
        .value_kind:     global_buffer
      - .actual_access:  read_only
        .address_space:  global
        .offset:         56
        .size:           8
        .value_kind:     global_buffer
      - .offset:         64
        .size:           4
        .value_kind:     hidden_block_count_x
      - .offset:         68
        .size:           4
        .value_kind:     hidden_block_count_y
      - .offset:         72
        .size:           4
        .value_kind:     hidden_block_count_z
      - .offset:         76
        .size:           2
        .value_kind:     hidden_group_size_x
      - .offset:         78
        .size:           2
        .value_kind:     hidden_group_size_y
      - .offset:         80
        .size:           2
        .value_kind:     hidden_group_size_z
      - .offset:         82
        .size:           2
        .value_kind:     hidden_remainder_x
      - .offset:         84
        .size:           2
        .value_kind:     hidden_remainder_y
      - .offset:         86
        .size:           2
        .value_kind:     hidden_remainder_z
      - .offset:         104
        .size:           8
        .value_kind:     hidden_global_offset_x
      - .offset:         112
        .size:           8
        .value_kind:     hidden_global_offset_y
      - .offset:         120
        .size:           8
        .value_kind:     hidden_global_offset_z
      - .offset:         128
        .size:           2
        .value_kind:     hidden_grid_dims
    .group_segment_fixed_size: 0
    .kernarg_segment_align: 8
    .kernarg_segment_size: 320
    .language:       OpenCL C
    .language_version:
      - 2
      - 0
    .max_flat_workgroup_size: 32
    .name:           _ZN2at6native12_GLOBAL__N_135GammaBetaBackwardCUDAKernelTemplateIN3c104HalfEfLj32ELj1ELj8ELb1ELb1ELb1EEEvllPKT_S7_PKT0_SA_PS5_SB_
    .private_segment_fixed_size: 0
    .sgpr_count:     28
    .sgpr_spill_count: 0
    .symbol:         _ZN2at6native12_GLOBAL__N_135GammaBetaBackwardCUDAKernelTemplateIN3c104HalfEfLj32ELj1ELj8ELb1ELb1ELb1EEEvllPKT_S7_PKT0_SA_PS5_SB_.kd
    .uniform_work_group_size: 1
    .uses_dynamic_stack: false
    .vgpr_count:     41
    .vgpr_spill_count: 0
    .wavefront_size: 32
    .workgroup_processor_mode: 1
  - .args:
      - .offset:         0
        .size:           8
        .value_kind:     by_value
      - .offset:         8
        .size:           8
        .value_kind:     by_value
      - .actual_access:  read_only
        .address_space:  global
        .offset:         16
        .size:           8
        .value_kind:     global_buffer
      - .actual_access:  read_only
        .address_space:  global
        .offset:         24
        .size:           8
        .value_kind:     global_buffer
      - .actual_access:  read_only
        .address_space:  global
        .offset:         32
        .size:           8
        .value_kind:     global_buffer
      - .actual_access:  read_only
        .address_space:  global
        .offset:         40
        .size:           8
        .value_kind:     global_buffer
      - .actual_access:  write_only
        .address_space:  global
        .offset:         48
        .size:           8
        .value_kind:     global_buffer
      - .actual_access:  read_only
        .address_space:  global
        .offset:         56
        .size:           8
        .value_kind:     global_buffer
      - .offset:         64
        .size:           4
        .value_kind:     hidden_block_count_x
      - .offset:         68
        .size:           4
        .value_kind:     hidden_block_count_y
      - .offset:         72
        .size:           4
        .value_kind:     hidden_block_count_z
      - .offset:         76
        .size:           2
        .value_kind:     hidden_group_size_x
      - .offset:         78
        .size:           2
        .value_kind:     hidden_group_size_y
      - .offset:         80
        .size:           2
        .value_kind:     hidden_group_size_z
      - .offset:         82
        .size:           2
        .value_kind:     hidden_remainder_x
      - .offset:         84
        .size:           2
        .value_kind:     hidden_remainder_y
      - .offset:         86
        .size:           2
        .value_kind:     hidden_remainder_z
      - .offset:         104
        .size:           8
        .value_kind:     hidden_global_offset_x
      - .offset:         112
        .size:           8
        .value_kind:     hidden_global_offset_y
      - .offset:         120
        .size:           8
        .value_kind:     hidden_global_offset_z
      - .offset:         128
        .size:           2
        .value_kind:     hidden_grid_dims
    .group_segment_fixed_size: 0
    .kernarg_segment_align: 8
    .kernarg_segment_size: 320
    .language:       OpenCL C
    .language_version:
      - 2
      - 0
    .max_flat_workgroup_size: 32
    .name:           _ZN2at6native12_GLOBAL__N_135GammaBetaBackwardCUDAKernelTemplateIN3c104HalfEfLj32ELj1ELj8ELb1ELb0ELb1EEEvllPKT_S7_PKT0_SA_PS5_SB_
    .private_segment_fixed_size: 0
    .sgpr_count:     39
    .sgpr_spill_count: 0
    .symbol:         _ZN2at6native12_GLOBAL__N_135GammaBetaBackwardCUDAKernelTemplateIN3c104HalfEfLj32ELj1ELj8ELb1ELb0ELb1EEEvllPKT_S7_PKT0_SA_PS5_SB_.kd
    .uniform_work_group_size: 1
    .uses_dynamic_stack: false
    .vgpr_count:     95
    .vgpr_spill_count: 0
    .wavefront_size: 32
    .workgroup_processor_mode: 1
  - .args:
      - .offset:         0
        .size:           8
        .value_kind:     by_value
      - .offset:         8
        .size:           8
        .value_kind:     by_value
      - .actual_access:  read_only
        .address_space:  global
        .offset:         16
        .size:           8
        .value_kind:     global_buffer
      - .actual_access:  read_only
        .address_space:  global
        .offset:         24
        .size:           8
        .value_kind:     global_buffer
      - .actual_access:  read_only
        .address_space:  global
        .offset:         32
        .size:           8
        .value_kind:     global_buffer
      - .actual_access:  read_only
        .address_space:  global
        .offset:         40
        .size:           8
        .value_kind:     global_buffer
      - .actual_access:  write_only
        .address_space:  global
        .offset:         48
        .size:           8
        .value_kind:     global_buffer
      - .actual_access:  read_only
        .address_space:  global
        .offset:         56
        .size:           8
        .value_kind:     global_buffer
      - .offset:         64
        .size:           4
        .value_kind:     hidden_block_count_x
      - .offset:         68
        .size:           4
        .value_kind:     hidden_block_count_y
      - .offset:         72
        .size:           4
        .value_kind:     hidden_block_count_z
      - .offset:         76
        .size:           2
        .value_kind:     hidden_group_size_x
      - .offset:         78
        .size:           2
        .value_kind:     hidden_group_size_y
      - .offset:         80
        .size:           2
        .value_kind:     hidden_group_size_z
      - .offset:         82
        .size:           2
        .value_kind:     hidden_remainder_x
      - .offset:         84
        .size:           2
        .value_kind:     hidden_remainder_y
      - .offset:         86
        .size:           2
        .value_kind:     hidden_remainder_z
      - .offset:         104
        .size:           8
        .value_kind:     hidden_global_offset_x
      - .offset:         112
        .size:           8
        .value_kind:     hidden_global_offset_y
      - .offset:         120
        .size:           8
        .value_kind:     hidden_global_offset_z
      - .offset:         128
        .size:           2
        .value_kind:     hidden_grid_dims
      - .offset:         184
        .size:           4
        .value_kind:     hidden_dynamic_lds_size
    .group_segment_fixed_size: 0
    .kernarg_segment_align: 8
    .kernarg_segment_size: 320
    .language:       OpenCL C
    .language_version:
      - 2
      - 0
    .max_flat_workgroup_size: 256
    .name:           _ZN2at6native12_GLOBAL__N_135GammaBetaBackwardCUDAKernelTemplateIN3c104HalfEfLj32ELj8ELj64ELb0ELb1ELb1EEEvllPKT_S7_PKT0_SA_PS5_SB_
    .private_segment_fixed_size: 0
    .sgpr_count:     24
    .sgpr_spill_count: 0
    .symbol:         _ZN2at6native12_GLOBAL__N_135GammaBetaBackwardCUDAKernelTemplateIN3c104HalfEfLj32ELj8ELj64ELb0ELb1ELb1EEEvllPKT_S7_PKT0_SA_PS5_SB_.kd
    .uniform_work_group_size: 1
    .uses_dynamic_stack: false
    .vgpr_count:     41
    .vgpr_spill_count: 0
    .wavefront_size: 32
    .workgroup_processor_mode: 1
  - .args:
      - .offset:         0
        .size:           8
        .value_kind:     by_value
      - .offset:         8
        .size:           8
        .value_kind:     by_value
      - .actual_access:  read_only
        .address_space:  global
        .offset:         16
        .size:           8
        .value_kind:     global_buffer
      - .actual_access:  read_only
        .address_space:  global
        .offset:         24
        .size:           8
        .value_kind:     global_buffer
      - .actual_access:  read_only
        .address_space:  global
        .offset:         32
        .size:           8
        .value_kind:     global_buffer
      - .actual_access:  read_only
        .address_space:  global
        .offset:         40
        .size:           8
        .value_kind:     global_buffer
      - .actual_access:  write_only
        .address_space:  global
        .offset:         48
        .size:           8
        .value_kind:     global_buffer
      - .actual_access:  read_only
        .address_space:  global
        .offset:         56
        .size:           8
        .value_kind:     global_buffer
      - .offset:         64
        .size:           4
        .value_kind:     hidden_block_count_x
      - .offset:         68
        .size:           4
        .value_kind:     hidden_block_count_y
      - .offset:         72
        .size:           4
        .value_kind:     hidden_block_count_z
      - .offset:         76
        .size:           2
        .value_kind:     hidden_group_size_x
      - .offset:         78
        .size:           2
        .value_kind:     hidden_group_size_y
      - .offset:         80
        .size:           2
        .value_kind:     hidden_group_size_z
      - .offset:         82
        .size:           2
        .value_kind:     hidden_remainder_x
      - .offset:         84
        .size:           2
        .value_kind:     hidden_remainder_y
      - .offset:         86
        .size:           2
        .value_kind:     hidden_remainder_z
      - .offset:         104
        .size:           8
        .value_kind:     hidden_global_offset_x
      - .offset:         112
        .size:           8
        .value_kind:     hidden_global_offset_y
      - .offset:         120
        .size:           8
        .value_kind:     hidden_global_offset_z
      - .offset:         128
        .size:           2
        .value_kind:     hidden_grid_dims
      - .offset:         184
        .size:           4
        .value_kind:     hidden_dynamic_lds_size
    .group_segment_fixed_size: 0
    .kernarg_segment_align: 8
    .kernarg_segment_size: 320
    .language:       OpenCL C
    .language_version:
      - 2
      - 0
    .max_flat_workgroup_size: 256
    .name:           _ZN2at6native12_GLOBAL__N_135GammaBetaBackwardCUDAKernelTemplateIN3c104HalfEfLj32ELj8ELj64ELb0ELb0ELb1EEEvllPKT_S7_PKT0_SA_PS5_SB_
    .private_segment_fixed_size: 0
    .sgpr_count:     39
    .sgpr_spill_count: 0
    .symbol:         _ZN2at6native12_GLOBAL__N_135GammaBetaBackwardCUDAKernelTemplateIN3c104HalfEfLj32ELj8ELj64ELb0ELb0ELb1EEEvllPKT_S7_PKT0_SA_PS5_SB_.kd
    .uniform_work_group_size: 1
    .uses_dynamic_stack: false
    .vgpr_count:     94
    .vgpr_spill_count: 0
    .wavefront_size: 32
    .workgroup_processor_mode: 1
  - .args:
      - .offset:         0
        .size:           8
        .value_kind:     by_value
      - .offset:         8
        .size:           8
        .value_kind:     by_value
      - .actual_access:  read_only
        .address_space:  global
        .offset:         16
        .size:           8
        .value_kind:     global_buffer
      - .actual_access:  read_only
        .address_space:  global
        .offset:         24
        .size:           8
        .value_kind:     global_buffer
      - .actual_access:  read_only
        .address_space:  global
        .offset:         32
        .size:           8
        .value_kind:     global_buffer
      - .actual_access:  read_only
        .address_space:  global
        .offset:         40
        .size:           8
        .value_kind:     global_buffer
      - .actual_access:  write_only
        .address_space:  global
        .offset:         48
        .size:           8
        .value_kind:     global_buffer
      - .actual_access:  read_only
        .address_space:  global
        .offset:         56
        .size:           8
        .value_kind:     global_buffer
      - .offset:         64
        .size:           4
        .value_kind:     hidden_block_count_x
      - .offset:         68
        .size:           4
        .value_kind:     hidden_block_count_y
      - .offset:         72
        .size:           4
        .value_kind:     hidden_block_count_z
      - .offset:         76
        .size:           2
        .value_kind:     hidden_group_size_x
      - .offset:         78
        .size:           2
        .value_kind:     hidden_group_size_y
      - .offset:         80
        .size:           2
        .value_kind:     hidden_group_size_z
      - .offset:         82
        .size:           2
        .value_kind:     hidden_remainder_x
      - .offset:         84
        .size:           2
        .value_kind:     hidden_remainder_y
      - .offset:         86
        .size:           2
        .value_kind:     hidden_remainder_z
      - .offset:         104
        .size:           8
        .value_kind:     hidden_global_offset_x
      - .offset:         112
        .size:           8
        .value_kind:     hidden_global_offset_y
      - .offset:         120
        .size:           8
        .value_kind:     hidden_global_offset_z
      - .offset:         128
        .size:           2
        .value_kind:     hidden_grid_dims
      - .offset:         184
        .size:           4
        .value_kind:     hidden_dynamic_lds_size
    .group_segment_fixed_size: 0
    .kernarg_segment_align: 8
    .kernarg_segment_size: 320
    .language:       OpenCL C
    .language_version:
      - 2
      - 0
    .max_flat_workgroup_size: 512
    .name:           _ZN2at6native12_GLOBAL__N_135GammaBetaBackwardCUDAKernelTemplateIN3c104HalfEfLj32ELj16ELj128ELb0ELb1ELb1EEEvllPKT_S7_PKT0_SA_PS5_SB_
    .private_segment_fixed_size: 0
    .sgpr_count:     24
    .sgpr_spill_count: 0
    .symbol:         _ZN2at6native12_GLOBAL__N_135GammaBetaBackwardCUDAKernelTemplateIN3c104HalfEfLj32ELj16ELj128ELb0ELb1ELb1EEEvllPKT_S7_PKT0_SA_PS5_SB_.kd
    .uniform_work_group_size: 1
    .uses_dynamic_stack: false
    .vgpr_count:     41
    .vgpr_spill_count: 0
    .wavefront_size: 32
    .workgroup_processor_mode: 1
  - .args:
      - .offset:         0
        .size:           8
        .value_kind:     by_value
      - .offset:         8
        .size:           8
        .value_kind:     by_value
      - .actual_access:  read_only
        .address_space:  global
        .offset:         16
        .size:           8
        .value_kind:     global_buffer
      - .actual_access:  read_only
        .address_space:  global
        .offset:         24
        .size:           8
        .value_kind:     global_buffer
      - .actual_access:  read_only
        .address_space:  global
        .offset:         32
        .size:           8
        .value_kind:     global_buffer
      - .actual_access:  read_only
        .address_space:  global
        .offset:         40
        .size:           8
        .value_kind:     global_buffer
      - .actual_access:  write_only
        .address_space:  global
        .offset:         48
        .size:           8
        .value_kind:     global_buffer
      - .actual_access:  read_only
        .address_space:  global
        .offset:         56
        .size:           8
        .value_kind:     global_buffer
      - .offset:         64
        .size:           4
        .value_kind:     hidden_block_count_x
      - .offset:         68
        .size:           4
        .value_kind:     hidden_block_count_y
      - .offset:         72
        .size:           4
        .value_kind:     hidden_block_count_z
      - .offset:         76
        .size:           2
        .value_kind:     hidden_group_size_x
      - .offset:         78
        .size:           2
        .value_kind:     hidden_group_size_y
      - .offset:         80
        .size:           2
        .value_kind:     hidden_group_size_z
      - .offset:         82
        .size:           2
        .value_kind:     hidden_remainder_x
      - .offset:         84
        .size:           2
        .value_kind:     hidden_remainder_y
      - .offset:         86
        .size:           2
        .value_kind:     hidden_remainder_z
      - .offset:         104
        .size:           8
        .value_kind:     hidden_global_offset_x
      - .offset:         112
        .size:           8
        .value_kind:     hidden_global_offset_y
      - .offset:         120
        .size:           8
        .value_kind:     hidden_global_offset_z
      - .offset:         128
        .size:           2
        .value_kind:     hidden_grid_dims
      - .offset:         184
        .size:           4
        .value_kind:     hidden_dynamic_lds_size
    .group_segment_fixed_size: 0
    .kernarg_segment_align: 8
    .kernarg_segment_size: 320
    .language:       OpenCL C
    .language_version:
      - 2
      - 0
    .max_flat_workgroup_size: 512
    .name:           _ZN2at6native12_GLOBAL__N_135GammaBetaBackwardCUDAKernelTemplateIN3c104HalfEfLj32ELj16ELj128ELb0ELb0ELb1EEEvllPKT_S7_PKT0_SA_PS5_SB_
    .private_segment_fixed_size: 0
    .sgpr_count:     39
    .sgpr_spill_count: 0
    .symbol:         _ZN2at6native12_GLOBAL__N_135GammaBetaBackwardCUDAKernelTemplateIN3c104HalfEfLj32ELj16ELj128ELb0ELb0ELb1EEEvllPKT_S7_PKT0_SA_PS5_SB_.kd
    .uniform_work_group_size: 1
    .uses_dynamic_stack: false
    .vgpr_count:     94
    .vgpr_spill_count: 0
    .wavefront_size: 32
    .workgroup_processor_mode: 1
  - .args:
      - .offset:         0
        .size:           8
        .value_kind:     by_value
      - .offset:         8
        .size:           8
        .value_kind:     by_value
      - .actual_access:  read_only
        .address_space:  global
        .offset:         16
        .size:           8
        .value_kind:     global_buffer
      - .actual_access:  read_only
        .address_space:  global
        .offset:         24
        .size:           8
        .value_kind:     global_buffer
      - .actual_access:  read_only
        .address_space:  global
        .offset:         32
        .size:           8
        .value_kind:     global_buffer
      - .actual_access:  read_only
        .address_space:  global
        .offset:         40
        .size:           8
        .value_kind:     global_buffer
      - .actual_access:  write_only
        .address_space:  global
        .offset:         48
        .size:           8
        .value_kind:     global_buffer
      - .actual_access:  read_only
        .address_space:  global
        .offset:         56
        .size:           8
        .value_kind:     global_buffer
      - .offset:         64
        .size:           4
        .value_kind:     hidden_block_count_x
      - .offset:         68
        .size:           4
        .value_kind:     hidden_block_count_y
      - .offset:         72
        .size:           4
        .value_kind:     hidden_block_count_z
      - .offset:         76
        .size:           2
        .value_kind:     hidden_group_size_x
      - .offset:         78
        .size:           2
        .value_kind:     hidden_group_size_y
      - .offset:         80
        .size:           2
        .value_kind:     hidden_group_size_z
      - .offset:         82
        .size:           2
        .value_kind:     hidden_remainder_x
      - .offset:         84
        .size:           2
        .value_kind:     hidden_remainder_y
      - .offset:         86
        .size:           2
        .value_kind:     hidden_remainder_z
      - .offset:         104
        .size:           8
        .value_kind:     hidden_global_offset_x
      - .offset:         112
        .size:           8
        .value_kind:     hidden_global_offset_y
      - .offset:         120
        .size:           8
        .value_kind:     hidden_global_offset_z
      - .offset:         128
        .size:           2
        .value_kind:     hidden_grid_dims
      - .offset:         184
        .size:           4
        .value_kind:     hidden_dynamic_lds_size
    .group_segment_fixed_size: 0
    .kernarg_segment_align: 8
    .kernarg_segment_size: 320
    .language:       OpenCL C
    .language_version:
      - 2
      - 0
    .max_flat_workgroup_size: 1024
    .name:           _ZN2at6native12_GLOBAL__N_135GammaBetaBackwardCUDAKernelTemplateIN3c104HalfEfLj32ELj32ELj256ELb0ELb1ELb1EEEvllPKT_S7_PKT0_SA_PS5_SB_
    .private_segment_fixed_size: 0
    .sgpr_count:     24
    .sgpr_spill_count: 0
    .symbol:         _ZN2at6native12_GLOBAL__N_135GammaBetaBackwardCUDAKernelTemplateIN3c104HalfEfLj32ELj32ELj256ELb0ELb1ELb1EEEvllPKT_S7_PKT0_SA_PS5_SB_.kd
    .uniform_work_group_size: 1
    .uses_dynamic_stack: false
    .vgpr_count:     41
    .vgpr_spill_count: 0
    .wavefront_size: 32
    .workgroup_processor_mode: 1
  - .args:
      - .offset:         0
        .size:           8
        .value_kind:     by_value
      - .offset:         8
        .size:           8
        .value_kind:     by_value
      - .actual_access:  read_only
        .address_space:  global
        .offset:         16
        .size:           8
        .value_kind:     global_buffer
      - .actual_access:  read_only
        .address_space:  global
        .offset:         24
        .size:           8
        .value_kind:     global_buffer
      - .actual_access:  read_only
        .address_space:  global
        .offset:         32
        .size:           8
        .value_kind:     global_buffer
      - .actual_access:  read_only
        .address_space:  global
        .offset:         40
        .size:           8
        .value_kind:     global_buffer
      - .actual_access:  write_only
        .address_space:  global
        .offset:         48
        .size:           8
        .value_kind:     global_buffer
      - .actual_access:  read_only
        .address_space:  global
        .offset:         56
        .size:           8
        .value_kind:     global_buffer
      - .offset:         64
        .size:           4
        .value_kind:     hidden_block_count_x
      - .offset:         68
        .size:           4
        .value_kind:     hidden_block_count_y
      - .offset:         72
        .size:           4
        .value_kind:     hidden_block_count_z
      - .offset:         76
        .size:           2
        .value_kind:     hidden_group_size_x
      - .offset:         78
        .size:           2
        .value_kind:     hidden_group_size_y
      - .offset:         80
        .size:           2
        .value_kind:     hidden_group_size_z
      - .offset:         82
        .size:           2
        .value_kind:     hidden_remainder_x
      - .offset:         84
        .size:           2
        .value_kind:     hidden_remainder_y
      - .offset:         86
        .size:           2
        .value_kind:     hidden_remainder_z
      - .offset:         104
        .size:           8
        .value_kind:     hidden_global_offset_x
      - .offset:         112
        .size:           8
        .value_kind:     hidden_global_offset_y
      - .offset:         120
        .size:           8
        .value_kind:     hidden_global_offset_z
      - .offset:         128
        .size:           2
        .value_kind:     hidden_grid_dims
      - .offset:         184
        .size:           4
        .value_kind:     hidden_dynamic_lds_size
    .group_segment_fixed_size: 0
    .kernarg_segment_align: 8
    .kernarg_segment_size: 320
    .language:       OpenCL C
    .language_version:
      - 2
      - 0
    .max_flat_workgroup_size: 1024
    .name:           _ZN2at6native12_GLOBAL__N_135GammaBetaBackwardCUDAKernelTemplateIN3c104HalfEfLj32ELj32ELj256ELb0ELb0ELb1EEEvllPKT_S7_PKT0_SA_PS5_SB_
    .private_segment_fixed_size: 0
    .sgpr_count:     39
    .sgpr_spill_count: 0
    .symbol:         _ZN2at6native12_GLOBAL__N_135GammaBetaBackwardCUDAKernelTemplateIN3c104HalfEfLj32ELj32ELj256ELb0ELb0ELb1EEEvllPKT_S7_PKT0_SA_PS5_SB_.kd
    .uniform_work_group_size: 1
    .uses_dynamic_stack: false
    .vgpr_count:     94
    .vgpr_spill_count: 0
    .wavefront_size: 32
    .workgroup_processor_mode: 1
  - .args:
      - .actual_access:  read_only
        .address_space:  global
        .offset:         0
        .size:           8
        .value_kind:     global_buffer
      - .actual_access:  read_only
        .address_space:  global
        .offset:         8
        .size:           8
        .value_kind:     global_buffer
      - .offset:         16
        .size:           8
        .value_kind:     by_value
      - .offset:         24
        .size:           8
        .value_kind:     by_value
      - .actual_access:  read_only
        .address_space:  global
        .offset:         32
        .size:           8
        .value_kind:     global_buffer
      - .actual_access:  read_only
        .address_space:  global
        .offset:         40
        .size:           8
        .value_kind:     global_buffer
      - .address_space:  global
        .offset:         48
        .size:           8
        .value_kind:     global_buffer
      - .address_space:  global
        .offset:         56
        .size:           8
        .value_kind:     global_buffer
      - .offset:         64
        .size:           4
        .value_kind:     hidden_block_count_x
      - .offset:         68
        .size:           4
        .value_kind:     hidden_block_count_y
      - .offset:         72
        .size:           4
        .value_kind:     hidden_block_count_z
      - .offset:         76
        .size:           2
        .value_kind:     hidden_group_size_x
      - .offset:         78
        .size:           2
        .value_kind:     hidden_group_size_y
      - .offset:         80
        .size:           2
        .value_kind:     hidden_group_size_z
      - .offset:         82
        .size:           2
        .value_kind:     hidden_remainder_x
      - .offset:         84
        .size:           2
        .value_kind:     hidden_remainder_y
      - .offset:         86
        .size:           2
        .value_kind:     hidden_remainder_z
      - .offset:         104
        .size:           8
        .value_kind:     hidden_global_offset_x
      - .offset:         112
        .size:           8
        .value_kind:     hidden_global_offset_y
      - .offset:         120
        .size:           8
        .value_kind:     hidden_global_offset_z
      - .offset:         128
        .size:           2
        .value_kind:     hidden_grid_dims
      - .offset:         184
        .size:           4
        .value_kind:     hidden_dynamic_lds_size
    .group_segment_fixed_size: 0
    .kernarg_segment_align: 8
    .kernarg_segment_size: 320
    .language:       OpenCL C
    .language_version:
      - 2
      - 0
    .max_flat_workgroup_size: 1024
    .name:           _ZN2at6native12_GLOBAL__N_118cuComputeGradInputIN3c108BFloat16EfLb1EEEvPKT_S7_llPKT0_SA_S7_PS5_
    .private_segment_fixed_size: 0
    .sgpr_count:     41
    .sgpr_spill_count: 0
    .symbol:         _ZN2at6native12_GLOBAL__N_118cuComputeGradInputIN3c108BFloat16EfLb1EEEvPKT_S7_llPKT0_SA_S7_PS5_.kd
    .uniform_work_group_size: 1
    .uses_dynamic_stack: false
    .vgpr_count:     22
    .vgpr_spill_count: 0
    .wavefront_size: 32
    .workgroup_processor_mode: 1
  - .args:
      - .actual_access:  read_only
        .address_space:  global
        .offset:         0
        .size:           8
        .value_kind:     global_buffer
      - .actual_access:  read_only
        .address_space:  global
        .offset:         8
        .size:           8
        .value_kind:     global_buffer
      - .actual_access:  read_only
        .address_space:  global
        .offset:         16
        .size:           8
        .value_kind:     global_buffer
      - .actual_access:  read_only
        .address_space:  global
        .offset:         24
        .size:           8
        .value_kind:     global_buffer
      - .actual_access:  read_only
        .address_space:  global
        .offset:         32
        .size:           8
        .value_kind:     global_buffer
      - .address_space:  global
        .offset:         40
        .size:           8
        .value_kind:     global_buffer
      - .offset:         48
        .size:           4
        .value_kind:     by_value
      - .offset:         56
        .size:           4
        .value_kind:     hidden_block_count_x
      - .offset:         60
        .size:           4
        .value_kind:     hidden_block_count_y
      - .offset:         64
        .size:           4
        .value_kind:     hidden_block_count_z
      - .offset:         68
        .size:           2
        .value_kind:     hidden_group_size_x
      - .offset:         70
        .size:           2
        .value_kind:     hidden_group_size_y
      - .offset:         72
        .size:           2
        .value_kind:     hidden_group_size_z
      - .offset:         74
        .size:           2
        .value_kind:     hidden_remainder_x
      - .offset:         76
        .size:           2
        .value_kind:     hidden_remainder_y
      - .offset:         78
        .size:           2
        .value_kind:     hidden_remainder_z
      - .offset:         96
        .size:           8
        .value_kind:     hidden_global_offset_x
      - .offset:         104
        .size:           8
        .value_kind:     hidden_global_offset_y
      - .offset:         112
        .size:           8
        .value_kind:     hidden_global_offset_z
      - .offset:         120
        .size:           2
        .value_kind:     hidden_grid_dims
      - .offset:         176
        .size:           4
        .value_kind:     hidden_dynamic_lds_size
    .group_segment_fixed_size: 0
    .kernarg_segment_align: 8
    .kernarg_segment_size: 312
    .language:       OpenCL C
    .language_version:
      - 2
      - 0
    .max_flat_workgroup_size: 1024
    .name:           _ZN2at6native12_GLOBAL__N_128layer_norm_grad_input_kernelIN3c108BFloat16EfLb1EEEvPKT_S7_PKT0_SA_S7_PS5_i
    .private_segment_fixed_size: 0
    .sgpr_count:     28
    .sgpr_spill_count: 0
    .symbol:         _ZN2at6native12_GLOBAL__N_128layer_norm_grad_input_kernelIN3c108BFloat16EfLb1EEEvPKT_S7_PKT0_SA_S7_PS5_i.kd
    .uniform_work_group_size: 1
    .uses_dynamic_stack: false
    .vgpr_count:     20
    .vgpr_spill_count: 0
    .wavefront_size: 32
    .workgroup_processor_mode: 1
  - .args:
      - .offset:         0
        .size:           8
        .value_kind:     by_value
      - .offset:         8
        .size:           8
        .value_kind:     by_value
      - .address_space:  global
        .offset:         16
        .size:           8
        .value_kind:     global_buffer
      - .address_space:  global
        .offset:         24
        .size:           8
        .value_kind:     global_buffer
      - .address_space:  global
        .offset:         32
        .size:           8
        .value_kind:     global_buffer
      - .address_space:  global
        .offset:         40
        .size:           8
        .value_kind:     global_buffer
      - .address_space:  global
        .offset:         48
        .size:           8
        .value_kind:     global_buffer
      - .address_space:  global
        .offset:         56
        .size:           8
        .value_kind:     global_buffer
      - .offset:         64
        .size:           4
        .value_kind:     hidden_block_count_x
      - .offset:         68
        .size:           4
        .value_kind:     hidden_block_count_y
      - .offset:         72
        .size:           4
        .value_kind:     hidden_block_count_z
      - .offset:         76
        .size:           2
        .value_kind:     hidden_group_size_x
      - .offset:         78
        .size:           2
        .value_kind:     hidden_group_size_y
      - .offset:         80
        .size:           2
        .value_kind:     hidden_group_size_z
      - .offset:         82
        .size:           2
        .value_kind:     hidden_remainder_x
      - .offset:         84
        .size:           2
        .value_kind:     hidden_remainder_y
      - .offset:         86
        .size:           2
        .value_kind:     hidden_remainder_z
      - .offset:         104
        .size:           8
        .value_kind:     hidden_global_offset_x
      - .offset:         112
        .size:           8
        .value_kind:     hidden_global_offset_y
      - .offset:         120
        .size:           8
        .value_kind:     hidden_global_offset_z
      - .offset:         128
        .size:           2
        .value_kind:     hidden_grid_dims
    .group_segment_fixed_size: 0
    .kernarg_segment_align: 8
    .kernarg_segment_size: 320
    .language:       OpenCL C
    .language_version:
      - 2
      - 0
    .max_flat_workgroup_size: 1024
    .name:           _ZN2at6native12_GLOBAL__N_133GammaBetaBackwardSimpleCUDAKernelIN3c108BFloat16EfLb1EEEvllPKT_S7_PKT0_SA_PS5_SB_
    .private_segment_fixed_size: 0
    .sgpr_count:     18
    .sgpr_spill_count: 0
    .symbol:         _ZN2at6native12_GLOBAL__N_133GammaBetaBackwardSimpleCUDAKernelIN3c108BFloat16EfLb1EEEvllPKT_S7_PKT0_SA_PS5_SB_.kd
    .uniform_work_group_size: 1
    .uses_dynamic_stack: false
    .vgpr_count:     10
    .vgpr_spill_count: 0
    .wavefront_size: 32
    .workgroup_processor_mode: 1
  - .args:
      - .offset:         0
        .size:           8
        .value_kind:     by_value
      - .offset:         8
        .size:           8
        .value_kind:     by_value
      - .actual_access:  read_only
        .address_space:  global
        .offset:         16
        .size:           8
        .value_kind:     global_buffer
      - .actual_access:  read_only
        .address_space:  global
        .offset:         24
        .size:           8
        .value_kind:     global_buffer
      - .actual_access:  read_only
        .address_space:  global
        .offset:         32
        .size:           8
        .value_kind:     global_buffer
      - .actual_access:  read_only
        .address_space:  global
        .offset:         40
        .size:           8
        .value_kind:     global_buffer
      - .actual_access:  write_only
        .address_space:  global
        .offset:         48
        .size:           8
        .value_kind:     global_buffer
      - .actual_access:  read_only
        .address_space:  global
        .offset:         56
        .size:           8
        .value_kind:     global_buffer
      - .offset:         64
        .size:           4
        .value_kind:     hidden_block_count_x
      - .offset:         68
        .size:           4
        .value_kind:     hidden_block_count_y
      - .offset:         72
        .size:           4
        .value_kind:     hidden_block_count_z
      - .offset:         76
        .size:           2
        .value_kind:     hidden_group_size_x
      - .offset:         78
        .size:           2
        .value_kind:     hidden_group_size_y
      - .offset:         80
        .size:           2
        .value_kind:     hidden_group_size_z
      - .offset:         82
        .size:           2
        .value_kind:     hidden_remainder_x
      - .offset:         84
        .size:           2
        .value_kind:     hidden_remainder_y
      - .offset:         86
        .size:           2
        .value_kind:     hidden_remainder_z
      - .offset:         104
        .size:           8
        .value_kind:     hidden_global_offset_x
      - .offset:         112
        .size:           8
        .value_kind:     hidden_global_offset_y
      - .offset:         120
        .size:           8
        .value_kind:     hidden_global_offset_z
      - .offset:         128
        .size:           2
        .value_kind:     hidden_grid_dims
    .group_segment_fixed_size: 0
    .kernarg_segment_align: 8
    .kernarg_segment_size: 320
    .language:       OpenCL C
    .language_version:
      - 2
      - 0
    .max_flat_workgroup_size: 64
    .name:           _ZN2at6native12_GLOBAL__N_135GammaBetaBackwardCUDAKernelTemplateIN3c108BFloat16EfLj64ELj1ELj32ELb1ELb1ELb1EEEvllPKT_S7_PKT0_SA_PS5_SB_
    .private_segment_fixed_size: 0
    .sgpr_count:     26
    .sgpr_spill_count: 0
    .symbol:         _ZN2at6native12_GLOBAL__N_135GammaBetaBackwardCUDAKernelTemplateIN3c108BFloat16EfLj64ELj1ELj32ELb1ELb1ELb1EEEvllPKT_S7_PKT0_SA_PS5_SB_.kd
    .uniform_work_group_size: 1
    .uses_dynamic_stack: false
    .vgpr_count:     96
    .vgpr_spill_count: 0
    .wavefront_size: 32
    .workgroup_processor_mode: 1
  - .args:
      - .offset:         0
        .size:           8
        .value_kind:     by_value
      - .offset:         8
        .size:           8
        .value_kind:     by_value
      - .actual_access:  read_only
        .address_space:  global
        .offset:         16
        .size:           8
        .value_kind:     global_buffer
      - .actual_access:  read_only
        .address_space:  global
        .offset:         24
        .size:           8
        .value_kind:     global_buffer
      - .actual_access:  read_only
        .address_space:  global
        .offset:         32
        .size:           8
        .value_kind:     global_buffer
      - .actual_access:  read_only
        .address_space:  global
        .offset:         40
        .size:           8
        .value_kind:     global_buffer
      - .actual_access:  write_only
        .address_space:  global
        .offset:         48
        .size:           8
        .value_kind:     global_buffer
      - .actual_access:  read_only
        .address_space:  global
        .offset:         56
        .size:           8
        .value_kind:     global_buffer
      - .offset:         64
        .size:           4
        .value_kind:     hidden_block_count_x
      - .offset:         68
        .size:           4
        .value_kind:     hidden_block_count_y
      - .offset:         72
        .size:           4
        .value_kind:     hidden_block_count_z
      - .offset:         76
        .size:           2
        .value_kind:     hidden_group_size_x
      - .offset:         78
        .size:           2
        .value_kind:     hidden_group_size_y
      - .offset:         80
        .size:           2
        .value_kind:     hidden_group_size_z
      - .offset:         82
        .size:           2
        .value_kind:     hidden_remainder_x
      - .offset:         84
        .size:           2
        .value_kind:     hidden_remainder_y
      - .offset:         86
        .size:           2
        .value_kind:     hidden_remainder_z
      - .offset:         104
        .size:           8
        .value_kind:     hidden_global_offset_x
      - .offset:         112
        .size:           8
        .value_kind:     hidden_global_offset_y
      - .offset:         120
        .size:           8
        .value_kind:     hidden_global_offset_z
      - .offset:         128
        .size:           2
        .value_kind:     hidden_grid_dims
    .group_segment_fixed_size: 0
    .kernarg_segment_align: 8
    .kernarg_segment_size: 320
    .language:       OpenCL C
    .language_version:
      - 2
      - 0
    .max_flat_workgroup_size: 64
    .name:           _ZN2at6native12_GLOBAL__N_135GammaBetaBackwardCUDAKernelTemplateIN3c108BFloat16EfLj64ELj1ELj32ELb1ELb0ELb1EEEvllPKT_S7_PKT0_SA_PS5_SB_
    .private_segment_fixed_size: 304
    .sgpr_count:     32
    .sgpr_spill_count: 0
    .symbol:         _ZN2at6native12_GLOBAL__N_135GammaBetaBackwardCUDAKernelTemplateIN3c108BFloat16EfLj64ELj1ELj32ELb1ELb0ELb1EEEvllPKT_S7_PKT0_SA_PS5_SB_.kd
    .uniform_work_group_size: 1
    .uses_dynamic_stack: false
    .vgpr_count:     256
    .vgpr_spill_count: 147
    .wavefront_size: 32
    .workgroup_processor_mode: 1
  - .args:
      - .offset:         0
        .size:           8
        .value_kind:     by_value
      - .offset:         8
        .size:           8
        .value_kind:     by_value
      - .actual_access:  read_only
        .address_space:  global
        .offset:         16
        .size:           8
        .value_kind:     global_buffer
      - .actual_access:  read_only
        .address_space:  global
        .offset:         24
        .size:           8
        .value_kind:     global_buffer
      - .actual_access:  read_only
        .address_space:  global
        .offset:         32
        .size:           8
        .value_kind:     global_buffer
      - .actual_access:  read_only
        .address_space:  global
        .offset:         40
        .size:           8
        .value_kind:     global_buffer
      - .actual_access:  write_only
        .address_space:  global
        .offset:         48
        .size:           8
        .value_kind:     global_buffer
      - .actual_access:  read_only
        .address_space:  global
        .offset:         56
        .size:           8
        .value_kind:     global_buffer
      - .offset:         64
        .size:           4
        .value_kind:     hidden_block_count_x
      - .offset:         68
        .size:           4
        .value_kind:     hidden_block_count_y
      - .offset:         72
        .size:           4
        .value_kind:     hidden_block_count_z
      - .offset:         76
        .size:           2
        .value_kind:     hidden_group_size_x
      - .offset:         78
        .size:           2
        .value_kind:     hidden_group_size_y
      - .offset:         80
        .size:           2
        .value_kind:     hidden_group_size_z
      - .offset:         82
        .size:           2
        .value_kind:     hidden_remainder_x
      - .offset:         84
        .size:           2
        .value_kind:     hidden_remainder_y
      - .offset:         86
        .size:           2
        .value_kind:     hidden_remainder_z
      - .offset:         104
        .size:           8
        .value_kind:     hidden_global_offset_x
      - .offset:         112
        .size:           8
        .value_kind:     hidden_global_offset_y
      - .offset:         120
        .size:           8
        .value_kind:     hidden_global_offset_z
      - .offset:         128
        .size:           2
        .value_kind:     hidden_grid_dims
    .group_segment_fixed_size: 0
    .kernarg_segment_align: 8
    .kernarg_segment_size: 320
    .language:       OpenCL C
    .language_version:
      - 2
      - 0
    .max_flat_workgroup_size: 64
    .name:           _ZN2at6native12_GLOBAL__N_135GammaBetaBackwardCUDAKernelTemplateIN3c108BFloat16EfLj64ELj1ELj8ELb1ELb1ELb1EEEvllPKT_S7_PKT0_SA_PS5_SB_
    .private_segment_fixed_size: 0
    .sgpr_count:     28
    .sgpr_spill_count: 0
    .symbol:         _ZN2at6native12_GLOBAL__N_135GammaBetaBackwardCUDAKernelTemplateIN3c108BFloat16EfLj64ELj1ELj8ELb1ELb1ELb1EEEvllPKT_S7_PKT0_SA_PS5_SB_.kd
    .uniform_work_group_size: 1
    .uses_dynamic_stack: false
    .vgpr_count:     40
    .vgpr_spill_count: 0
    .wavefront_size: 32
    .workgroup_processor_mode: 1
  - .args:
      - .offset:         0
        .size:           8
        .value_kind:     by_value
      - .offset:         8
        .size:           8
        .value_kind:     by_value
      - .actual_access:  read_only
        .address_space:  global
        .offset:         16
        .size:           8
        .value_kind:     global_buffer
      - .actual_access:  read_only
        .address_space:  global
        .offset:         24
        .size:           8
        .value_kind:     global_buffer
      - .actual_access:  read_only
        .address_space:  global
        .offset:         32
        .size:           8
        .value_kind:     global_buffer
      - .actual_access:  read_only
        .address_space:  global
        .offset:         40
        .size:           8
        .value_kind:     global_buffer
      - .actual_access:  write_only
        .address_space:  global
        .offset:         48
        .size:           8
        .value_kind:     global_buffer
      - .actual_access:  read_only
        .address_space:  global
        .offset:         56
        .size:           8
        .value_kind:     global_buffer
      - .offset:         64
        .size:           4
        .value_kind:     hidden_block_count_x
      - .offset:         68
        .size:           4
        .value_kind:     hidden_block_count_y
      - .offset:         72
        .size:           4
        .value_kind:     hidden_block_count_z
      - .offset:         76
        .size:           2
        .value_kind:     hidden_group_size_x
      - .offset:         78
        .size:           2
        .value_kind:     hidden_group_size_y
      - .offset:         80
        .size:           2
        .value_kind:     hidden_group_size_z
      - .offset:         82
        .size:           2
        .value_kind:     hidden_remainder_x
      - .offset:         84
        .size:           2
        .value_kind:     hidden_remainder_y
      - .offset:         86
        .size:           2
        .value_kind:     hidden_remainder_z
      - .offset:         104
        .size:           8
        .value_kind:     hidden_global_offset_x
      - .offset:         112
        .size:           8
        .value_kind:     hidden_global_offset_y
      - .offset:         120
        .size:           8
        .value_kind:     hidden_global_offset_z
      - .offset:         128
        .size:           2
        .value_kind:     hidden_grid_dims
    .group_segment_fixed_size: 0
    .kernarg_segment_align: 8
    .kernarg_segment_size: 320
    .language:       OpenCL C
    .language_version:
      - 2
      - 0
    .max_flat_workgroup_size: 64
    .name:           _ZN2at6native12_GLOBAL__N_135GammaBetaBackwardCUDAKernelTemplateIN3c108BFloat16EfLj64ELj1ELj8ELb1ELb0ELb1EEEvllPKT_S7_PKT0_SA_PS5_SB_
    .private_segment_fixed_size: 0
    .sgpr_count:     39
    .sgpr_spill_count: 0
    .symbol:         _ZN2at6native12_GLOBAL__N_135GammaBetaBackwardCUDAKernelTemplateIN3c108BFloat16EfLj64ELj1ELj8ELb1ELb0ELb1EEEvllPKT_S7_PKT0_SA_PS5_SB_.kd
    .uniform_work_group_size: 1
    .uses_dynamic_stack: false
    .vgpr_count:     95
    .vgpr_spill_count: 0
    .wavefront_size: 32
    .workgroup_processor_mode: 1
  - .args:
      - .offset:         0
        .size:           8
        .value_kind:     by_value
      - .offset:         8
        .size:           8
        .value_kind:     by_value
      - .actual_access:  read_only
        .address_space:  global
        .offset:         16
        .size:           8
        .value_kind:     global_buffer
      - .actual_access:  read_only
        .address_space:  global
        .offset:         24
        .size:           8
        .value_kind:     global_buffer
      - .actual_access:  read_only
        .address_space:  global
        .offset:         32
        .size:           8
        .value_kind:     global_buffer
      - .actual_access:  read_only
        .address_space:  global
        .offset:         40
        .size:           8
        .value_kind:     global_buffer
      - .actual_access:  write_only
        .address_space:  global
        .offset:         48
        .size:           8
        .value_kind:     global_buffer
      - .actual_access:  read_only
        .address_space:  global
        .offset:         56
        .size:           8
        .value_kind:     global_buffer
      - .offset:         64
        .size:           4
        .value_kind:     hidden_block_count_x
      - .offset:         68
        .size:           4
        .value_kind:     hidden_block_count_y
      - .offset:         72
        .size:           4
        .value_kind:     hidden_block_count_z
      - .offset:         76
        .size:           2
        .value_kind:     hidden_group_size_x
      - .offset:         78
        .size:           2
        .value_kind:     hidden_group_size_y
      - .offset:         80
        .size:           2
        .value_kind:     hidden_group_size_z
      - .offset:         82
        .size:           2
        .value_kind:     hidden_remainder_x
      - .offset:         84
        .size:           2
        .value_kind:     hidden_remainder_y
      - .offset:         86
        .size:           2
        .value_kind:     hidden_remainder_z
      - .offset:         104
        .size:           8
        .value_kind:     hidden_global_offset_x
      - .offset:         112
        .size:           8
        .value_kind:     hidden_global_offset_y
      - .offset:         120
        .size:           8
        .value_kind:     hidden_global_offset_z
      - .offset:         128
        .size:           2
        .value_kind:     hidden_grid_dims
      - .offset:         184
        .size:           4
        .value_kind:     hidden_dynamic_lds_size
    .group_segment_fixed_size: 0
    .kernarg_segment_align: 8
    .kernarg_segment_size: 320
    .language:       OpenCL C
    .language_version:
      - 2
      - 0
    .max_flat_workgroup_size: 512
    .name:           _ZN2at6native12_GLOBAL__N_135GammaBetaBackwardCUDAKernelTemplateIN3c108BFloat16EfLj64ELj8ELj64ELb0ELb1ELb1EEEvllPKT_S7_PKT0_SA_PS5_SB_
    .private_segment_fixed_size: 0
    .sgpr_count:     24
    .sgpr_spill_count: 0
    .symbol:         _ZN2at6native12_GLOBAL__N_135GammaBetaBackwardCUDAKernelTemplateIN3c108BFloat16EfLj64ELj8ELj64ELb0ELb1ELb1EEEvllPKT_S7_PKT0_SA_PS5_SB_.kd
    .uniform_work_group_size: 1
    .uses_dynamic_stack: false
    .vgpr_count:     40
    .vgpr_spill_count: 0
    .wavefront_size: 32
    .workgroup_processor_mode: 1
  - .args:
      - .offset:         0
        .size:           8
        .value_kind:     by_value
      - .offset:         8
        .size:           8
        .value_kind:     by_value
      - .actual_access:  read_only
        .address_space:  global
        .offset:         16
        .size:           8
        .value_kind:     global_buffer
      - .actual_access:  read_only
        .address_space:  global
        .offset:         24
        .size:           8
        .value_kind:     global_buffer
      - .actual_access:  read_only
        .address_space:  global
        .offset:         32
        .size:           8
        .value_kind:     global_buffer
      - .actual_access:  read_only
        .address_space:  global
        .offset:         40
        .size:           8
        .value_kind:     global_buffer
      - .actual_access:  write_only
        .address_space:  global
        .offset:         48
        .size:           8
        .value_kind:     global_buffer
      - .actual_access:  read_only
        .address_space:  global
        .offset:         56
        .size:           8
        .value_kind:     global_buffer
      - .offset:         64
        .size:           4
        .value_kind:     hidden_block_count_x
      - .offset:         68
        .size:           4
        .value_kind:     hidden_block_count_y
      - .offset:         72
        .size:           4
        .value_kind:     hidden_block_count_z
      - .offset:         76
        .size:           2
        .value_kind:     hidden_group_size_x
      - .offset:         78
        .size:           2
        .value_kind:     hidden_group_size_y
      - .offset:         80
        .size:           2
        .value_kind:     hidden_group_size_z
      - .offset:         82
        .size:           2
        .value_kind:     hidden_remainder_x
      - .offset:         84
        .size:           2
        .value_kind:     hidden_remainder_y
      - .offset:         86
        .size:           2
        .value_kind:     hidden_remainder_z
      - .offset:         104
        .size:           8
        .value_kind:     hidden_global_offset_x
      - .offset:         112
        .size:           8
        .value_kind:     hidden_global_offset_y
      - .offset:         120
        .size:           8
        .value_kind:     hidden_global_offset_z
      - .offset:         128
        .size:           2
        .value_kind:     hidden_grid_dims
      - .offset:         184
        .size:           4
        .value_kind:     hidden_dynamic_lds_size
    .group_segment_fixed_size: 0
    .kernarg_segment_align: 8
    .kernarg_segment_size: 320
    .language:       OpenCL C
    .language_version:
      - 2
      - 0
    .max_flat_workgroup_size: 512
    .name:           _ZN2at6native12_GLOBAL__N_135GammaBetaBackwardCUDAKernelTemplateIN3c108BFloat16EfLj64ELj8ELj64ELb0ELb0ELb1EEEvllPKT_S7_PKT0_SA_PS5_SB_
    .private_segment_fixed_size: 0
    .sgpr_count:     39
    .sgpr_spill_count: 0
    .symbol:         _ZN2at6native12_GLOBAL__N_135GammaBetaBackwardCUDAKernelTemplateIN3c108BFloat16EfLj64ELj8ELj64ELb0ELb0ELb1EEEvllPKT_S7_PKT0_SA_PS5_SB_.kd
    .uniform_work_group_size: 1
    .uses_dynamic_stack: false
    .vgpr_count:     94
    .vgpr_spill_count: 0
    .wavefront_size: 32
    .workgroup_processor_mode: 1
  - .args:
      - .offset:         0
        .size:           8
        .value_kind:     by_value
      - .offset:         8
        .size:           8
        .value_kind:     by_value
      - .actual_access:  read_only
        .address_space:  global
        .offset:         16
        .size:           8
        .value_kind:     global_buffer
      - .actual_access:  read_only
        .address_space:  global
        .offset:         24
        .size:           8
        .value_kind:     global_buffer
      - .actual_access:  read_only
        .address_space:  global
        .offset:         32
        .size:           8
        .value_kind:     global_buffer
      - .actual_access:  read_only
        .address_space:  global
        .offset:         40
        .size:           8
        .value_kind:     global_buffer
      - .actual_access:  write_only
        .address_space:  global
        .offset:         48
        .size:           8
        .value_kind:     global_buffer
      - .actual_access:  read_only
        .address_space:  global
        .offset:         56
        .size:           8
        .value_kind:     global_buffer
      - .offset:         64
        .size:           4
        .value_kind:     hidden_block_count_x
      - .offset:         68
        .size:           4
        .value_kind:     hidden_block_count_y
      - .offset:         72
        .size:           4
        .value_kind:     hidden_block_count_z
      - .offset:         76
        .size:           2
        .value_kind:     hidden_group_size_x
      - .offset:         78
        .size:           2
        .value_kind:     hidden_group_size_y
      - .offset:         80
        .size:           2
        .value_kind:     hidden_group_size_z
      - .offset:         82
        .size:           2
        .value_kind:     hidden_remainder_x
      - .offset:         84
        .size:           2
        .value_kind:     hidden_remainder_y
      - .offset:         86
        .size:           2
        .value_kind:     hidden_remainder_z
      - .offset:         104
        .size:           8
        .value_kind:     hidden_global_offset_x
      - .offset:         112
        .size:           8
        .value_kind:     hidden_global_offset_y
      - .offset:         120
        .size:           8
        .value_kind:     hidden_global_offset_z
      - .offset:         128
        .size:           2
        .value_kind:     hidden_grid_dims
      - .offset:         184
        .size:           4
        .value_kind:     hidden_dynamic_lds_size
    .group_segment_fixed_size: 0
    .kernarg_segment_align: 8
    .kernarg_segment_size: 320
    .language:       OpenCL C
    .language_version:
      - 2
      - 0
    .max_flat_workgroup_size: 1024
    .name:           _ZN2at6native12_GLOBAL__N_135GammaBetaBackwardCUDAKernelTemplateIN3c108BFloat16EfLj64ELj16ELj128ELb0ELb1ELb1EEEvllPKT_S7_PKT0_SA_PS5_SB_
    .private_segment_fixed_size: 0
    .sgpr_count:     24
    .sgpr_spill_count: 0
    .symbol:         _ZN2at6native12_GLOBAL__N_135GammaBetaBackwardCUDAKernelTemplateIN3c108BFloat16EfLj64ELj16ELj128ELb0ELb1ELb1EEEvllPKT_S7_PKT0_SA_PS5_SB_.kd
    .uniform_work_group_size: 1
    .uses_dynamic_stack: false
    .vgpr_count:     40
    .vgpr_spill_count: 0
    .wavefront_size: 32
    .workgroup_processor_mode: 1
  - .args:
      - .offset:         0
        .size:           8
        .value_kind:     by_value
      - .offset:         8
        .size:           8
        .value_kind:     by_value
      - .actual_access:  read_only
        .address_space:  global
        .offset:         16
        .size:           8
        .value_kind:     global_buffer
      - .actual_access:  read_only
        .address_space:  global
        .offset:         24
        .size:           8
        .value_kind:     global_buffer
      - .actual_access:  read_only
        .address_space:  global
        .offset:         32
        .size:           8
        .value_kind:     global_buffer
      - .actual_access:  read_only
        .address_space:  global
        .offset:         40
        .size:           8
        .value_kind:     global_buffer
      - .actual_access:  write_only
        .address_space:  global
        .offset:         48
        .size:           8
        .value_kind:     global_buffer
      - .actual_access:  read_only
        .address_space:  global
        .offset:         56
        .size:           8
        .value_kind:     global_buffer
      - .offset:         64
        .size:           4
        .value_kind:     hidden_block_count_x
      - .offset:         68
        .size:           4
        .value_kind:     hidden_block_count_y
      - .offset:         72
        .size:           4
        .value_kind:     hidden_block_count_z
      - .offset:         76
        .size:           2
        .value_kind:     hidden_group_size_x
      - .offset:         78
        .size:           2
        .value_kind:     hidden_group_size_y
      - .offset:         80
        .size:           2
        .value_kind:     hidden_group_size_z
      - .offset:         82
        .size:           2
        .value_kind:     hidden_remainder_x
      - .offset:         84
        .size:           2
        .value_kind:     hidden_remainder_y
      - .offset:         86
        .size:           2
        .value_kind:     hidden_remainder_z
      - .offset:         104
        .size:           8
        .value_kind:     hidden_global_offset_x
      - .offset:         112
        .size:           8
        .value_kind:     hidden_global_offset_y
      - .offset:         120
        .size:           8
        .value_kind:     hidden_global_offset_z
      - .offset:         128
        .size:           2
        .value_kind:     hidden_grid_dims
      - .offset:         184
        .size:           4
        .value_kind:     hidden_dynamic_lds_size
    .group_segment_fixed_size: 0
    .kernarg_segment_align: 8
    .kernarg_segment_size: 320
    .language:       OpenCL C
    .language_version:
      - 2
      - 0
    .max_flat_workgroup_size: 1024
    .name:           _ZN2at6native12_GLOBAL__N_135GammaBetaBackwardCUDAKernelTemplateIN3c108BFloat16EfLj64ELj16ELj128ELb0ELb0ELb1EEEvllPKT_S7_PKT0_SA_PS5_SB_
    .private_segment_fixed_size: 0
    .sgpr_count:     39
    .sgpr_spill_count: 0
    .symbol:         _ZN2at6native12_GLOBAL__N_135GammaBetaBackwardCUDAKernelTemplateIN3c108BFloat16EfLj64ELj16ELj128ELb0ELb0ELb1EEEvllPKT_S7_PKT0_SA_PS5_SB_.kd
    .uniform_work_group_size: 1
    .uses_dynamic_stack: false
    .vgpr_count:     94
    .vgpr_spill_count: 0
    .wavefront_size: 32
    .workgroup_processor_mode: 1
  - .args:
      - .offset:         0
        .size:           8
        .value_kind:     by_value
      - .offset:         8
        .size:           8
        .value_kind:     by_value
      - .actual_access:  read_only
        .address_space:  global
        .offset:         16
        .size:           8
        .value_kind:     global_buffer
      - .actual_access:  read_only
        .address_space:  global
        .offset:         24
        .size:           8
        .value_kind:     global_buffer
      - .actual_access:  read_only
        .address_space:  global
        .offset:         32
        .size:           8
        .value_kind:     global_buffer
      - .actual_access:  read_only
        .address_space:  global
        .offset:         40
        .size:           8
        .value_kind:     global_buffer
      - .actual_access:  write_only
        .address_space:  global
        .offset:         48
        .size:           8
        .value_kind:     global_buffer
      - .actual_access:  read_only
        .address_space:  global
        .offset:         56
        .size:           8
        .value_kind:     global_buffer
      - .offset:         64
        .size:           4
        .value_kind:     hidden_block_count_x
      - .offset:         68
        .size:           4
        .value_kind:     hidden_block_count_y
      - .offset:         72
        .size:           4
        .value_kind:     hidden_block_count_z
      - .offset:         76
        .size:           2
        .value_kind:     hidden_group_size_x
      - .offset:         78
        .size:           2
        .value_kind:     hidden_group_size_y
      - .offset:         80
        .size:           2
        .value_kind:     hidden_group_size_z
      - .offset:         82
        .size:           2
        .value_kind:     hidden_remainder_x
      - .offset:         84
        .size:           2
        .value_kind:     hidden_remainder_y
      - .offset:         86
        .size:           2
        .value_kind:     hidden_remainder_z
      - .offset:         104
        .size:           8
        .value_kind:     hidden_global_offset_x
      - .offset:         112
        .size:           8
        .value_kind:     hidden_global_offset_y
      - .offset:         120
        .size:           8
        .value_kind:     hidden_global_offset_z
      - .offset:         128
        .size:           2
        .value_kind:     hidden_grid_dims
      - .offset:         184
        .size:           4
        .value_kind:     hidden_dynamic_lds_size
    .group_segment_fixed_size: 0
    .kernarg_segment_align: 8
    .kernarg_segment_size: 320
    .language:       OpenCL C
    .language_version:
      - 2
      - 0
    .max_flat_workgroup_size: 1024
    .name:           _ZN2at6native12_GLOBAL__N_135GammaBetaBackwardCUDAKernelTemplateIN3c108BFloat16EfLj64ELj16ELj256ELb0ELb1ELb1EEEvllPKT_S7_PKT0_SA_PS5_SB_
    .private_segment_fixed_size: 0
    .sgpr_count:     24
    .sgpr_spill_count: 0
    .symbol:         _ZN2at6native12_GLOBAL__N_135GammaBetaBackwardCUDAKernelTemplateIN3c108BFloat16EfLj64ELj16ELj256ELb0ELb1ELb1EEEvllPKT_S7_PKT0_SA_PS5_SB_.kd
    .uniform_work_group_size: 1
    .uses_dynamic_stack: false
    .vgpr_count:     64
    .vgpr_spill_count: 0
    .wavefront_size: 32
    .workgroup_processor_mode: 1
  - .args:
      - .offset:         0
        .size:           8
        .value_kind:     by_value
      - .offset:         8
        .size:           8
        .value_kind:     by_value
      - .actual_access:  read_only
        .address_space:  global
        .offset:         16
        .size:           8
        .value_kind:     global_buffer
      - .actual_access:  read_only
        .address_space:  global
        .offset:         24
        .size:           8
        .value_kind:     global_buffer
      - .actual_access:  read_only
        .address_space:  global
        .offset:         32
        .size:           8
        .value_kind:     global_buffer
      - .actual_access:  read_only
        .address_space:  global
        .offset:         40
        .size:           8
        .value_kind:     global_buffer
      - .actual_access:  write_only
        .address_space:  global
        .offset:         48
        .size:           8
        .value_kind:     global_buffer
      - .actual_access:  read_only
        .address_space:  global
        .offset:         56
        .size:           8
        .value_kind:     global_buffer
      - .offset:         64
        .size:           4
        .value_kind:     hidden_block_count_x
      - .offset:         68
        .size:           4
        .value_kind:     hidden_block_count_y
      - .offset:         72
        .size:           4
        .value_kind:     hidden_block_count_z
      - .offset:         76
        .size:           2
        .value_kind:     hidden_group_size_x
      - .offset:         78
        .size:           2
        .value_kind:     hidden_group_size_y
      - .offset:         80
        .size:           2
        .value_kind:     hidden_group_size_z
      - .offset:         82
        .size:           2
        .value_kind:     hidden_remainder_x
      - .offset:         84
        .size:           2
        .value_kind:     hidden_remainder_y
      - .offset:         86
        .size:           2
        .value_kind:     hidden_remainder_z
      - .offset:         104
        .size:           8
        .value_kind:     hidden_global_offset_x
      - .offset:         112
        .size:           8
        .value_kind:     hidden_global_offset_y
      - .offset:         120
        .size:           8
        .value_kind:     hidden_global_offset_z
      - .offset:         128
        .size:           2
        .value_kind:     hidden_grid_dims
      - .offset:         184
        .size:           4
        .value_kind:     hidden_dynamic_lds_size
    .group_segment_fixed_size: 0
    .kernarg_segment_align: 8
    .kernarg_segment_size: 320
    .language:       OpenCL C
    .language_version:
      - 2
      - 0
    .max_flat_workgroup_size: 1024
    .name:           _ZN2at6native12_GLOBAL__N_135GammaBetaBackwardCUDAKernelTemplateIN3c108BFloat16EfLj64ELj16ELj256ELb0ELb0ELb1EEEvllPKT_S7_PKT0_SA_PS5_SB_
    .private_segment_fixed_size: 0
    .sgpr_count:     47
    .sgpr_spill_count: 0
    .symbol:         _ZN2at6native12_GLOBAL__N_135GammaBetaBackwardCUDAKernelTemplateIN3c108BFloat16EfLj64ELj16ELj256ELb0ELb0ELb1EEEvllPKT_S7_PKT0_SA_PS5_SB_.kd
    .uniform_work_group_size: 1
    .uses_dynamic_stack: false
    .vgpr_count:     182
    .vgpr_spill_count: 0
    .wavefront_size: 32
    .workgroup_processor_mode: 1
  - .args:
      - .offset:         0
        .size:           8
        .value_kind:     by_value
      - .offset:         8
        .size:           8
        .value_kind:     by_value
      - .actual_access:  read_only
        .address_space:  global
        .offset:         16
        .size:           8
        .value_kind:     global_buffer
      - .actual_access:  read_only
        .address_space:  global
        .offset:         24
        .size:           8
        .value_kind:     global_buffer
      - .actual_access:  read_only
        .address_space:  global
        .offset:         32
        .size:           8
        .value_kind:     global_buffer
      - .actual_access:  read_only
        .address_space:  global
        .offset:         40
        .size:           8
        .value_kind:     global_buffer
      - .actual_access:  write_only
        .address_space:  global
        .offset:         48
        .size:           8
        .value_kind:     global_buffer
      - .actual_access:  read_only
        .address_space:  global
        .offset:         56
        .size:           8
        .value_kind:     global_buffer
      - .offset:         64
        .size:           4
        .value_kind:     hidden_block_count_x
      - .offset:         68
        .size:           4
        .value_kind:     hidden_block_count_y
      - .offset:         72
        .size:           4
        .value_kind:     hidden_block_count_z
      - .offset:         76
        .size:           2
        .value_kind:     hidden_group_size_x
      - .offset:         78
        .size:           2
        .value_kind:     hidden_group_size_y
      - .offset:         80
        .size:           2
        .value_kind:     hidden_group_size_z
      - .offset:         82
        .size:           2
        .value_kind:     hidden_remainder_x
      - .offset:         84
        .size:           2
        .value_kind:     hidden_remainder_y
      - .offset:         86
        .size:           2
        .value_kind:     hidden_remainder_z
      - .offset:         104
        .size:           8
        .value_kind:     hidden_global_offset_x
      - .offset:         112
        .size:           8
        .value_kind:     hidden_global_offset_y
      - .offset:         120
        .size:           8
        .value_kind:     hidden_global_offset_z
      - .offset:         128
        .size:           2
        .value_kind:     hidden_grid_dims
    .group_segment_fixed_size: 0
    .kernarg_segment_align: 8
    .kernarg_segment_size: 320
    .language:       OpenCL C
    .language_version:
      - 2
      - 0
    .max_flat_workgroup_size: 32
    .name:           _ZN2at6native12_GLOBAL__N_135GammaBetaBackwardCUDAKernelTemplateIN3c108BFloat16EfLj32ELj1ELj32ELb1ELb1ELb1EEEvllPKT_S7_PKT0_SA_PS5_SB_
    .private_segment_fixed_size: 0
    .sgpr_count:     26
    .sgpr_spill_count: 0
    .symbol:         _ZN2at6native12_GLOBAL__N_135GammaBetaBackwardCUDAKernelTemplateIN3c108BFloat16EfLj32ELj1ELj32ELb1ELb1ELb1EEEvllPKT_S7_PKT0_SA_PS5_SB_.kd
    .uniform_work_group_size: 1
    .uses_dynamic_stack: false
    .vgpr_count:     96
    .vgpr_spill_count: 0
    .wavefront_size: 32
    .workgroup_processor_mode: 1
  - .args:
      - .offset:         0
        .size:           8
        .value_kind:     by_value
      - .offset:         8
        .size:           8
        .value_kind:     by_value
      - .actual_access:  read_only
        .address_space:  global
        .offset:         16
        .size:           8
        .value_kind:     global_buffer
      - .actual_access:  read_only
        .address_space:  global
        .offset:         24
        .size:           8
        .value_kind:     global_buffer
      - .actual_access:  read_only
        .address_space:  global
        .offset:         32
        .size:           8
        .value_kind:     global_buffer
      - .actual_access:  read_only
        .address_space:  global
        .offset:         40
        .size:           8
        .value_kind:     global_buffer
      - .actual_access:  write_only
        .address_space:  global
        .offset:         48
        .size:           8
        .value_kind:     global_buffer
      - .actual_access:  read_only
        .address_space:  global
        .offset:         56
        .size:           8
        .value_kind:     global_buffer
      - .offset:         64
        .size:           4
        .value_kind:     hidden_block_count_x
      - .offset:         68
        .size:           4
        .value_kind:     hidden_block_count_y
      - .offset:         72
        .size:           4
        .value_kind:     hidden_block_count_z
      - .offset:         76
        .size:           2
        .value_kind:     hidden_group_size_x
      - .offset:         78
        .size:           2
        .value_kind:     hidden_group_size_y
      - .offset:         80
        .size:           2
        .value_kind:     hidden_group_size_z
      - .offset:         82
        .size:           2
        .value_kind:     hidden_remainder_x
      - .offset:         84
        .size:           2
        .value_kind:     hidden_remainder_y
      - .offset:         86
        .size:           2
        .value_kind:     hidden_remainder_z
      - .offset:         104
        .size:           8
        .value_kind:     hidden_global_offset_x
      - .offset:         112
        .size:           8
        .value_kind:     hidden_global_offset_y
      - .offset:         120
        .size:           8
        .value_kind:     hidden_global_offset_z
      - .offset:         128
        .size:           2
        .value_kind:     hidden_grid_dims
    .group_segment_fixed_size: 0
    .kernarg_segment_align: 8
    .kernarg_segment_size: 320
    .language:       OpenCL C
    .language_version:
      - 2
      - 0
    .max_flat_workgroup_size: 32
    .name:           _ZN2at6native12_GLOBAL__N_135GammaBetaBackwardCUDAKernelTemplateIN3c108BFloat16EfLj32ELj1ELj32ELb1ELb0ELb1EEEvllPKT_S7_PKT0_SA_PS5_SB_
    .private_segment_fixed_size: 304
    .sgpr_count:     32
    .sgpr_spill_count: 0
    .symbol:         _ZN2at6native12_GLOBAL__N_135GammaBetaBackwardCUDAKernelTemplateIN3c108BFloat16EfLj32ELj1ELj32ELb1ELb0ELb1EEEvllPKT_S7_PKT0_SA_PS5_SB_.kd
    .uniform_work_group_size: 1
    .uses_dynamic_stack: false
    .vgpr_count:     256
    .vgpr_spill_count: 147
    .wavefront_size: 32
    .workgroup_processor_mode: 1
  - .args:
      - .offset:         0
        .size:           8
        .value_kind:     by_value
      - .offset:         8
        .size:           8
        .value_kind:     by_value
      - .actual_access:  read_only
        .address_space:  global
        .offset:         16
        .size:           8
        .value_kind:     global_buffer
      - .actual_access:  read_only
        .address_space:  global
        .offset:         24
        .size:           8
        .value_kind:     global_buffer
      - .actual_access:  read_only
        .address_space:  global
        .offset:         32
        .size:           8
        .value_kind:     global_buffer
      - .actual_access:  read_only
        .address_space:  global
        .offset:         40
        .size:           8
        .value_kind:     global_buffer
      - .actual_access:  write_only
        .address_space:  global
        .offset:         48
        .size:           8
        .value_kind:     global_buffer
      - .actual_access:  read_only
        .address_space:  global
        .offset:         56
        .size:           8
        .value_kind:     global_buffer
      - .offset:         64
        .size:           4
        .value_kind:     hidden_block_count_x
      - .offset:         68
        .size:           4
        .value_kind:     hidden_block_count_y
      - .offset:         72
        .size:           4
        .value_kind:     hidden_block_count_z
      - .offset:         76
        .size:           2
        .value_kind:     hidden_group_size_x
      - .offset:         78
        .size:           2
        .value_kind:     hidden_group_size_y
      - .offset:         80
        .size:           2
        .value_kind:     hidden_group_size_z
      - .offset:         82
        .size:           2
        .value_kind:     hidden_remainder_x
      - .offset:         84
        .size:           2
        .value_kind:     hidden_remainder_y
      - .offset:         86
        .size:           2
        .value_kind:     hidden_remainder_z
      - .offset:         104
        .size:           8
        .value_kind:     hidden_global_offset_x
      - .offset:         112
        .size:           8
        .value_kind:     hidden_global_offset_y
      - .offset:         120
        .size:           8
        .value_kind:     hidden_global_offset_z
      - .offset:         128
        .size:           2
        .value_kind:     hidden_grid_dims
    .group_segment_fixed_size: 0
    .kernarg_segment_align: 8
    .kernarg_segment_size: 320
    .language:       OpenCL C
    .language_version:
      - 2
      - 0
    .max_flat_workgroup_size: 32
    .name:           _ZN2at6native12_GLOBAL__N_135GammaBetaBackwardCUDAKernelTemplateIN3c108BFloat16EfLj32ELj1ELj8ELb1ELb1ELb1EEEvllPKT_S7_PKT0_SA_PS5_SB_
    .private_segment_fixed_size: 0
    .sgpr_count:     28
    .sgpr_spill_count: 0
    .symbol:         _ZN2at6native12_GLOBAL__N_135GammaBetaBackwardCUDAKernelTemplateIN3c108BFloat16EfLj32ELj1ELj8ELb1ELb1ELb1EEEvllPKT_S7_PKT0_SA_PS5_SB_.kd
    .uniform_work_group_size: 1
    .uses_dynamic_stack: false
    .vgpr_count:     40
    .vgpr_spill_count: 0
    .wavefront_size: 32
    .workgroup_processor_mode: 1
  - .args:
      - .offset:         0
        .size:           8
        .value_kind:     by_value
      - .offset:         8
        .size:           8
        .value_kind:     by_value
      - .actual_access:  read_only
        .address_space:  global
        .offset:         16
        .size:           8
        .value_kind:     global_buffer
      - .actual_access:  read_only
        .address_space:  global
        .offset:         24
        .size:           8
        .value_kind:     global_buffer
      - .actual_access:  read_only
        .address_space:  global
        .offset:         32
        .size:           8
        .value_kind:     global_buffer
      - .actual_access:  read_only
        .address_space:  global
        .offset:         40
        .size:           8
        .value_kind:     global_buffer
      - .actual_access:  write_only
        .address_space:  global
        .offset:         48
        .size:           8
        .value_kind:     global_buffer
      - .actual_access:  read_only
        .address_space:  global
        .offset:         56
        .size:           8
        .value_kind:     global_buffer
      - .offset:         64
        .size:           4
        .value_kind:     hidden_block_count_x
      - .offset:         68
        .size:           4
        .value_kind:     hidden_block_count_y
      - .offset:         72
        .size:           4
        .value_kind:     hidden_block_count_z
      - .offset:         76
        .size:           2
        .value_kind:     hidden_group_size_x
      - .offset:         78
        .size:           2
        .value_kind:     hidden_group_size_y
      - .offset:         80
        .size:           2
        .value_kind:     hidden_group_size_z
      - .offset:         82
        .size:           2
        .value_kind:     hidden_remainder_x
      - .offset:         84
        .size:           2
        .value_kind:     hidden_remainder_y
      - .offset:         86
        .size:           2
        .value_kind:     hidden_remainder_z
      - .offset:         104
        .size:           8
        .value_kind:     hidden_global_offset_x
      - .offset:         112
        .size:           8
        .value_kind:     hidden_global_offset_y
      - .offset:         120
        .size:           8
        .value_kind:     hidden_global_offset_z
      - .offset:         128
        .size:           2
        .value_kind:     hidden_grid_dims
    .group_segment_fixed_size: 0
    .kernarg_segment_align: 8
    .kernarg_segment_size: 320
    .language:       OpenCL C
    .language_version:
      - 2
      - 0
    .max_flat_workgroup_size: 32
    .name:           _ZN2at6native12_GLOBAL__N_135GammaBetaBackwardCUDAKernelTemplateIN3c108BFloat16EfLj32ELj1ELj8ELb1ELb0ELb1EEEvllPKT_S7_PKT0_SA_PS5_SB_
    .private_segment_fixed_size: 0
    .sgpr_count:     39
    .sgpr_spill_count: 0
    .symbol:         _ZN2at6native12_GLOBAL__N_135GammaBetaBackwardCUDAKernelTemplateIN3c108BFloat16EfLj32ELj1ELj8ELb1ELb0ELb1EEEvllPKT_S7_PKT0_SA_PS5_SB_.kd
    .uniform_work_group_size: 1
    .uses_dynamic_stack: false
    .vgpr_count:     95
    .vgpr_spill_count: 0
    .wavefront_size: 32
    .workgroup_processor_mode: 1
  - .args:
      - .offset:         0
        .size:           8
        .value_kind:     by_value
      - .offset:         8
        .size:           8
        .value_kind:     by_value
      - .actual_access:  read_only
        .address_space:  global
        .offset:         16
        .size:           8
        .value_kind:     global_buffer
      - .actual_access:  read_only
        .address_space:  global
        .offset:         24
        .size:           8
        .value_kind:     global_buffer
      - .actual_access:  read_only
        .address_space:  global
        .offset:         32
        .size:           8
        .value_kind:     global_buffer
      - .actual_access:  read_only
        .address_space:  global
        .offset:         40
        .size:           8
        .value_kind:     global_buffer
      - .actual_access:  write_only
        .address_space:  global
        .offset:         48
        .size:           8
        .value_kind:     global_buffer
      - .actual_access:  read_only
        .address_space:  global
        .offset:         56
        .size:           8
        .value_kind:     global_buffer
      - .offset:         64
        .size:           4
        .value_kind:     hidden_block_count_x
      - .offset:         68
        .size:           4
        .value_kind:     hidden_block_count_y
      - .offset:         72
        .size:           4
        .value_kind:     hidden_block_count_z
      - .offset:         76
        .size:           2
        .value_kind:     hidden_group_size_x
      - .offset:         78
        .size:           2
        .value_kind:     hidden_group_size_y
      - .offset:         80
        .size:           2
        .value_kind:     hidden_group_size_z
      - .offset:         82
        .size:           2
        .value_kind:     hidden_remainder_x
      - .offset:         84
        .size:           2
        .value_kind:     hidden_remainder_y
      - .offset:         86
        .size:           2
        .value_kind:     hidden_remainder_z
      - .offset:         104
        .size:           8
        .value_kind:     hidden_global_offset_x
      - .offset:         112
        .size:           8
        .value_kind:     hidden_global_offset_y
      - .offset:         120
        .size:           8
        .value_kind:     hidden_global_offset_z
      - .offset:         128
        .size:           2
        .value_kind:     hidden_grid_dims
      - .offset:         184
        .size:           4
        .value_kind:     hidden_dynamic_lds_size
    .group_segment_fixed_size: 0
    .kernarg_segment_align: 8
    .kernarg_segment_size: 320
    .language:       OpenCL C
    .language_version:
      - 2
      - 0
    .max_flat_workgroup_size: 256
    .name:           _ZN2at6native12_GLOBAL__N_135GammaBetaBackwardCUDAKernelTemplateIN3c108BFloat16EfLj32ELj8ELj64ELb0ELb1ELb1EEEvllPKT_S7_PKT0_SA_PS5_SB_
    .private_segment_fixed_size: 0
    .sgpr_count:     24
    .sgpr_spill_count: 0
    .symbol:         _ZN2at6native12_GLOBAL__N_135GammaBetaBackwardCUDAKernelTemplateIN3c108BFloat16EfLj32ELj8ELj64ELb0ELb1ELb1EEEvllPKT_S7_PKT0_SA_PS5_SB_.kd
    .uniform_work_group_size: 1
    .uses_dynamic_stack: false
    .vgpr_count:     40
    .vgpr_spill_count: 0
    .wavefront_size: 32
    .workgroup_processor_mode: 1
  - .args:
      - .offset:         0
        .size:           8
        .value_kind:     by_value
      - .offset:         8
        .size:           8
        .value_kind:     by_value
      - .actual_access:  read_only
        .address_space:  global
        .offset:         16
        .size:           8
        .value_kind:     global_buffer
      - .actual_access:  read_only
        .address_space:  global
        .offset:         24
        .size:           8
        .value_kind:     global_buffer
      - .actual_access:  read_only
        .address_space:  global
        .offset:         32
        .size:           8
        .value_kind:     global_buffer
      - .actual_access:  read_only
        .address_space:  global
        .offset:         40
        .size:           8
        .value_kind:     global_buffer
      - .actual_access:  write_only
        .address_space:  global
        .offset:         48
        .size:           8
        .value_kind:     global_buffer
      - .actual_access:  read_only
        .address_space:  global
        .offset:         56
        .size:           8
        .value_kind:     global_buffer
      - .offset:         64
        .size:           4
        .value_kind:     hidden_block_count_x
      - .offset:         68
        .size:           4
        .value_kind:     hidden_block_count_y
      - .offset:         72
        .size:           4
        .value_kind:     hidden_block_count_z
      - .offset:         76
        .size:           2
        .value_kind:     hidden_group_size_x
      - .offset:         78
        .size:           2
        .value_kind:     hidden_group_size_y
      - .offset:         80
        .size:           2
        .value_kind:     hidden_group_size_z
      - .offset:         82
        .size:           2
        .value_kind:     hidden_remainder_x
      - .offset:         84
        .size:           2
        .value_kind:     hidden_remainder_y
      - .offset:         86
        .size:           2
        .value_kind:     hidden_remainder_z
      - .offset:         104
        .size:           8
        .value_kind:     hidden_global_offset_x
      - .offset:         112
        .size:           8
        .value_kind:     hidden_global_offset_y
      - .offset:         120
        .size:           8
        .value_kind:     hidden_global_offset_z
      - .offset:         128
        .size:           2
        .value_kind:     hidden_grid_dims
      - .offset:         184
        .size:           4
        .value_kind:     hidden_dynamic_lds_size
    .group_segment_fixed_size: 0
    .kernarg_segment_align: 8
    .kernarg_segment_size: 320
    .language:       OpenCL C
    .language_version:
      - 2
      - 0
    .max_flat_workgroup_size: 256
    .name:           _ZN2at6native12_GLOBAL__N_135GammaBetaBackwardCUDAKernelTemplateIN3c108BFloat16EfLj32ELj8ELj64ELb0ELb0ELb1EEEvllPKT_S7_PKT0_SA_PS5_SB_
    .private_segment_fixed_size: 0
    .sgpr_count:     39
    .sgpr_spill_count: 0
    .symbol:         _ZN2at6native12_GLOBAL__N_135GammaBetaBackwardCUDAKernelTemplateIN3c108BFloat16EfLj32ELj8ELj64ELb0ELb0ELb1EEEvllPKT_S7_PKT0_SA_PS5_SB_.kd
    .uniform_work_group_size: 1
    .uses_dynamic_stack: false
    .vgpr_count:     94
    .vgpr_spill_count: 0
    .wavefront_size: 32
    .workgroup_processor_mode: 1
  - .args:
      - .offset:         0
        .size:           8
        .value_kind:     by_value
      - .offset:         8
        .size:           8
        .value_kind:     by_value
      - .actual_access:  read_only
        .address_space:  global
        .offset:         16
        .size:           8
        .value_kind:     global_buffer
      - .actual_access:  read_only
        .address_space:  global
        .offset:         24
        .size:           8
        .value_kind:     global_buffer
      - .actual_access:  read_only
        .address_space:  global
        .offset:         32
        .size:           8
        .value_kind:     global_buffer
      - .actual_access:  read_only
        .address_space:  global
        .offset:         40
        .size:           8
        .value_kind:     global_buffer
      - .actual_access:  write_only
        .address_space:  global
        .offset:         48
        .size:           8
        .value_kind:     global_buffer
      - .actual_access:  read_only
        .address_space:  global
        .offset:         56
        .size:           8
        .value_kind:     global_buffer
      - .offset:         64
        .size:           4
        .value_kind:     hidden_block_count_x
      - .offset:         68
        .size:           4
        .value_kind:     hidden_block_count_y
      - .offset:         72
        .size:           4
        .value_kind:     hidden_block_count_z
      - .offset:         76
        .size:           2
        .value_kind:     hidden_group_size_x
      - .offset:         78
        .size:           2
        .value_kind:     hidden_group_size_y
      - .offset:         80
        .size:           2
        .value_kind:     hidden_group_size_z
      - .offset:         82
        .size:           2
        .value_kind:     hidden_remainder_x
      - .offset:         84
        .size:           2
        .value_kind:     hidden_remainder_y
      - .offset:         86
        .size:           2
        .value_kind:     hidden_remainder_z
      - .offset:         104
        .size:           8
        .value_kind:     hidden_global_offset_x
      - .offset:         112
        .size:           8
        .value_kind:     hidden_global_offset_y
      - .offset:         120
        .size:           8
        .value_kind:     hidden_global_offset_z
      - .offset:         128
        .size:           2
        .value_kind:     hidden_grid_dims
      - .offset:         184
        .size:           4
        .value_kind:     hidden_dynamic_lds_size
    .group_segment_fixed_size: 0
    .kernarg_segment_align: 8
    .kernarg_segment_size: 320
    .language:       OpenCL C
    .language_version:
      - 2
      - 0
    .max_flat_workgroup_size: 512
    .name:           _ZN2at6native12_GLOBAL__N_135GammaBetaBackwardCUDAKernelTemplateIN3c108BFloat16EfLj32ELj16ELj128ELb0ELb1ELb1EEEvllPKT_S7_PKT0_SA_PS5_SB_
    .private_segment_fixed_size: 0
    .sgpr_count:     24
    .sgpr_spill_count: 0
    .symbol:         _ZN2at6native12_GLOBAL__N_135GammaBetaBackwardCUDAKernelTemplateIN3c108BFloat16EfLj32ELj16ELj128ELb0ELb1ELb1EEEvllPKT_S7_PKT0_SA_PS5_SB_.kd
    .uniform_work_group_size: 1
    .uses_dynamic_stack: false
    .vgpr_count:     40
    .vgpr_spill_count: 0
    .wavefront_size: 32
    .workgroup_processor_mode: 1
  - .args:
      - .offset:         0
        .size:           8
        .value_kind:     by_value
      - .offset:         8
        .size:           8
        .value_kind:     by_value
      - .actual_access:  read_only
        .address_space:  global
        .offset:         16
        .size:           8
        .value_kind:     global_buffer
      - .actual_access:  read_only
        .address_space:  global
        .offset:         24
        .size:           8
        .value_kind:     global_buffer
      - .actual_access:  read_only
        .address_space:  global
        .offset:         32
        .size:           8
        .value_kind:     global_buffer
      - .actual_access:  read_only
        .address_space:  global
        .offset:         40
        .size:           8
        .value_kind:     global_buffer
      - .actual_access:  write_only
        .address_space:  global
        .offset:         48
        .size:           8
        .value_kind:     global_buffer
      - .actual_access:  read_only
        .address_space:  global
        .offset:         56
        .size:           8
        .value_kind:     global_buffer
      - .offset:         64
        .size:           4
        .value_kind:     hidden_block_count_x
      - .offset:         68
        .size:           4
        .value_kind:     hidden_block_count_y
      - .offset:         72
        .size:           4
        .value_kind:     hidden_block_count_z
      - .offset:         76
        .size:           2
        .value_kind:     hidden_group_size_x
      - .offset:         78
        .size:           2
        .value_kind:     hidden_group_size_y
      - .offset:         80
        .size:           2
        .value_kind:     hidden_group_size_z
      - .offset:         82
        .size:           2
        .value_kind:     hidden_remainder_x
      - .offset:         84
        .size:           2
        .value_kind:     hidden_remainder_y
      - .offset:         86
        .size:           2
        .value_kind:     hidden_remainder_z
      - .offset:         104
        .size:           8
        .value_kind:     hidden_global_offset_x
      - .offset:         112
        .size:           8
        .value_kind:     hidden_global_offset_y
      - .offset:         120
        .size:           8
        .value_kind:     hidden_global_offset_z
      - .offset:         128
        .size:           2
        .value_kind:     hidden_grid_dims
      - .offset:         184
        .size:           4
        .value_kind:     hidden_dynamic_lds_size
    .group_segment_fixed_size: 0
    .kernarg_segment_align: 8
    .kernarg_segment_size: 320
    .language:       OpenCL C
    .language_version:
      - 2
      - 0
    .max_flat_workgroup_size: 512
    .name:           _ZN2at6native12_GLOBAL__N_135GammaBetaBackwardCUDAKernelTemplateIN3c108BFloat16EfLj32ELj16ELj128ELb0ELb0ELb1EEEvllPKT_S7_PKT0_SA_PS5_SB_
    .private_segment_fixed_size: 0
    .sgpr_count:     39
    .sgpr_spill_count: 0
    .symbol:         _ZN2at6native12_GLOBAL__N_135GammaBetaBackwardCUDAKernelTemplateIN3c108BFloat16EfLj32ELj16ELj128ELb0ELb0ELb1EEEvllPKT_S7_PKT0_SA_PS5_SB_.kd
    .uniform_work_group_size: 1
    .uses_dynamic_stack: false
    .vgpr_count:     94
    .vgpr_spill_count: 0
    .wavefront_size: 32
    .workgroup_processor_mode: 1
  - .args:
      - .offset:         0
        .size:           8
        .value_kind:     by_value
      - .offset:         8
        .size:           8
        .value_kind:     by_value
      - .actual_access:  read_only
        .address_space:  global
        .offset:         16
        .size:           8
        .value_kind:     global_buffer
      - .actual_access:  read_only
        .address_space:  global
        .offset:         24
        .size:           8
        .value_kind:     global_buffer
      - .actual_access:  read_only
        .address_space:  global
        .offset:         32
        .size:           8
        .value_kind:     global_buffer
      - .actual_access:  read_only
        .address_space:  global
        .offset:         40
        .size:           8
        .value_kind:     global_buffer
      - .actual_access:  write_only
        .address_space:  global
        .offset:         48
        .size:           8
        .value_kind:     global_buffer
      - .actual_access:  read_only
        .address_space:  global
        .offset:         56
        .size:           8
        .value_kind:     global_buffer
      - .offset:         64
        .size:           4
        .value_kind:     hidden_block_count_x
      - .offset:         68
        .size:           4
        .value_kind:     hidden_block_count_y
      - .offset:         72
        .size:           4
        .value_kind:     hidden_block_count_z
      - .offset:         76
        .size:           2
        .value_kind:     hidden_group_size_x
      - .offset:         78
        .size:           2
        .value_kind:     hidden_group_size_y
      - .offset:         80
        .size:           2
        .value_kind:     hidden_group_size_z
      - .offset:         82
        .size:           2
        .value_kind:     hidden_remainder_x
      - .offset:         84
        .size:           2
        .value_kind:     hidden_remainder_y
      - .offset:         86
        .size:           2
        .value_kind:     hidden_remainder_z
      - .offset:         104
        .size:           8
        .value_kind:     hidden_global_offset_x
      - .offset:         112
        .size:           8
        .value_kind:     hidden_global_offset_y
      - .offset:         120
        .size:           8
        .value_kind:     hidden_global_offset_z
      - .offset:         128
        .size:           2
        .value_kind:     hidden_grid_dims
      - .offset:         184
        .size:           4
        .value_kind:     hidden_dynamic_lds_size
    .group_segment_fixed_size: 0
    .kernarg_segment_align: 8
    .kernarg_segment_size: 320
    .language:       OpenCL C
    .language_version:
      - 2
      - 0
    .max_flat_workgroup_size: 1024
    .name:           _ZN2at6native12_GLOBAL__N_135GammaBetaBackwardCUDAKernelTemplateIN3c108BFloat16EfLj32ELj32ELj256ELb0ELb1ELb1EEEvllPKT_S7_PKT0_SA_PS5_SB_
    .private_segment_fixed_size: 0
    .sgpr_count:     24
    .sgpr_spill_count: 0
    .symbol:         _ZN2at6native12_GLOBAL__N_135GammaBetaBackwardCUDAKernelTemplateIN3c108BFloat16EfLj32ELj32ELj256ELb0ELb1ELb1EEEvllPKT_S7_PKT0_SA_PS5_SB_.kd
    .uniform_work_group_size: 1
    .uses_dynamic_stack: false
    .vgpr_count:     40
    .vgpr_spill_count: 0
    .wavefront_size: 32
    .workgroup_processor_mode: 1
  - .args:
      - .offset:         0
        .size:           8
        .value_kind:     by_value
      - .offset:         8
        .size:           8
        .value_kind:     by_value
      - .actual_access:  read_only
        .address_space:  global
        .offset:         16
        .size:           8
        .value_kind:     global_buffer
      - .actual_access:  read_only
        .address_space:  global
        .offset:         24
        .size:           8
        .value_kind:     global_buffer
      - .actual_access:  read_only
        .address_space:  global
        .offset:         32
        .size:           8
        .value_kind:     global_buffer
      - .actual_access:  read_only
        .address_space:  global
        .offset:         40
        .size:           8
        .value_kind:     global_buffer
      - .actual_access:  write_only
        .address_space:  global
        .offset:         48
        .size:           8
        .value_kind:     global_buffer
      - .actual_access:  read_only
        .address_space:  global
        .offset:         56
        .size:           8
        .value_kind:     global_buffer
      - .offset:         64
        .size:           4
        .value_kind:     hidden_block_count_x
      - .offset:         68
        .size:           4
        .value_kind:     hidden_block_count_y
      - .offset:         72
        .size:           4
        .value_kind:     hidden_block_count_z
      - .offset:         76
        .size:           2
        .value_kind:     hidden_group_size_x
      - .offset:         78
        .size:           2
        .value_kind:     hidden_group_size_y
      - .offset:         80
        .size:           2
        .value_kind:     hidden_group_size_z
      - .offset:         82
        .size:           2
        .value_kind:     hidden_remainder_x
      - .offset:         84
        .size:           2
        .value_kind:     hidden_remainder_y
      - .offset:         86
        .size:           2
        .value_kind:     hidden_remainder_z
      - .offset:         104
        .size:           8
        .value_kind:     hidden_global_offset_x
      - .offset:         112
        .size:           8
        .value_kind:     hidden_global_offset_y
      - .offset:         120
        .size:           8
        .value_kind:     hidden_global_offset_z
      - .offset:         128
        .size:           2
        .value_kind:     hidden_grid_dims
      - .offset:         184
        .size:           4
        .value_kind:     hidden_dynamic_lds_size
    .group_segment_fixed_size: 0
    .kernarg_segment_align: 8
    .kernarg_segment_size: 320
    .language:       OpenCL C
    .language_version:
      - 2
      - 0
    .max_flat_workgroup_size: 1024
    .name:           _ZN2at6native12_GLOBAL__N_135GammaBetaBackwardCUDAKernelTemplateIN3c108BFloat16EfLj32ELj32ELj256ELb0ELb0ELb1EEEvllPKT_S7_PKT0_SA_PS5_SB_
    .private_segment_fixed_size: 0
    .sgpr_count:     39
    .sgpr_spill_count: 0
    .symbol:         _ZN2at6native12_GLOBAL__N_135GammaBetaBackwardCUDAKernelTemplateIN3c108BFloat16EfLj32ELj32ELj256ELb0ELb0ELb1EEEvllPKT_S7_PKT0_SA_PS5_SB_.kd
    .uniform_work_group_size: 1
    .uses_dynamic_stack: false
    .vgpr_count:     94
    .vgpr_spill_count: 0
    .wavefront_size: 32
    .workgroup_processor_mode: 1
amdhsa.target:   amdgcn-amd-amdhsa--gfx1100
amdhsa.version:
  - 1
  - 2
...

	.end_amdgpu_metadata
